;; amdgpu-corpus repo=ROCm/rocSPARSE kind=compiled arch=gfx90a opt=O3
	.text
	.amdgcn_target "amdgcn-amd-amdhsa--gfx90a"
	.amdhsa_code_object_version 6
	.section	.text._ZN9rocsparseL46csrmvn_preprocess_device_32_bins_3phase_phase1ILj256EiiEEvT1_PKT0_PS1_S5_,"axG",@progbits,_ZN9rocsparseL46csrmvn_preprocess_device_32_bins_3phase_phase1ILj256EiiEEvT1_PKT0_PS1_S5_,comdat
	.globl	_ZN9rocsparseL46csrmvn_preprocess_device_32_bins_3phase_phase1ILj256EiiEEvT1_PKT0_PS1_S5_ ; -- Begin function _ZN9rocsparseL46csrmvn_preprocess_device_32_bins_3phase_phase1ILj256EiiEEvT1_PKT0_PS1_S5_
	.p2align	8
	.type	_ZN9rocsparseL46csrmvn_preprocess_device_32_bins_3phase_phase1ILj256EiiEEvT1_PKT0_PS1_S5_,@function
_ZN9rocsparseL46csrmvn_preprocess_device_32_bins_3phase_phase1ILj256EiiEEvT1_PKT0_PS1_S5_: ; @_ZN9rocsparseL46csrmvn_preprocess_device_32_bins_3phase_phase1ILj256EiiEEvT1_PKT0_PS1_S5_
; %bb.0:
	s_load_dword s8, s[4:5], 0x0
	v_lshl_or_b32 v0, s6, 8, v0
	s_waitcnt lgkmcnt(0)
	v_cmp_gt_i32_e32 vcc, s8, v0
	s_and_saveexec_b64 s[0:1], vcc
	s_cbranch_execz .LBB0_3
; %bb.1:
	s_load_dword s9, s[4:5], 0x20
	s_load_dwordx4 s[0:3], s[4:5], 0x8
	s_load_dwordx2 s[6:7], s[4:5], 0x18
	s_mov_b64 s[4:5], 0
	v_mov_b32_e32 v5, 0x4f800000
	s_waitcnt lgkmcnt(0)
	s_lshl_b32 s9, s9, 8
	v_mov_b32_e32 v4, s1
	s_mov_b32 s1, 0x800000
	v_mov_b32_e32 v6, 0x42000000
	v_mov_b32_e32 v3, 0
	;; [unrolled: 1-line block ×5, first 2 shown]
.LBB0_2:                                ; =>This Inner Loop Header: Depth=1
	v_ashrrev_i32_e32 v1, 31, v0
	v_lshlrev_b64 v[10:11], 2, v[0:1]
	v_add_co_u32_e32 v12, vcc, s0, v10
	v_addc_co_u32_e32 v13, vcc, v4, v11, vcc
	global_load_dwordx2 v[12:13], v[12:13], off
	v_add_u32_e32 v0, s9, v0
	s_waitcnt vmcnt(0)
	v_sub_u32_e32 v1, v13, v12
	v_cvt_f32_i32_e32 v1, v1
	v_cmp_gt_f32_e32 vcc, s1, v1
	v_cndmask_b32_e32 v2, 1.0, v5, vcc
	v_mul_f32_e32 v1, v1, v2
	v_log_f32_e32 v1, v1
	v_cndmask_b32_e32 v2, 0, v6, vcc
	v_cmp_ne_u32_e32 vcc, v13, v12
	v_sub_f32_e32 v1, v1, v2
	v_ceil_f32_e32 v1, v1
	v_cvt_u32_f32_e32 v1, v1
	v_cndmask_b32_e32 v2, 0, v1, vcc
	v_lshlrev_b64 v[12:13], 2, v[2:3]
	v_add_co_u32_e32 v12, vcc, s6, v12
	v_addc_co_u32_e32 v13, vcc, v7, v13, vcc
	global_atomic_add v1, v[12:13], v8, off glc
	v_add_co_u32_e32 v10, vcc, s2, v10
	v_addc_co_u32_e32 v11, vcc, v9, v11, vcc
	v_cmp_le_i32_e32 vcc, s8, v0
	s_or_b64 s[4:5], vcc, s[4:5]
	s_waitcnt vmcnt(0)
	global_store_dword v[10:11], v1, off
	s_andn2_b64 exec, exec, s[4:5]
	s_cbranch_execnz .LBB0_2
.LBB0_3:
	s_endpgm
	.section	.rodata,"a",@progbits
	.p2align	6, 0x0
	.amdhsa_kernel _ZN9rocsparseL46csrmvn_preprocess_device_32_bins_3phase_phase1ILj256EiiEEvT1_PKT0_PS1_S5_
		.amdhsa_group_segment_fixed_size 0
		.amdhsa_private_segment_fixed_size 0
		.amdhsa_kernarg_size 288
		.amdhsa_user_sgpr_count 6
		.amdhsa_user_sgpr_private_segment_buffer 1
		.amdhsa_user_sgpr_dispatch_ptr 0
		.amdhsa_user_sgpr_queue_ptr 0
		.amdhsa_user_sgpr_kernarg_segment_ptr 1
		.amdhsa_user_sgpr_dispatch_id 0
		.amdhsa_user_sgpr_flat_scratch_init 0
		.amdhsa_user_sgpr_kernarg_preload_length 0
		.amdhsa_user_sgpr_kernarg_preload_offset 0
		.amdhsa_user_sgpr_private_segment_size 0
		.amdhsa_uses_dynamic_stack 0
		.amdhsa_system_sgpr_private_segment_wavefront_offset 0
		.amdhsa_system_sgpr_workgroup_id_x 1
		.amdhsa_system_sgpr_workgroup_id_y 0
		.amdhsa_system_sgpr_workgroup_id_z 0
		.amdhsa_system_sgpr_workgroup_info 0
		.amdhsa_system_vgpr_workitem_id 0
		.amdhsa_next_free_vgpr 14
		.amdhsa_next_free_sgpr 10
		.amdhsa_accum_offset 16
		.amdhsa_reserve_vcc 1
		.amdhsa_reserve_flat_scratch 0
		.amdhsa_float_round_mode_32 0
		.amdhsa_float_round_mode_16_64 0
		.amdhsa_float_denorm_mode_32 3
		.amdhsa_float_denorm_mode_16_64 3
		.amdhsa_dx10_clamp 1
		.amdhsa_ieee_mode 1
		.amdhsa_fp16_overflow 0
		.amdhsa_tg_split 0
		.amdhsa_exception_fp_ieee_invalid_op 0
		.amdhsa_exception_fp_denorm_src 0
		.amdhsa_exception_fp_ieee_div_zero 0
		.amdhsa_exception_fp_ieee_overflow 0
		.amdhsa_exception_fp_ieee_underflow 0
		.amdhsa_exception_fp_ieee_inexact 0
		.amdhsa_exception_int_div_zero 0
	.end_amdhsa_kernel
	.section	.text._ZN9rocsparseL46csrmvn_preprocess_device_32_bins_3phase_phase1ILj256EiiEEvT1_PKT0_PS1_S5_,"axG",@progbits,_ZN9rocsparseL46csrmvn_preprocess_device_32_bins_3phase_phase1ILj256EiiEEvT1_PKT0_PS1_S5_,comdat
.Lfunc_end0:
	.size	_ZN9rocsparseL46csrmvn_preprocess_device_32_bins_3phase_phase1ILj256EiiEEvT1_PKT0_PS1_S5_, .Lfunc_end0-_ZN9rocsparseL46csrmvn_preprocess_device_32_bins_3phase_phase1ILj256EiiEEvT1_PKT0_PS1_S5_
                                        ; -- End function
	.section	.AMDGPU.csdata,"",@progbits
; Kernel info:
; codeLenInByte = 260
; NumSgprs: 14
; NumVgprs: 14
; NumAgprs: 0
; TotalNumVgprs: 14
; ScratchSize: 0
; MemoryBound: 0
; FloatMode: 240
; IeeeMode: 1
; LDSByteSize: 0 bytes/workgroup (compile time only)
; SGPRBlocks: 1
; VGPRBlocks: 1
; NumSGPRsForWavesPerEU: 14
; NumVGPRsForWavesPerEU: 14
; AccumOffset: 16
; Occupancy: 8
; WaveLimiterHint : 0
; COMPUTE_PGM_RSRC2:SCRATCH_EN: 0
; COMPUTE_PGM_RSRC2:USER_SGPR: 6
; COMPUTE_PGM_RSRC2:TRAP_HANDLER: 0
; COMPUTE_PGM_RSRC2:TGID_X_EN: 1
; COMPUTE_PGM_RSRC2:TGID_Y_EN: 0
; COMPUTE_PGM_RSRC2:TGID_Z_EN: 0
; COMPUTE_PGM_RSRC2:TIDIG_COMP_CNT: 0
; COMPUTE_PGM_RSRC3_GFX90A:ACCUM_OFFSET: 3
; COMPUTE_PGM_RSRC3_GFX90A:TG_SPLIT: 0
	.section	.text._ZN9rocsparseL46csrmvn_preprocess_device_32_bins_3phase_phase2IiEEvPT_,"axG",@progbits,_ZN9rocsparseL46csrmvn_preprocess_device_32_bins_3phase_phase2IiEEvPT_,comdat
	.globl	_ZN9rocsparseL46csrmvn_preprocess_device_32_bins_3phase_phase2IiEEvPT_ ; -- Begin function _ZN9rocsparseL46csrmvn_preprocess_device_32_bins_3phase_phase2IiEEvPT_
	.p2align	8
	.type	_ZN9rocsparseL46csrmvn_preprocess_device_32_bins_3phase_phase2IiEEvPT_,@function
_ZN9rocsparseL46csrmvn_preprocess_device_32_bins_3phase_phase2IiEEvPT_: ; @_ZN9rocsparseL46csrmvn_preprocess_device_32_bins_3phase_phase2IiEEvPT_
; %bb.0:
	s_load_dwordx2 s[16:17], s[4:5], 0x0
	v_mov_b32_e32 v0, 0
	s_waitcnt lgkmcnt(0)
	s_load_dwordx16 s[0:15], s[16:17], 0x0
	s_waitcnt lgkmcnt(0)
	s_add_i32 s1, s1, s0
	v_mov_b32_e32 v1, s0
	s_add_i32 s0, s2, s1
	v_mov_b32_e32 v3, s0
	s_add_i32 s0, s3, s0
	v_mov_b32_e32 v2, s1
	s_add_i32 s1, s4, s0
	global_store_dwordx4 v0, v[0:3], s[16:17]
	s_nop 0
	v_mov_b32_e32 v2, s0
	s_add_i32 s0, s5, s1
	v_mov_b32_e32 v3, s1
	s_add_i32 s1, s6, s0
	;; [unrolled: 2-line block ×4, first 2 shown]
	s_add_i32 s2, s9, s1
	s_add_i32 s3, s10, s2
	global_store_dwordx4 v0, v[2:5], s[16:17] offset:16
	s_nop 0
	v_mov_b32_e32 v2, s0
	s_add_i32 s0, s11, s3
	v_mov_b32_e32 v3, s1
	s_add_i32 s1, s12, s0
	v_mov_b32_e32 v4, s2
	v_mov_b32_e32 v5, s3
	s_add_i32 s2, s13, s1
	global_store_dwordx4 v0, v[2:5], s[16:17] offset:32
	s_add_i32 s8, s14, s2
	v_mov_b32_e32 v2, s0
	v_mov_b32_e32 v3, s1
	;; [unrolled: 1-line block ×3, first 2 shown]
	s_load_dwordx8 s[0:7], s[16:17], 0x40
	s_add_i32 s14, s15, s8
	v_mov_b32_e32 v5, s8
	global_store_dwordx4 v0, v[2:5], s[16:17] offset:48
	s_load_dword s15, s[16:17], 0x78
	s_load_dwordx2 s[12:13], s[16:17], 0x70
	s_load_dwordx4 s[8:11], s[16:17], 0x60
	s_waitcnt lgkmcnt(0)
	s_add_i32 s0, s0, s14
	s_add_i32 s1, s1, s0
	;; [unrolled: 1-line block ×3, first 2 shown]
	v_mov_b32_e32 v3, s0
	s_add_i32 s0, s3, s2
	v_mov_b32_e32 v4, s1
	s_add_i32 s1, s4, s0
	v_mov_b32_e32 v5, s2
	s_add_i32 s2, s5, s1
	v_mov_b32_e32 v2, s14
	s_add_i32 s3, s6, s2
	global_store_dwordx4 v0, v[2:5], s[16:17] offset:64
	s_nop 0
	v_mov_b32_e32 v2, s0
	s_add_i32 s0, s7, s3
	v_mov_b32_e32 v3, s1
	s_add_i32 s1, s8, s0
	v_mov_b32_e32 v4, s2
	s_add_i32 s2, s9, s1
	v_mov_b32_e32 v5, s3
	s_add_i32 s3, s10, s2
	global_store_dwordx4 v0, v[2:5], s[16:17] offset:80
	s_nop 0
	;; [unrolled: 10-line block ×3, first 2 shown]
	v_mov_b32_e32 v2, s0
	v_mov_b32_e32 v3, s1
	v_mov_b32_e32 v4, s2
	v_mov_b32_e32 v5, s15
	global_store_dwordx4 v0, v[2:5], s[16:17] offset:112
	s_endpgm
	.section	.rodata,"a",@progbits
	.p2align	6, 0x0
	.amdhsa_kernel _ZN9rocsparseL46csrmvn_preprocess_device_32_bins_3phase_phase2IiEEvPT_
		.amdhsa_group_segment_fixed_size 0
		.amdhsa_private_segment_fixed_size 0
		.amdhsa_kernarg_size 8
		.amdhsa_user_sgpr_count 6
		.amdhsa_user_sgpr_private_segment_buffer 1
		.amdhsa_user_sgpr_dispatch_ptr 0
		.amdhsa_user_sgpr_queue_ptr 0
		.amdhsa_user_sgpr_kernarg_segment_ptr 1
		.amdhsa_user_sgpr_dispatch_id 0
		.amdhsa_user_sgpr_flat_scratch_init 0
		.amdhsa_user_sgpr_kernarg_preload_length 0
		.amdhsa_user_sgpr_kernarg_preload_offset 0
		.amdhsa_user_sgpr_private_segment_size 0
		.amdhsa_uses_dynamic_stack 0
		.amdhsa_system_sgpr_private_segment_wavefront_offset 0
		.amdhsa_system_sgpr_workgroup_id_x 1
		.amdhsa_system_sgpr_workgroup_id_y 0
		.amdhsa_system_sgpr_workgroup_id_z 0
		.amdhsa_system_sgpr_workgroup_info 0
		.amdhsa_system_vgpr_workitem_id 0
		.amdhsa_next_free_vgpr 6
		.amdhsa_next_free_sgpr 18
		.amdhsa_accum_offset 8
		.amdhsa_reserve_vcc 0
		.amdhsa_reserve_flat_scratch 0
		.amdhsa_float_round_mode_32 0
		.amdhsa_float_round_mode_16_64 0
		.amdhsa_float_denorm_mode_32 3
		.amdhsa_float_denorm_mode_16_64 3
		.amdhsa_dx10_clamp 1
		.amdhsa_ieee_mode 1
		.amdhsa_fp16_overflow 0
		.amdhsa_tg_split 0
		.amdhsa_exception_fp_ieee_invalid_op 0
		.amdhsa_exception_fp_denorm_src 0
		.amdhsa_exception_fp_ieee_div_zero 0
		.amdhsa_exception_fp_ieee_overflow 0
		.amdhsa_exception_fp_ieee_underflow 0
		.amdhsa_exception_fp_ieee_inexact 0
		.amdhsa_exception_int_div_zero 0
	.end_amdhsa_kernel
	.section	.text._ZN9rocsparseL46csrmvn_preprocess_device_32_bins_3phase_phase2IiEEvPT_,"axG",@progbits,_ZN9rocsparseL46csrmvn_preprocess_device_32_bins_3phase_phase2IiEEvPT_,comdat
.Lfunc_end1:
	.size	_ZN9rocsparseL46csrmvn_preprocess_device_32_bins_3phase_phase2IiEEvPT_, .Lfunc_end1-_ZN9rocsparseL46csrmvn_preprocess_device_32_bins_3phase_phase2IiEEvPT_
                                        ; -- End function
	.section	.AMDGPU.csdata,"",@progbits
; Kernel info:
; codeLenInByte = 396
; NumSgprs: 22
; NumVgprs: 6
; NumAgprs: 0
; TotalNumVgprs: 6
; ScratchSize: 0
; MemoryBound: 0
; FloatMode: 240
; IeeeMode: 1
; LDSByteSize: 0 bytes/workgroup (compile time only)
; SGPRBlocks: 2
; VGPRBlocks: 0
; NumSGPRsForWavesPerEU: 22
; NumVGPRsForWavesPerEU: 6
; AccumOffset: 8
; Occupancy: 8
; WaveLimiterHint : 0
; COMPUTE_PGM_RSRC2:SCRATCH_EN: 0
; COMPUTE_PGM_RSRC2:USER_SGPR: 6
; COMPUTE_PGM_RSRC2:TRAP_HANDLER: 0
; COMPUTE_PGM_RSRC2:TGID_X_EN: 1
; COMPUTE_PGM_RSRC2:TGID_Y_EN: 0
; COMPUTE_PGM_RSRC2:TGID_Z_EN: 0
; COMPUTE_PGM_RSRC2:TIDIG_COMP_CNT: 0
; COMPUTE_PGM_RSRC3_GFX90A:ACCUM_OFFSET: 1
; COMPUTE_PGM_RSRC3_GFX90A:TG_SPLIT: 0
	.section	.text._ZN9rocsparseL46csrmvn_preprocess_device_32_bins_3phase_phase3ILj256EiiEEvT1_PKT0_PKS1_S6_PS1_,"axG",@progbits,_ZN9rocsparseL46csrmvn_preprocess_device_32_bins_3phase_phase3ILj256EiiEEvT1_PKT0_PKS1_S6_PS1_,comdat
	.globl	_ZN9rocsparseL46csrmvn_preprocess_device_32_bins_3phase_phase3ILj256EiiEEvT1_PKT0_PKS1_S6_PS1_ ; -- Begin function _ZN9rocsparseL46csrmvn_preprocess_device_32_bins_3phase_phase3ILj256EiiEEvT1_PKT0_PKS1_S6_PS1_
	.p2align	8
	.type	_ZN9rocsparseL46csrmvn_preprocess_device_32_bins_3phase_phase3ILj256EiiEEvT1_PKT0_PKS1_S6_PS1_,@function
_ZN9rocsparseL46csrmvn_preprocess_device_32_bins_3phase_phase3ILj256EiiEEvT1_PKT0_PKS1_S6_PS1_: ; @_ZN9rocsparseL46csrmvn_preprocess_device_32_bins_3phase_phase3ILj256EiiEEvT1_PKT0_PKS1_S6_PS1_
; %bb.0:
	s_load_dword s2, s[4:5], 0x0
	v_lshl_or_b32 v0, s6, 8, v0
	s_waitcnt lgkmcnt(0)
	v_cmp_gt_i32_e32 vcc, s2, v0
	s_and_saveexec_b64 s[0:1], vcc
	s_cbranch_execz .LBB2_3
; %bb.1:
	s_load_dword s6, s[4:5], 0x28
	s_load_dwordx8 s[8:15], s[4:5], 0x8
	s_mov_b64 s[0:1], 0
	s_mov_b32 s3, 0x800000
	v_mov_b32_e32 v5, 0x4f800000
	s_waitcnt lgkmcnt(0)
	s_lshl_b32 s4, s6, 8
	v_mov_b32_e32 v4, s9
	v_mov_b32_e32 v6, 0x42000000
	;; [unrolled: 1-line block ×6, first 2 shown]
.LBB2_2:                                ; =>This Inner Loop Header: Depth=1
	v_ashrrev_i32_e32 v1, 31, v0
	v_lshlrev_b64 v[10:11], 2, v[0:1]
	v_add_co_u32_e32 v12, vcc, s8, v10
	v_addc_co_u32_e32 v13, vcc, v4, v11, vcc
	global_load_dwordx2 v[12:13], v[12:13], off
	s_waitcnt vmcnt(0)
	v_sub_u32_e32 v1, v13, v12
	v_cvt_f32_i32_e32 v1, v1
	v_cmp_gt_f32_e32 vcc, s3, v1
	v_cndmask_b32_e32 v2, 1.0, v5, vcc
	v_mul_f32_e32 v1, v1, v2
	v_log_f32_e32 v1, v1
	v_cndmask_b32_e32 v2, 0, v6, vcc
	v_add_co_u32_e32 v10, vcc, s10, v10
	v_sub_f32_e32 v1, v1, v2
	v_ceil_f32_e32 v1, v1
	v_cvt_u32_f32_e32 v1, v1
	v_addc_co_u32_e32 v11, vcc, v8, v11, vcc
	v_cmp_ne_u32_e32 vcc, v13, v12
	v_cndmask_b32_e32 v2, 0, v1, vcc
	global_load_dword v14, v[10:11], off
	v_lshlrev_b64 v[10:11], 2, v[2:3]
	v_add_co_u32_e32 v10, vcc, s12, v10
	v_addc_co_u32_e32 v11, vcc, v7, v11, vcc
	global_load_dword v1, v[10:11], off
	s_waitcnt vmcnt(0)
	v_add_u32_e32 v10, v14, v1
	v_ashrrev_i32_e32 v11, 31, v10
	v_lshlrev_b64 v[10:11], 2, v[10:11]
	v_add_co_u32_e32 v10, vcc, s14, v10
	v_addc_co_u32_e32 v11, vcc, v9, v11, vcc
	global_store_dword v[10:11], v0, off
	v_add_u32_e32 v0, s4, v0
	v_cmp_le_i32_e32 vcc, s2, v0
	s_or_b64 s[0:1], vcc, s[0:1]
	s_andn2_b64 exec, exec, s[0:1]
	s_cbranch_execnz .LBB2_2
.LBB2_3:
	s_endpgm
	.section	.rodata,"a",@progbits
	.p2align	6, 0x0
	.amdhsa_kernel _ZN9rocsparseL46csrmvn_preprocess_device_32_bins_3phase_phase3ILj256EiiEEvT1_PKT0_PKS1_S6_PS1_
		.amdhsa_group_segment_fixed_size 0
		.amdhsa_private_segment_fixed_size 0
		.amdhsa_kernarg_size 296
		.amdhsa_user_sgpr_count 6
		.amdhsa_user_sgpr_private_segment_buffer 1
		.amdhsa_user_sgpr_dispatch_ptr 0
		.amdhsa_user_sgpr_queue_ptr 0
		.amdhsa_user_sgpr_kernarg_segment_ptr 1
		.amdhsa_user_sgpr_dispatch_id 0
		.amdhsa_user_sgpr_flat_scratch_init 0
		.amdhsa_user_sgpr_kernarg_preload_length 0
		.amdhsa_user_sgpr_kernarg_preload_offset 0
		.amdhsa_user_sgpr_private_segment_size 0
		.amdhsa_uses_dynamic_stack 0
		.amdhsa_system_sgpr_private_segment_wavefront_offset 0
		.amdhsa_system_sgpr_workgroup_id_x 1
		.amdhsa_system_sgpr_workgroup_id_y 0
		.amdhsa_system_sgpr_workgroup_id_z 0
		.amdhsa_system_sgpr_workgroup_info 0
		.amdhsa_system_vgpr_workitem_id 0
		.amdhsa_next_free_vgpr 15
		.amdhsa_next_free_sgpr 16
		.amdhsa_accum_offset 16
		.amdhsa_reserve_vcc 1
		.amdhsa_reserve_flat_scratch 0
		.amdhsa_float_round_mode_32 0
		.amdhsa_float_round_mode_16_64 0
		.amdhsa_float_denorm_mode_32 3
		.amdhsa_float_denorm_mode_16_64 3
		.amdhsa_dx10_clamp 1
		.amdhsa_ieee_mode 1
		.amdhsa_fp16_overflow 0
		.amdhsa_tg_split 0
		.amdhsa_exception_fp_ieee_invalid_op 0
		.amdhsa_exception_fp_denorm_src 0
		.amdhsa_exception_fp_ieee_div_zero 0
		.amdhsa_exception_fp_ieee_overflow 0
		.amdhsa_exception_fp_ieee_underflow 0
		.amdhsa_exception_fp_ieee_inexact 0
		.amdhsa_exception_int_div_zero 0
	.end_amdhsa_kernel
	.section	.text._ZN9rocsparseL46csrmvn_preprocess_device_32_bins_3phase_phase3ILj256EiiEEvT1_PKT0_PKS1_S6_PS1_,"axG",@progbits,_ZN9rocsparseL46csrmvn_preprocess_device_32_bins_3phase_phase3ILj256EiiEEvT1_PKT0_PKS1_S6_PS1_,comdat
.Lfunc_end2:
	.size	_ZN9rocsparseL46csrmvn_preprocess_device_32_bins_3phase_phase3ILj256EiiEEvT1_PKT0_PKS1_S6_PS1_, .Lfunc_end2-_ZN9rocsparseL46csrmvn_preprocess_device_32_bins_3phase_phase3ILj256EiiEEvT1_PKT0_PKS1_S6_PS1_
                                        ; -- End function
	.section	.AMDGPU.csdata,"",@progbits
; Kernel info:
; codeLenInByte = 284
; NumSgprs: 20
; NumVgprs: 15
; NumAgprs: 0
; TotalNumVgprs: 15
; ScratchSize: 0
; MemoryBound: 0
; FloatMode: 240
; IeeeMode: 1
; LDSByteSize: 0 bytes/workgroup (compile time only)
; SGPRBlocks: 2
; VGPRBlocks: 1
; NumSGPRsForWavesPerEU: 20
; NumVGPRsForWavesPerEU: 15
; AccumOffset: 16
; Occupancy: 8
; WaveLimiterHint : 1
; COMPUTE_PGM_RSRC2:SCRATCH_EN: 0
; COMPUTE_PGM_RSRC2:USER_SGPR: 6
; COMPUTE_PGM_RSRC2:TRAP_HANDLER: 0
; COMPUTE_PGM_RSRC2:TGID_X_EN: 1
; COMPUTE_PGM_RSRC2:TGID_Y_EN: 0
; COMPUTE_PGM_RSRC2:TGID_Z_EN: 0
; COMPUTE_PGM_RSRC2:TIDIG_COMP_CNT: 0
; COMPUTE_PGM_RSRC3_GFX90A:ACCUM_OFFSET: 3
; COMPUTE_PGM_RSRC3_GFX90A:TG_SPLIT: 0
	.section	.text._ZN9rocsparseL46csrmvn_preprocess_device_32_bins_3phase_phase1ILj256EliEEvT1_PKT0_PS1_S5_,"axG",@progbits,_ZN9rocsparseL46csrmvn_preprocess_device_32_bins_3phase_phase1ILj256EliEEvT1_PKT0_PS1_S5_,comdat
	.globl	_ZN9rocsparseL46csrmvn_preprocess_device_32_bins_3phase_phase1ILj256EliEEvT1_PKT0_PS1_S5_ ; -- Begin function _ZN9rocsparseL46csrmvn_preprocess_device_32_bins_3phase_phase1ILj256EliEEvT1_PKT0_PS1_S5_
	.p2align	8
	.type	_ZN9rocsparseL46csrmvn_preprocess_device_32_bins_3phase_phase1ILj256EliEEvT1_PKT0_PS1_S5_,@function
_ZN9rocsparseL46csrmvn_preprocess_device_32_bins_3phase_phase1ILj256EliEEvT1_PKT0_PS1_S5_: ; @_ZN9rocsparseL46csrmvn_preprocess_device_32_bins_3phase_phase1ILj256EliEEvT1_PKT0_PS1_S5_
; %bb.0:
	s_load_dword s18, s[4:5], 0x0
	v_lshl_or_b32 v4, s6, 8, v0
	s_waitcnt lgkmcnt(0)
	v_cmp_gt_i32_e32 vcc, s18, v4
	s_and_saveexec_b64 s[0:1], vcc
	s_cbranch_execz .LBB3_5
; %bb.1:
	s_load_dword s8, s[4:5], 0x20
	s_load_dwordx4 s[0:3], s[4:5], 0x8
	s_load_dwordx2 s[6:7], s[4:5], 0x18
	s_mov_b32 s10, 0xbf559e2b
	s_mov_b32 s12, 0x652b82fe
	s_waitcnt lgkmcnt(0)
	s_lshl_b32 s19, s8, 8
	s_mov_b32 s8, 0x55555555
	s_mov_b32 s14, 0xffda0d24
	s_mov_b64 s[4:5], 0
	v_mov_b32_e32 v20, s1
	s_mov_b32 s9, 0x3fe55555
	s_mov_b32 s11, 0x3fc3ab76
	;; [unrolled: 1-line block ×4, first 2 shown]
	v_mov_b32_e32 v7, 0
	v_mov_b32_e32 v21, 1
	;; [unrolled: 1-line block ×16, first 2 shown]
	s_branch .LBB3_3
.LBB3_2:                                ;   in Loop: Header=BB3_3 Depth=1
	s_or_b64 exec, exec, s[16:17]
	v_lshlrev_b64 v[0:1], 2, v[6:7]
	v_mov_b32_e32 v2, s7
	v_add_co_u32_e32 v0, vcc, s6, v0
	v_addc_co_u32_e32 v1, vcc, v2, v1, vcc
	global_atomic_add v2, v[0:1], v21, off glc
	v_lshlrev_b64 v[0:1], 2, v[4:5]
	v_mov_b32_e32 v3, s3
	v_add_co_u32_e32 v0, vcc, s2, v0
	v_addc_co_u32_e32 v1, vcc, v3, v1, vcc
	v_add_u32_e32 v4, s19, v4
	v_cmp_le_i32_e32 vcc, s18, v4
	s_or_b64 s[4:5], vcc, s[4:5]
	s_waitcnt vmcnt(0)
	global_store_dword v[0:1], v2, off
	s_andn2_b64 exec, exec, s[4:5]
	s_cbranch_execz .LBB3_5
.LBB3_3:                                ; =>This Inner Loop Header: Depth=1
	v_ashrrev_i32_e32 v5, 31, v4
	v_lshlrev_b64 v[0:1], 3, v[4:5]
	v_add_co_u32_e32 v0, vcc, s0, v0
	v_addc_co_u32_e32 v1, vcc, v20, v1, vcc
	global_load_dwordx4 v[0:3], v[0:1], off
	v_mov_b32_e32 v6, 0
	s_waitcnt vmcnt(0)
	v_cmp_ne_u64_e32 vcc, v[2:3], v[0:1]
	s_and_saveexec_b64 s[16:17], vcc
	s_cbranch_execz .LBB3_2
; %bb.4:                                ;   in Loop: Header=BB3_3 Depth=1
	v_sub_co_u32_e32 v0, vcc, v2, v0
	v_subb_co_u32_e32 v1, vcc, v3, v1, vcc
	v_cvt_f64_i32_e32 v[2:3], v1
	v_ldexp_f64 v[2:3], v[2:3], 32
	v_cvt_f64_u32_e32 v[24:25], v0
	v_add_f64 v[2:3], v[2:3], v[24:25]
	v_frexp_exp_i32_f64_e32 v6, v[2:3]
	v_frexp_mant_f64_e32 v[2:3], v[2:3]
	v_cmp_gt_f64_e32 vcc, s[8:9], v[2:3]
	v_cndmask_b32_e64 v25, v22, 2.0, vcc
	v_mov_b32_e32 v24, v7
	v_mul_f64 v[2:3], v[2:3], v[24:25]
	v_add_f64 v[24:25], v[2:3], 1.0
	v_rcp_f64_e32 v[26:27], v[24:25]
	v_add_f64 v[30:31], v[24:25], -1.0
	v_add_f64 v[28:29], v[2:3], -1.0
	v_add_f64 v[2:3], v[2:3], -v[30:31]
	v_fma_f64 v[30:31], -v[24:25], v[26:27], 1.0
	v_fmac_f64_e32 v[26:27], v[30:31], v[26:27]
	v_fma_f64 v[30:31], -v[24:25], v[26:27], 1.0
	v_fmac_f64_e32 v[26:27], v[30:31], v[26:27]
	v_mul_f64 v[30:31], v[28:29], v[26:27]
	v_mul_f64 v[32:33], v[24:25], v[30:31]
	v_fma_f64 v[24:25], v[30:31], v[24:25], -v[32:33]
	v_fmac_f64_e32 v[24:25], v[30:31], v[2:3]
	v_add_f64 v[2:3], v[32:33], v[24:25]
	v_add_f64 v[34:35], v[28:29], -v[2:3]
	v_add_f64 v[32:33], v[2:3], -v[32:33]
	;; [unrolled: 1-line block ×5, first 2 shown]
	v_add_f64 v[2:3], v[24:25], v[2:3]
	v_add_f64 v[2:3], v[34:35], v[2:3]
	v_mul_f64 v[2:3], v[26:27], v[2:3]
	v_add_f64 v[24:25], v[30:31], v[2:3]
	v_add_f64 v[26:27], v[24:25], -v[30:31]
	v_add_f64 v[2:3], v[2:3], -v[26:27]
	v_mul_f64 v[26:27], v[24:25], v[24:25]
	v_pk_mov_b32 v[28:29], v[8:9], v[8:9] op_sel:[0,1]
	v_fmac_f64_e32 v[28:29], s[10:11], v[26:27]
	v_pk_mov_b32 v[30:31], v[10:11], v[10:11] op_sel:[0,1]
	v_fmac_f64_e32 v[30:31], v[26:27], v[28:29]
	;; [unrolled: 2-line block ×6, first 2 shown]
	v_ldexp_f64 v[28:29], v[24:25], 1
	v_mul_f64 v[24:25], v[24:25], v[26:27]
	v_mul_f64 v[24:25], v[24:25], v[30:31]
	v_add_f64 v[26:27], v[28:29], v[24:25]
	v_add_f64 v[28:29], v[26:27], -v[28:29]
	v_ldexp_f64 v[2:3], v[2:3], 1
	v_add_f64 v[24:25], v[24:25], -v[28:29]
	v_add_f64 v[2:3], v[2:3], v[24:25]
	v_add_f64 v[24:25], v[26:27], v[2:3]
	v_add_f64 v[26:27], v[24:25], -v[26:27]
	v_mul_f64 v[28:29], v[24:25], s[12:13]
	v_add_f64 v[2:3], v[2:3], -v[26:27]
	v_fma_f64 v[30:31], v[24:25], s[12:13], -v[28:29]
	v_fmac_f64_e32 v[30:31], s[12:13], v[2:3]
	v_subbrev_co_u32_e32 v6, vcc, 0, v6, vcc
	v_fmac_f64_e32 v[30:31], s[14:15], v[24:25]
	v_cvt_f64_i32_e32 v[26:27], v6
	v_add_f64 v[2:3], v[28:29], v[30:31]
	v_add_f64 v[24:25], v[2:3], -v[28:29]
	v_add_f64 v[28:29], v[2:3], v[26:27]
	v_add_f64 v[24:25], v[30:31], -v[24:25]
	v_add_f64 v[30:31], v[28:29], -v[26:27]
	;; [unrolled: 1-line block ×3, first 2 shown]
	v_add_f64 v[26:27], v[32:33], v[26:27]
	v_add_f64 v[2:3], v[2:3], -v[30:31]
	v_add_f64 v[2:3], v[2:3], v[26:27]
	v_add_f64 v[2:3], v[24:25], v[2:3]
	;; [unrolled: 1-line block ×3, first 2 shown]
	v_cmp_lt_i64_e32 vcc, -1, v[0:1]
	v_cndmask_b32_e32 v1, v23, v3, vcc
	v_cndmask_b32_e32 v0, 0, v2, vcc
	v_ceil_f64_e32 v[0:1], v[0:1]
	v_cvt_u32_f64_e32 v6, v[0:1]
	s_branch .LBB3_2
.LBB3_5:
	s_endpgm
	.section	.rodata,"a",@progbits
	.p2align	6, 0x0
	.amdhsa_kernel _ZN9rocsparseL46csrmvn_preprocess_device_32_bins_3phase_phase1ILj256EliEEvT1_PKT0_PS1_S5_
		.amdhsa_group_segment_fixed_size 0
		.amdhsa_private_segment_fixed_size 0
		.amdhsa_kernarg_size 288
		.amdhsa_user_sgpr_count 6
		.amdhsa_user_sgpr_private_segment_buffer 1
		.amdhsa_user_sgpr_dispatch_ptr 0
		.amdhsa_user_sgpr_queue_ptr 0
		.amdhsa_user_sgpr_kernarg_segment_ptr 1
		.amdhsa_user_sgpr_dispatch_id 0
		.amdhsa_user_sgpr_flat_scratch_init 0
		.amdhsa_user_sgpr_kernarg_preload_length 0
		.amdhsa_user_sgpr_kernarg_preload_offset 0
		.amdhsa_user_sgpr_private_segment_size 0
		.amdhsa_uses_dynamic_stack 0
		.amdhsa_system_sgpr_private_segment_wavefront_offset 0
		.amdhsa_system_sgpr_workgroup_id_x 1
		.amdhsa_system_sgpr_workgroup_id_y 0
		.amdhsa_system_sgpr_workgroup_id_z 0
		.amdhsa_system_sgpr_workgroup_info 0
		.amdhsa_system_vgpr_workitem_id 0
		.amdhsa_next_free_vgpr 36
		.amdhsa_next_free_sgpr 20
		.amdhsa_accum_offset 36
		.amdhsa_reserve_vcc 1
		.amdhsa_reserve_flat_scratch 0
		.amdhsa_float_round_mode_32 0
		.amdhsa_float_round_mode_16_64 0
		.amdhsa_float_denorm_mode_32 3
		.amdhsa_float_denorm_mode_16_64 3
		.amdhsa_dx10_clamp 1
		.amdhsa_ieee_mode 1
		.amdhsa_fp16_overflow 0
		.amdhsa_tg_split 0
		.amdhsa_exception_fp_ieee_invalid_op 0
		.amdhsa_exception_fp_denorm_src 0
		.amdhsa_exception_fp_ieee_div_zero 0
		.amdhsa_exception_fp_ieee_overflow 0
		.amdhsa_exception_fp_ieee_underflow 0
		.amdhsa_exception_fp_ieee_inexact 0
		.amdhsa_exception_int_div_zero 0
	.end_amdhsa_kernel
	.section	.text._ZN9rocsparseL46csrmvn_preprocess_device_32_bins_3phase_phase1ILj256EliEEvT1_PKT0_PS1_S5_,"axG",@progbits,_ZN9rocsparseL46csrmvn_preprocess_device_32_bins_3phase_phase1ILj256EliEEvT1_PKT0_PS1_S5_,comdat
.Lfunc_end3:
	.size	_ZN9rocsparseL46csrmvn_preprocess_device_32_bins_3phase_phase1ILj256EliEEvT1_PKT0_PS1_S5_, .Lfunc_end3-_ZN9rocsparseL46csrmvn_preprocess_device_32_bins_3phase_phase1ILj256EliEEvT1_PKT0_PS1_S5_
                                        ; -- End function
	.section	.AMDGPU.csdata,"",@progbits
; Kernel info:
; codeLenInByte = 956
; NumSgprs: 24
; NumVgprs: 36
; NumAgprs: 0
; TotalNumVgprs: 36
; ScratchSize: 0
; MemoryBound: 0
; FloatMode: 240
; IeeeMode: 1
; LDSByteSize: 0 bytes/workgroup (compile time only)
; SGPRBlocks: 2
; VGPRBlocks: 4
; NumSGPRsForWavesPerEU: 24
; NumVGPRsForWavesPerEU: 36
; AccumOffset: 36
; Occupancy: 8
; WaveLimiterHint : 0
; COMPUTE_PGM_RSRC2:SCRATCH_EN: 0
; COMPUTE_PGM_RSRC2:USER_SGPR: 6
; COMPUTE_PGM_RSRC2:TRAP_HANDLER: 0
; COMPUTE_PGM_RSRC2:TGID_X_EN: 1
; COMPUTE_PGM_RSRC2:TGID_Y_EN: 0
; COMPUTE_PGM_RSRC2:TGID_Z_EN: 0
; COMPUTE_PGM_RSRC2:TIDIG_COMP_CNT: 0
; COMPUTE_PGM_RSRC3_GFX90A:ACCUM_OFFSET: 8
; COMPUTE_PGM_RSRC3_GFX90A:TG_SPLIT: 0
	.section	.text._ZN9rocsparseL46csrmvn_preprocess_device_32_bins_3phase_phase3ILj256EliEEvT1_PKT0_PKS1_S6_PS1_,"axG",@progbits,_ZN9rocsparseL46csrmvn_preprocess_device_32_bins_3phase_phase3ILj256EliEEvT1_PKT0_PKS1_S6_PS1_,comdat
	.globl	_ZN9rocsparseL46csrmvn_preprocess_device_32_bins_3phase_phase3ILj256EliEEvT1_PKT0_PKS1_S6_PS1_ ; -- Begin function _ZN9rocsparseL46csrmvn_preprocess_device_32_bins_3phase_phase3ILj256EliEEvT1_PKT0_PKS1_S6_PS1_
	.p2align	8
	.type	_ZN9rocsparseL46csrmvn_preprocess_device_32_bins_3phase_phase3ILj256EliEEvT1_PKT0_PKS1_S6_PS1_,@function
_ZN9rocsparseL46csrmvn_preprocess_device_32_bins_3phase_phase3ILj256EliEEvT1_PKT0_PKS1_S6_PS1_: ; @_ZN9rocsparseL46csrmvn_preprocess_device_32_bins_3phase_phase3ILj256EliEEvT1_PKT0_PKS1_S6_PS1_
; %bb.0:
	s_load_dword s20, s[4:5], 0x0
	v_lshl_or_b32 v4, s6, 8, v0
	s_waitcnt lgkmcnt(0)
	v_cmp_gt_i32_e32 vcc, s20, v4
	s_and_saveexec_b64 s[0:1], vcc
	s_cbranch_execz .LBB4_5
; %bb.1:
	s_load_dword s2, s[4:5], 0x28
	s_load_dwordx8 s[8:15], s[4:5], 0x8
	s_mov_b32 s4, 0xbf559e2b
	s_mov_b32 s6, 0x652b82fe
	;; [unrolled: 1-line block ×3, first 2 shown]
	s_waitcnt lgkmcnt(0)
	s_lshl_b32 s21, s2, 8
	s_mov_b32 s2, 0x55555555
	s_mov_b64 s[0:1], 0
	v_mov_b32_e32 v20, s9
	s_mov_b32 s3, 0x3fe55555
	s_mov_b32 s5, 0x3fc3ab76
	;; [unrolled: 1-line block ×4, first 2 shown]
	v_mov_b32_e32 v7, 0
	v_mov_b32_e32 v21, 0x3ff00000
	v_mov_b32_e32 v8, 0x6b47b09a
	v_mov_b32_e32 v9, 0x3fc38538
	v_mov_b32_e32 v10, 0xd7f4df2e
	v_mov_b32_e32 v11, 0x3fc7474d
	v_mov_b32_e32 v12, 0x16291751
	v_mov_b32_e32 v13, 0x3fcc71c0
	v_mov_b32_e32 v14, 0x9b27acf1
	v_mov_b32_e32 v15, 0x3fd24924
	v_mov_b32_e32 v16, 0x998ef7b6
	v_mov_b32_e32 v17, 0x3fd99999
	v_mov_b32_e32 v18, 0x55555780
	v_mov_b32_e32 v19, 0x3fe55555
	v_mov_b32_e32 v22, 0x7ff80000
	s_branch .LBB4_3
.LBB4_2:                                ;   in Loop: Header=BB4_3 Depth=1
	s_or_b64 exec, exec, s[18:19]
	v_lshlrev_b64 v[0:1], 2, v[6:7]
	v_mov_b32_e32 v2, s13
	v_add_co_u32_e32 v0, vcc, s12, v0
	v_addc_co_u32_e32 v1, vcc, v2, v1, vcc
	global_load_dword v2, v[0:1], off
	v_lshlrev_b64 v[0:1], 2, v[4:5]
	v_mov_b32_e32 v3, s11
	v_add_co_u32_e32 v0, vcc, s10, v0
	v_addc_co_u32_e32 v1, vcc, v3, v1, vcc
	global_load_dword v0, v[0:1], off
	v_mov_b32_e32 v3, s15
	s_waitcnt vmcnt(0)
	v_add_u32_e32 v0, v0, v2
	v_ashrrev_i32_e32 v1, 31, v0
	v_lshlrev_b64 v[0:1], 2, v[0:1]
	v_add_co_u32_e32 v0, vcc, s14, v0
	v_addc_co_u32_e32 v1, vcc, v3, v1, vcc
	global_store_dword v[0:1], v4, off
	v_add_u32_e32 v4, s21, v4
	v_cmp_le_i32_e32 vcc, s20, v4
	s_or_b64 s[0:1], vcc, s[0:1]
	s_andn2_b64 exec, exec, s[0:1]
	s_cbranch_execz .LBB4_5
.LBB4_3:                                ; =>This Inner Loop Header: Depth=1
	v_ashrrev_i32_e32 v5, 31, v4
	v_lshlrev_b64 v[0:1], 3, v[4:5]
	v_add_co_u32_e32 v0, vcc, s8, v0
	v_addc_co_u32_e32 v1, vcc, v20, v1, vcc
	global_load_dwordx4 v[0:3], v[0:1], off
	v_mov_b32_e32 v6, 0
	s_waitcnt vmcnt(0)
	v_cmp_ne_u64_e32 vcc, v[2:3], v[0:1]
	s_and_saveexec_b64 s[18:19], vcc
	s_cbranch_execz .LBB4_2
; %bb.4:                                ;   in Loop: Header=BB4_3 Depth=1
	v_sub_co_u32_e32 v0, vcc, v2, v0
	v_subb_co_u32_e32 v1, vcc, v3, v1, vcc
	v_cvt_f64_i32_e32 v[2:3], v1
	v_ldexp_f64 v[2:3], v[2:3], 32
	v_cvt_f64_u32_e32 v[24:25], v0
	v_add_f64 v[2:3], v[2:3], v[24:25]
	v_frexp_exp_i32_f64_e32 v6, v[2:3]
	v_frexp_mant_f64_e32 v[2:3], v[2:3]
	v_cmp_gt_f64_e32 vcc, s[2:3], v[2:3]
	v_cndmask_b32_e64 v25, v21, 2.0, vcc
	v_mov_b32_e32 v24, v7
	v_mul_f64 v[2:3], v[2:3], v[24:25]
	v_add_f64 v[24:25], v[2:3], 1.0
	v_rcp_f64_e32 v[26:27], v[24:25]
	v_add_f64 v[30:31], v[24:25], -1.0
	v_add_f64 v[28:29], v[2:3], -1.0
	v_add_f64 v[2:3], v[2:3], -v[30:31]
	v_fma_f64 v[30:31], -v[24:25], v[26:27], 1.0
	v_fmac_f64_e32 v[26:27], v[30:31], v[26:27]
	v_fma_f64 v[30:31], -v[24:25], v[26:27], 1.0
	v_fmac_f64_e32 v[26:27], v[30:31], v[26:27]
	v_mul_f64 v[30:31], v[28:29], v[26:27]
	v_mul_f64 v[32:33], v[24:25], v[30:31]
	v_fma_f64 v[24:25], v[30:31], v[24:25], -v[32:33]
	v_fmac_f64_e32 v[24:25], v[30:31], v[2:3]
	v_add_f64 v[2:3], v[32:33], v[24:25]
	v_add_f64 v[34:35], v[28:29], -v[2:3]
	v_add_f64 v[32:33], v[2:3], -v[32:33]
	;; [unrolled: 1-line block ×5, first 2 shown]
	v_add_f64 v[2:3], v[24:25], v[2:3]
	v_add_f64 v[2:3], v[34:35], v[2:3]
	v_mul_f64 v[2:3], v[26:27], v[2:3]
	v_add_f64 v[24:25], v[30:31], v[2:3]
	v_add_f64 v[26:27], v[24:25], -v[30:31]
	v_add_f64 v[2:3], v[2:3], -v[26:27]
	v_mul_f64 v[26:27], v[24:25], v[24:25]
	v_pk_mov_b32 v[28:29], v[8:9], v[8:9] op_sel:[0,1]
	v_fmac_f64_e32 v[28:29], s[4:5], v[26:27]
	v_pk_mov_b32 v[30:31], v[10:11], v[10:11] op_sel:[0,1]
	v_fmac_f64_e32 v[30:31], v[26:27], v[28:29]
	;; [unrolled: 2-line block ×6, first 2 shown]
	v_ldexp_f64 v[28:29], v[24:25], 1
	v_mul_f64 v[24:25], v[24:25], v[26:27]
	v_mul_f64 v[24:25], v[24:25], v[30:31]
	v_add_f64 v[26:27], v[28:29], v[24:25]
	v_add_f64 v[28:29], v[26:27], -v[28:29]
	v_ldexp_f64 v[2:3], v[2:3], 1
	v_add_f64 v[24:25], v[24:25], -v[28:29]
	v_add_f64 v[2:3], v[2:3], v[24:25]
	v_add_f64 v[24:25], v[26:27], v[2:3]
	v_add_f64 v[26:27], v[24:25], -v[26:27]
	v_mul_f64 v[28:29], v[24:25], s[6:7]
	v_add_f64 v[2:3], v[2:3], -v[26:27]
	v_fma_f64 v[30:31], v[24:25], s[6:7], -v[28:29]
	v_fmac_f64_e32 v[30:31], s[6:7], v[2:3]
	v_subbrev_co_u32_e32 v6, vcc, 0, v6, vcc
	v_fmac_f64_e32 v[30:31], s[16:17], v[24:25]
	v_cvt_f64_i32_e32 v[26:27], v6
	v_add_f64 v[2:3], v[28:29], v[30:31]
	v_add_f64 v[24:25], v[2:3], -v[28:29]
	v_add_f64 v[28:29], v[2:3], v[26:27]
	v_add_f64 v[24:25], v[30:31], -v[24:25]
	v_add_f64 v[30:31], v[28:29], -v[26:27]
	v_add_f64 v[32:33], v[30:31], -v[28:29]
	v_add_f64 v[26:27], v[32:33], v[26:27]
	v_add_f64 v[2:3], v[2:3], -v[30:31]
	v_add_f64 v[2:3], v[2:3], v[26:27]
	v_add_f64 v[2:3], v[24:25], v[2:3]
	v_add_f64 v[2:3], v[28:29], v[2:3]
	v_cmp_lt_i64_e32 vcc, -1, v[0:1]
	v_cndmask_b32_e32 v1, v22, v3, vcc
	v_cndmask_b32_e32 v0, 0, v2, vcc
	v_ceil_f64_e32 v[0:1], v[0:1]
	v_cvt_u32_f64_e32 v6, v[0:1]
	s_branch .LBB4_2
.LBB4_5:
	s_endpgm
	.section	.rodata,"a",@progbits
	.p2align	6, 0x0
	.amdhsa_kernel _ZN9rocsparseL46csrmvn_preprocess_device_32_bins_3phase_phase3ILj256EliEEvT1_PKT0_PKS1_S6_PS1_
		.amdhsa_group_segment_fixed_size 0
		.amdhsa_private_segment_fixed_size 0
		.amdhsa_kernarg_size 296
		.amdhsa_user_sgpr_count 6
		.amdhsa_user_sgpr_private_segment_buffer 1
		.amdhsa_user_sgpr_dispatch_ptr 0
		.amdhsa_user_sgpr_queue_ptr 0
		.amdhsa_user_sgpr_kernarg_segment_ptr 1
		.amdhsa_user_sgpr_dispatch_id 0
		.amdhsa_user_sgpr_flat_scratch_init 0
		.amdhsa_user_sgpr_kernarg_preload_length 0
		.amdhsa_user_sgpr_kernarg_preload_offset 0
		.amdhsa_user_sgpr_private_segment_size 0
		.amdhsa_uses_dynamic_stack 0
		.amdhsa_system_sgpr_private_segment_wavefront_offset 0
		.amdhsa_system_sgpr_workgroup_id_x 1
		.amdhsa_system_sgpr_workgroup_id_y 0
		.amdhsa_system_sgpr_workgroup_id_z 0
		.amdhsa_system_sgpr_workgroup_info 0
		.amdhsa_system_vgpr_workitem_id 0
		.amdhsa_next_free_vgpr 36
		.amdhsa_next_free_sgpr 22
		.amdhsa_accum_offset 36
		.amdhsa_reserve_vcc 1
		.amdhsa_reserve_flat_scratch 0
		.amdhsa_float_round_mode_32 0
		.amdhsa_float_round_mode_16_64 0
		.amdhsa_float_denorm_mode_32 3
		.amdhsa_float_denorm_mode_16_64 3
		.amdhsa_dx10_clamp 1
		.amdhsa_ieee_mode 1
		.amdhsa_fp16_overflow 0
		.amdhsa_tg_split 0
		.amdhsa_exception_fp_ieee_invalid_op 0
		.amdhsa_exception_fp_denorm_src 0
		.amdhsa_exception_fp_ieee_div_zero 0
		.amdhsa_exception_fp_ieee_overflow 0
		.amdhsa_exception_fp_ieee_underflow 0
		.amdhsa_exception_fp_ieee_inexact 0
		.amdhsa_exception_int_div_zero 0
	.end_amdhsa_kernel
	.section	.text._ZN9rocsparseL46csrmvn_preprocess_device_32_bins_3phase_phase3ILj256EliEEvT1_PKT0_PKS1_S6_PS1_,"axG",@progbits,_ZN9rocsparseL46csrmvn_preprocess_device_32_bins_3phase_phase3ILj256EliEEvT1_PKT0_PKS1_S6_PS1_,comdat
.Lfunc_end4:
	.size	_ZN9rocsparseL46csrmvn_preprocess_device_32_bins_3phase_phase3ILj256EliEEvT1_PKT0_PKS1_S6_PS1_, .Lfunc_end4-_ZN9rocsparseL46csrmvn_preprocess_device_32_bins_3phase_phase3ILj256EliEEvT1_PKT0_PKS1_S6_PS1_
                                        ; -- End function
	.section	.AMDGPU.csdata,"",@progbits
; Kernel info:
; codeLenInByte = 980
; NumSgprs: 26
; NumVgprs: 36
; NumAgprs: 0
; TotalNumVgprs: 36
; ScratchSize: 0
; MemoryBound: 0
; FloatMode: 240
; IeeeMode: 1
; LDSByteSize: 0 bytes/workgroup (compile time only)
; SGPRBlocks: 3
; VGPRBlocks: 4
; NumSGPRsForWavesPerEU: 26
; NumVGPRsForWavesPerEU: 36
; AccumOffset: 36
; Occupancy: 8
; WaveLimiterHint : 1
; COMPUTE_PGM_RSRC2:SCRATCH_EN: 0
; COMPUTE_PGM_RSRC2:USER_SGPR: 6
; COMPUTE_PGM_RSRC2:TRAP_HANDLER: 0
; COMPUTE_PGM_RSRC2:TGID_X_EN: 1
; COMPUTE_PGM_RSRC2:TGID_Y_EN: 0
; COMPUTE_PGM_RSRC2:TGID_Z_EN: 0
; COMPUTE_PGM_RSRC2:TIDIG_COMP_CNT: 0
; COMPUTE_PGM_RSRC3_GFX90A:ACCUM_OFFSET: 8
; COMPUTE_PGM_RSRC3_GFX90A:TG_SPLIT: 0
	.section	.text._ZN9rocsparseL46csrmvn_preprocess_device_32_bins_3phase_phase1ILj256EllEEvT1_PKT0_PS1_S5_,"axG",@progbits,_ZN9rocsparseL46csrmvn_preprocess_device_32_bins_3phase_phase1ILj256EllEEvT1_PKT0_PS1_S5_,comdat
	.globl	_ZN9rocsparseL46csrmvn_preprocess_device_32_bins_3phase_phase1ILj256EllEEvT1_PKT0_PS1_S5_ ; -- Begin function _ZN9rocsparseL46csrmvn_preprocess_device_32_bins_3phase_phase1ILj256EllEEvT1_PKT0_PS1_S5_
	.p2align	8
	.type	_ZN9rocsparseL46csrmvn_preprocess_device_32_bins_3phase_phase1ILj256EllEEvT1_PKT0_PS1_S5_,@function
_ZN9rocsparseL46csrmvn_preprocess_device_32_bins_3phase_phase1ILj256EllEEvT1_PKT0_PS1_S5_: ; @_ZN9rocsparseL46csrmvn_preprocess_device_32_bins_3phase_phase1ILj256EllEEvT1_PKT0_PS1_S5_
; %bb.0:
	s_load_dwordx8 s[8:15], s[4:5], 0x0
	v_lshl_or_b32 v4, s6, 8, v0
	v_mov_b32_e32 v5, 0
	s_waitcnt lgkmcnt(0)
	v_cmp_gt_i64_e32 vcc, s[8:9], v[4:5]
	s_and_saveexec_b64 s[0:1], vcc
	s_cbranch_execz .LBB5_5
; %bb.1:
	s_load_dword s0, s[4:5], 0x20
	s_mov_b32 s1, 0
	s_mov_b32 s6, 0x55555555
	s_mov_b32 s16, 0xbf559e2b
	s_mov_b32 s18, 0x652b82fe
	s_waitcnt lgkmcnt(0)
	s_lshl_b32 s0, s0, 8
	s_mov_b32 s20, 0xffda0d24
	v_lshlrev_b64 v[6:7], 3, v[4:5]
	s_mov_b64 s[2:3], 0
	v_mov_b32_e32 v22, s11
	s_lshl_b64 s[4:5], s[0:1], 3
	s_mov_b32 s7, 0x3fe55555
	s_mov_b32 s17, 0x3fc3ab76
	;; [unrolled: 1-line block ×4, first 2 shown]
	v_mov_b32_e32 v23, 0x3ff00000
	v_mov_b32_e32 v8, 0x6b47b09a
	;; [unrolled: 1-line block ×14, first 2 shown]
	v_pk_mov_b32 v[20:21], v[4:5], v[4:5] op_sel:[0,1]
	s_branch .LBB5_3
.LBB5_2:                                ;   in Loop: Header=BB5_3 Depth=1
	s_or_b64 exec, exec, s[22:23]
	v_lshlrev_b64 v[0:1], 3, v[4:5]
	v_mov_b32_e32 v2, s15
	v_add_co_u32_e32 v0, vcc, s14, v0
	v_addc_co_u32_e32 v1, vcc, v2, v1, vcc
	v_mov_b32_e32 v2, 1
	v_mov_b32_e32 v3, 0
	global_atomic_add_x2 v[0:1], v[0:1], v[2:3], off glc
	v_mov_b32_e32 v3, s13
	v_add_co_u32_e32 v2, vcc, s12, v6
	v_addc_co_u32_e32 v3, vcc, v3, v7, vcc
	v_mov_b32_e32 v4, s1
	v_add_co_u32_e32 v20, vcc, s0, v20
	v_addc_co_u32_e32 v21, vcc, v21, v4, vcc
	v_cmp_le_i64_e32 vcc, s[8:9], v[20:21]
	v_mov_b32_e32 v25, s5
	s_or_b64 s[2:3], vcc, s[2:3]
	v_add_co_u32_e32 v6, vcc, s4, v6
	v_addc_co_u32_e32 v7, vcc, v7, v25, vcc
	s_waitcnt vmcnt(0)
	global_store_dwordx2 v[2:3], v[0:1], off
	s_andn2_b64 exec, exec, s[2:3]
	s_cbranch_execz .LBB5_5
.LBB5_3:                                ; =>This Inner Loop Header: Depth=1
	v_add_co_u32_e32 v0, vcc, s10, v6
	v_addc_co_u32_e32 v1, vcc, v22, v7, vcc
	global_load_dwordx4 v[0:3], v[0:1], off
	v_mov_b32_e32 v4, 0
	s_waitcnt vmcnt(0)
	v_cmp_ne_u64_e32 vcc, v[2:3], v[0:1]
	s_and_saveexec_b64 s[22:23], vcc
	s_cbranch_execz .LBB5_2
; %bb.4:                                ;   in Loop: Header=BB5_3 Depth=1
	v_sub_co_u32_e32 v0, vcc, v2, v0
	v_subb_co_u32_e32 v1, vcc, v3, v1, vcc
	v_cvt_f64_i32_e32 v[2:3], v1
	v_ldexp_f64 v[2:3], v[2:3], 32
	v_cvt_f64_u32_e32 v[26:27], v0
	v_add_f64 v[2:3], v[2:3], v[26:27]
	v_frexp_exp_i32_f64_e32 v4, v[2:3]
	v_frexp_mant_f64_e32 v[2:3], v[2:3]
	v_cmp_gt_f64_e32 vcc, s[6:7], v[2:3]
	v_cndmask_b32_e64 v27, v23, 2.0, vcc
	v_mov_b32_e32 v26, v5
	v_mul_f64 v[2:3], v[2:3], v[26:27]
	v_add_f64 v[26:27], v[2:3], 1.0
	v_rcp_f64_e32 v[28:29], v[26:27]
	v_add_f64 v[32:33], v[26:27], -1.0
	v_add_f64 v[30:31], v[2:3], -1.0
	v_add_f64 v[2:3], v[2:3], -v[32:33]
	v_fma_f64 v[32:33], -v[26:27], v[28:29], 1.0
	v_fmac_f64_e32 v[28:29], v[32:33], v[28:29]
	v_fma_f64 v[32:33], -v[26:27], v[28:29], 1.0
	v_fmac_f64_e32 v[28:29], v[32:33], v[28:29]
	v_mul_f64 v[32:33], v[30:31], v[28:29]
	v_mul_f64 v[34:35], v[26:27], v[32:33]
	v_fma_f64 v[26:27], v[32:33], v[26:27], -v[34:35]
	v_fmac_f64_e32 v[26:27], v[32:33], v[2:3]
	v_add_f64 v[2:3], v[34:35], v[26:27]
	v_add_f64 v[36:37], v[30:31], -v[2:3]
	v_add_f64 v[34:35], v[2:3], -v[34:35]
	;; [unrolled: 1-line block ×5, first 2 shown]
	v_add_f64 v[2:3], v[26:27], v[2:3]
	v_add_f64 v[2:3], v[36:37], v[2:3]
	v_mul_f64 v[2:3], v[28:29], v[2:3]
	v_add_f64 v[26:27], v[32:33], v[2:3]
	v_add_f64 v[28:29], v[26:27], -v[32:33]
	v_add_f64 v[2:3], v[2:3], -v[28:29]
	v_mul_f64 v[28:29], v[26:27], v[26:27]
	v_pk_mov_b32 v[30:31], v[8:9], v[8:9] op_sel:[0,1]
	v_fmac_f64_e32 v[30:31], s[16:17], v[28:29]
	v_pk_mov_b32 v[32:33], v[10:11], v[10:11] op_sel:[0,1]
	v_fmac_f64_e32 v[32:33], v[28:29], v[30:31]
	;; [unrolled: 2-line block ×6, first 2 shown]
	v_ldexp_f64 v[30:31], v[26:27], 1
	v_mul_f64 v[26:27], v[26:27], v[28:29]
	v_mul_f64 v[26:27], v[26:27], v[32:33]
	v_add_f64 v[28:29], v[30:31], v[26:27]
	v_add_f64 v[30:31], v[28:29], -v[30:31]
	v_ldexp_f64 v[2:3], v[2:3], 1
	v_add_f64 v[26:27], v[26:27], -v[30:31]
	v_add_f64 v[2:3], v[2:3], v[26:27]
	v_add_f64 v[26:27], v[28:29], v[2:3]
	v_add_f64 v[28:29], v[26:27], -v[28:29]
	v_mul_f64 v[30:31], v[26:27], s[18:19]
	v_add_f64 v[2:3], v[2:3], -v[28:29]
	v_fma_f64 v[32:33], v[26:27], s[18:19], -v[30:31]
	v_fmac_f64_e32 v[32:33], s[18:19], v[2:3]
	v_subbrev_co_u32_e32 v4, vcc, 0, v4, vcc
	v_fmac_f64_e32 v[32:33], s[20:21], v[26:27]
	v_cvt_f64_i32_e32 v[28:29], v4
	v_add_f64 v[2:3], v[30:31], v[32:33]
	v_add_f64 v[26:27], v[2:3], -v[30:31]
	v_add_f64 v[30:31], v[2:3], v[28:29]
	v_add_f64 v[26:27], v[32:33], -v[26:27]
	v_add_f64 v[32:33], v[30:31], -v[28:29]
	;; [unrolled: 1-line block ×3, first 2 shown]
	v_add_f64 v[28:29], v[34:35], v[28:29]
	v_add_f64 v[2:3], v[2:3], -v[32:33]
	v_add_f64 v[2:3], v[2:3], v[28:29]
	v_add_f64 v[2:3], v[26:27], v[2:3]
	;; [unrolled: 1-line block ×3, first 2 shown]
	v_cmp_lt_i64_e32 vcc, -1, v[0:1]
	v_cndmask_b32_e32 v1, v24, v3, vcc
	v_cndmask_b32_e32 v0, 0, v2, vcc
	v_ceil_f64_e32 v[0:1], v[0:1]
	v_cvt_u32_f64_e32 v4, v[0:1]
	s_branch .LBB5_2
.LBB5_5:
	s_endpgm
	.section	.rodata,"a",@progbits
	.p2align	6, 0x0
	.amdhsa_kernel _ZN9rocsparseL46csrmvn_preprocess_device_32_bins_3phase_phase1ILj256EllEEvT1_PKT0_PS1_S5_
		.amdhsa_group_segment_fixed_size 0
		.amdhsa_private_segment_fixed_size 0
		.amdhsa_kernarg_size 288
		.amdhsa_user_sgpr_count 6
		.amdhsa_user_sgpr_private_segment_buffer 1
		.amdhsa_user_sgpr_dispatch_ptr 0
		.amdhsa_user_sgpr_queue_ptr 0
		.amdhsa_user_sgpr_kernarg_segment_ptr 1
		.amdhsa_user_sgpr_dispatch_id 0
		.amdhsa_user_sgpr_flat_scratch_init 0
		.amdhsa_user_sgpr_kernarg_preload_length 0
		.amdhsa_user_sgpr_kernarg_preload_offset 0
		.amdhsa_user_sgpr_private_segment_size 0
		.amdhsa_uses_dynamic_stack 0
		.amdhsa_system_sgpr_private_segment_wavefront_offset 0
		.amdhsa_system_sgpr_workgroup_id_x 1
		.amdhsa_system_sgpr_workgroup_id_y 0
		.amdhsa_system_sgpr_workgroup_id_z 0
		.amdhsa_system_sgpr_workgroup_info 0
		.amdhsa_system_vgpr_workitem_id 0
		.amdhsa_next_free_vgpr 38
		.amdhsa_next_free_sgpr 24
		.amdhsa_accum_offset 40
		.amdhsa_reserve_vcc 1
		.amdhsa_reserve_flat_scratch 0
		.amdhsa_float_round_mode_32 0
		.amdhsa_float_round_mode_16_64 0
		.amdhsa_float_denorm_mode_32 3
		.amdhsa_float_denorm_mode_16_64 3
		.amdhsa_dx10_clamp 1
		.amdhsa_ieee_mode 1
		.amdhsa_fp16_overflow 0
		.amdhsa_tg_split 0
		.amdhsa_exception_fp_ieee_invalid_op 0
		.amdhsa_exception_fp_denorm_src 0
		.amdhsa_exception_fp_ieee_div_zero 0
		.amdhsa_exception_fp_ieee_overflow 0
		.amdhsa_exception_fp_ieee_underflow 0
		.amdhsa_exception_fp_ieee_inexact 0
		.amdhsa_exception_int_div_zero 0
	.end_amdhsa_kernel
	.section	.text._ZN9rocsparseL46csrmvn_preprocess_device_32_bins_3phase_phase1ILj256EllEEvT1_PKT0_PS1_S5_,"axG",@progbits,_ZN9rocsparseL46csrmvn_preprocess_device_32_bins_3phase_phase1ILj256EllEEvT1_PKT0_PS1_S5_,comdat
.Lfunc_end5:
	.size	_ZN9rocsparseL46csrmvn_preprocess_device_32_bins_3phase_phase1ILj256EllEEvT1_PKT0_PS1_S5_, .Lfunc_end5-_ZN9rocsparseL46csrmvn_preprocess_device_32_bins_3phase_phase1ILj256EllEEvT1_PKT0_PS1_S5_
                                        ; -- End function
	.section	.AMDGPU.csdata,"",@progbits
; Kernel info:
; codeLenInByte = 968
; NumSgprs: 28
; NumVgprs: 38
; NumAgprs: 0
; TotalNumVgprs: 38
; ScratchSize: 0
; MemoryBound: 0
; FloatMode: 240
; IeeeMode: 1
; LDSByteSize: 0 bytes/workgroup (compile time only)
; SGPRBlocks: 3
; VGPRBlocks: 4
; NumSGPRsForWavesPerEU: 28
; NumVGPRsForWavesPerEU: 38
; AccumOffset: 40
; Occupancy: 8
; WaveLimiterHint : 0
; COMPUTE_PGM_RSRC2:SCRATCH_EN: 0
; COMPUTE_PGM_RSRC2:USER_SGPR: 6
; COMPUTE_PGM_RSRC2:TRAP_HANDLER: 0
; COMPUTE_PGM_RSRC2:TGID_X_EN: 1
; COMPUTE_PGM_RSRC2:TGID_Y_EN: 0
; COMPUTE_PGM_RSRC2:TGID_Z_EN: 0
; COMPUTE_PGM_RSRC2:TIDIG_COMP_CNT: 0
; COMPUTE_PGM_RSRC3_GFX90A:ACCUM_OFFSET: 9
; COMPUTE_PGM_RSRC3_GFX90A:TG_SPLIT: 0
	.section	.text._ZN9rocsparseL46csrmvn_preprocess_device_32_bins_3phase_phase2IlEEvPT_,"axG",@progbits,_ZN9rocsparseL46csrmvn_preprocess_device_32_bins_3phase_phase2IlEEvPT_,comdat
	.globl	_ZN9rocsparseL46csrmvn_preprocess_device_32_bins_3phase_phase2IlEEvPT_ ; -- Begin function _ZN9rocsparseL46csrmvn_preprocess_device_32_bins_3phase_phase2IlEEvPT_
	.p2align	8
	.type	_ZN9rocsparseL46csrmvn_preprocess_device_32_bins_3phase_phase2IlEEvPT_,@function
_ZN9rocsparseL46csrmvn_preprocess_device_32_bins_3phase_phase2IlEEvPT_: ; @_ZN9rocsparseL46csrmvn_preprocess_device_32_bins_3phase_phase2IlEEvPT_
; %bb.0:
	s_load_dwordx2 s[34:35], s[4:5], 0x0
	v_mov_b32_e32 v0, 0
	v_mov_b32_e32 v1, v0
	s_waitcnt lgkmcnt(0)
	s_load_dwordx16 s[4:19], s[34:35], 0x0
	s_waitcnt lgkmcnt(0)
	s_add_u32 s0, s6, s4
	v_mov_b32_e32 v2, s4
	v_mov_b32_e32 v3, s5
	s_addc_u32 s1, s7, s5
	global_store_dwordx4 v0, v[0:3], s[34:35]
	s_nop 0
	v_mov_b32_e32 v2, s0
	s_add_u32 s0, s8, s0
	v_mov_b32_e32 v3, s1
	s_addc_u32 s1, s9, s1
	v_mov_b32_e32 v4, s0
	s_add_u32 s0, s10, s0
	v_mov_b32_e32 v5, s1
	s_addc_u32 s1, s11, s1
	s_add_u32 s2, s12, s0
	s_addc_u32 s3, s13, s1
	global_store_dwordx4 v0, v[2:5], s[34:35] offset:16
	s_nop 0
	v_mov_b32_e32 v2, s0
	s_add_u32 s0, s14, s2
	v_mov_b32_e32 v3, s1
	s_addc_u32 s1, s15, s3
	v_mov_b32_e32 v4, s2
	v_mov_b32_e32 v5, s3
	s_add_u32 s16, s16, s0
	global_store_dwordx4 v0, v[2:5], s[34:35] offset:32
	s_addc_u32 s17, s17, s1
	v_mov_b32_e32 v2, s0
	v_mov_b32_e32 v3, s1
	s_load_dwordx16 s[0:15], s[34:35], 0x40
	v_mov_b32_e32 v4, s16
	s_add_u32 s16, s18, s16
	v_mov_b32_e32 v5, s17
	s_addc_u32 s17, s19, s17
	s_waitcnt lgkmcnt(0)
	s_add_u32 s0, s0, s16
	s_addc_u32 s1, s1, s17
	global_store_dwordx4 v0, v[2:5], s[34:35] offset:48
	s_nop 0
	v_mov_b32_e32 v4, s0
	s_add_u32 s0, s2, s0
	v_mov_b32_e32 v5, s1
	s_addc_u32 s1, s3, s1
	s_add_u32 s2, s4, s0
	v_mov_b32_e32 v2, s16
	v_mov_b32_e32 v3, s17
	s_addc_u32 s3, s5, s1
	global_store_dwordx4 v0, v[2:5], s[34:35] offset:64
	s_load_dwordx16 s[16:31], s[34:35], 0x80
	v_mov_b32_e32 v2, s0
	s_add_u32 s0, s6, s2
	v_mov_b32_e32 v3, s1
	s_addc_u32 s1, s7, s3
	v_mov_b32_e32 v4, s2
	s_add_u32 s2, s8, s0
	v_mov_b32_e32 v5, s3
	s_addc_u32 s3, s9, s1
	global_store_dwordx4 v0, v[2:5], s[34:35] offset:80
	s_nop 0
	v_mov_b32_e32 v2, s0
	s_add_u32 s0, s10, s2
	v_mov_b32_e32 v3, s1
	s_addc_u32 s1, s11, s3
	v_mov_b32_e32 v4, s2
	s_add_u32 s2, s12, s0
	v_mov_b32_e32 v5, s3
	s_addc_u32 s3, s13, s1
	global_store_dwordx4 v0, v[2:5], s[34:35] offset:96
	s_nop 0
	v_mov_b32_e32 v2, s0
	s_add_u32 s0, s14, s2
	v_mov_b32_e32 v3, s1
	s_addc_u32 s1, s15, s3
	v_mov_b32_e32 v4, s2
	s_waitcnt lgkmcnt(0)
	s_add_u32 s2, s16, s0
	v_mov_b32_e32 v5, s3
	s_addc_u32 s3, s17, s1
	global_store_dwordx4 v0, v[2:5], s[34:35] offset:112
	s_nop 0
	v_mov_b32_e32 v2, s0
	s_add_u32 s0, s18, s2
	v_mov_b32_e32 v3, s1
	s_addc_u32 s1, s19, s3
	v_mov_b32_e32 v4, s2
	s_add_u32 s2, s20, s0
	v_mov_b32_e32 v5, s3
	s_addc_u32 s3, s21, s1
	global_store_dwordx4 v0, v[2:5], s[34:35] offset:128
	s_nop 0
	v_mov_b32_e32 v2, s0
	s_add_u32 s0, s22, s2
	v_mov_b32_e32 v3, s1
	s_addc_u32 s1, s23, s3
	v_mov_b32_e32 v4, s2
	;; [unrolled: 10-line block ×3, first 2 shown]
	v_mov_b32_e32 v5, s3
	s_add_u32 s8, s28, s0
	global_store_dwordx4 v0, v[2:5], s[34:35] offset:160
	s_addc_u32 s9, s29, s1
	v_mov_b32_e32 v2, s0
	v_mov_b32_e32 v3, s1
	s_load_dwordx8 s[0:7], s[34:35], 0xc0
	s_add_u32 s14, s30, s8
	s_addc_u32 s15, s31, s9
	v_mov_b32_e32 v4, s8
	v_mov_b32_e32 v5, s9
	s_waitcnt lgkmcnt(0)
	s_add_u32 s0, s0, s14
	s_addc_u32 s1, s1, s15
	global_store_dwordx4 v0, v[2:5], s[34:35] offset:176
	s_load_dwordx2 s[12:13], s[34:35], 0xf0
	s_load_dwordx4 s[8:11], s[34:35], 0xe0
	v_mov_b32_e32 v4, s0
	s_add_u32 s0, s2, s0
	v_mov_b32_e32 v5, s1
	s_addc_u32 s1, s3, s1
	s_add_u32 s2, s4, s0
	v_mov_b32_e32 v2, s14
	v_mov_b32_e32 v3, s15
	s_addc_u32 s3, s5, s1
	s_waitcnt lgkmcnt(0)
	global_store_dwordx4 v0, v[2:5], s[34:35] offset:192
	s_nop 0
	v_mov_b32_e32 v2, s0
	s_add_u32 s0, s6, s2
	v_mov_b32_e32 v3, s1
	s_addc_u32 s1, s7, s3
	v_mov_b32_e32 v4, s2
	s_add_u32 s2, s8, s0
	v_mov_b32_e32 v5, s3
	s_addc_u32 s3, s9, s1
	global_store_dwordx4 v0, v[2:5], s[34:35] offset:208
	s_nop 0
	v_mov_b32_e32 v2, s0
	s_add_u32 s0, s10, s2
	v_mov_b32_e32 v3, s1
	s_addc_u32 s1, s11, s3
	v_mov_b32_e32 v4, s2
	s_add_u32 s2, s12, s0
	v_mov_b32_e32 v5, s3
	s_addc_u32 s3, s13, s1
	global_store_dwordx4 v0, v[2:5], s[34:35] offset:224
	s_nop 0
	v_mov_b32_e32 v2, s0
	v_mov_b32_e32 v3, s1
	;; [unrolled: 1-line block ×4, first 2 shown]
	global_store_dwordx4 v0, v[2:5], s[34:35] offset:240
	s_endpgm
	.section	.rodata,"a",@progbits
	.p2align	6, 0x0
	.amdhsa_kernel _ZN9rocsparseL46csrmvn_preprocess_device_32_bins_3phase_phase2IlEEvPT_
		.amdhsa_group_segment_fixed_size 0
		.amdhsa_private_segment_fixed_size 0
		.amdhsa_kernarg_size 8
		.amdhsa_user_sgpr_count 6
		.amdhsa_user_sgpr_private_segment_buffer 1
		.amdhsa_user_sgpr_dispatch_ptr 0
		.amdhsa_user_sgpr_queue_ptr 0
		.amdhsa_user_sgpr_kernarg_segment_ptr 1
		.amdhsa_user_sgpr_dispatch_id 0
		.amdhsa_user_sgpr_flat_scratch_init 0
		.amdhsa_user_sgpr_kernarg_preload_length 0
		.amdhsa_user_sgpr_kernarg_preload_offset 0
		.amdhsa_user_sgpr_private_segment_size 0
		.amdhsa_uses_dynamic_stack 0
		.amdhsa_system_sgpr_private_segment_wavefront_offset 0
		.amdhsa_system_sgpr_workgroup_id_x 1
		.amdhsa_system_sgpr_workgroup_id_y 0
		.amdhsa_system_sgpr_workgroup_id_z 0
		.amdhsa_system_sgpr_workgroup_info 0
		.amdhsa_system_vgpr_workitem_id 0
		.amdhsa_next_free_vgpr 6
		.amdhsa_next_free_sgpr 36
		.amdhsa_accum_offset 8
		.amdhsa_reserve_vcc 0
		.amdhsa_reserve_flat_scratch 0
		.amdhsa_float_round_mode_32 0
		.amdhsa_float_round_mode_16_64 0
		.amdhsa_float_denorm_mode_32 3
		.amdhsa_float_denorm_mode_16_64 3
		.amdhsa_dx10_clamp 1
		.amdhsa_ieee_mode 1
		.amdhsa_fp16_overflow 0
		.amdhsa_tg_split 0
		.amdhsa_exception_fp_ieee_invalid_op 0
		.amdhsa_exception_fp_denorm_src 0
		.amdhsa_exception_fp_ieee_div_zero 0
		.amdhsa_exception_fp_ieee_overflow 0
		.amdhsa_exception_fp_ieee_underflow 0
		.amdhsa_exception_fp_ieee_inexact 0
		.amdhsa_exception_int_div_zero 0
	.end_amdhsa_kernel
	.section	.text._ZN9rocsparseL46csrmvn_preprocess_device_32_bins_3phase_phase2IlEEvPT_,"axG",@progbits,_ZN9rocsparseL46csrmvn_preprocess_device_32_bins_3phase_phase2IlEEvPT_,comdat
.Lfunc_end6:
	.size	_ZN9rocsparseL46csrmvn_preprocess_device_32_bins_3phase_phase2IlEEvPT_, .Lfunc_end6-_ZN9rocsparseL46csrmvn_preprocess_device_32_bins_3phase_phase2IlEEvPT_
                                        ; -- End function
	.section	.AMDGPU.csdata,"",@progbits
; Kernel info:
; codeLenInByte = 752
; NumSgprs: 40
; NumVgprs: 6
; NumAgprs: 0
; TotalNumVgprs: 6
; ScratchSize: 0
; MemoryBound: 1
; FloatMode: 240
; IeeeMode: 1
; LDSByteSize: 0 bytes/workgroup (compile time only)
; SGPRBlocks: 4
; VGPRBlocks: 0
; NumSGPRsForWavesPerEU: 40
; NumVGPRsForWavesPerEU: 6
; AccumOffset: 8
; Occupancy: 8
; WaveLimiterHint : 1
; COMPUTE_PGM_RSRC2:SCRATCH_EN: 0
; COMPUTE_PGM_RSRC2:USER_SGPR: 6
; COMPUTE_PGM_RSRC2:TRAP_HANDLER: 0
; COMPUTE_PGM_RSRC2:TGID_X_EN: 1
; COMPUTE_PGM_RSRC2:TGID_Y_EN: 0
; COMPUTE_PGM_RSRC2:TGID_Z_EN: 0
; COMPUTE_PGM_RSRC2:TIDIG_COMP_CNT: 0
; COMPUTE_PGM_RSRC3_GFX90A:ACCUM_OFFSET: 1
; COMPUTE_PGM_RSRC3_GFX90A:TG_SPLIT: 0
	.section	.text._ZN9rocsparseL46csrmvn_preprocess_device_32_bins_3phase_phase3ILj256EllEEvT1_PKT0_PKS1_S6_PS1_,"axG",@progbits,_ZN9rocsparseL46csrmvn_preprocess_device_32_bins_3phase_phase3ILj256EllEEvT1_PKT0_PKS1_S6_PS1_,comdat
	.globl	_ZN9rocsparseL46csrmvn_preprocess_device_32_bins_3phase_phase3ILj256EllEEvT1_PKT0_PKS1_S6_PS1_ ; -- Begin function _ZN9rocsparseL46csrmvn_preprocess_device_32_bins_3phase_phase3ILj256EllEEvT1_PKT0_PKS1_S6_PS1_
	.p2align	8
	.type	_ZN9rocsparseL46csrmvn_preprocess_device_32_bins_3phase_phase3ILj256EllEEvT1_PKT0_PKS1_S6_PS1_,@function
_ZN9rocsparseL46csrmvn_preprocess_device_32_bins_3phase_phase3ILj256EllEEvT1_PKT0_PKS1_S6_PS1_: ; @_ZN9rocsparseL46csrmvn_preprocess_device_32_bins_3phase_phase3ILj256EllEEvT1_PKT0_PKS1_S6_PS1_
; %bb.0:
	s_load_dwordx8 s[8:15], s[4:5], 0x0
	v_lshl_or_b32 v4, s6, 8, v0
	v_mov_b32_e32 v5, 0
	s_waitcnt lgkmcnt(0)
	v_cmp_gt_i64_e32 vcc, s[8:9], v[4:5]
	s_and_saveexec_b64 s[0:1], vcc
	s_cbranch_execz .LBB7_5
; %bb.1:
	s_load_dword s2, s[4:5], 0x28
	s_load_dwordx2 s[0:1], s[4:5], 0x20
	s_mov_b32 s3, 0
	s_mov_b32 s16, 0x55555555
	;; [unrolled: 1-line block ×3, first 2 shown]
	s_waitcnt lgkmcnt(0)
	s_lshl_b32 s2, s2, 8
	s_mov_b32 s20, 0x652b82fe
	s_mov_b32 s22, 0xffda0d24
	v_lshlrev_b64 v[6:7], 3, v[4:5]
	s_mov_b64 s[4:5], 0
	s_lshl_b64 s[6:7], s[2:3], 3
	v_mov_b32_e32 v22, s11
	s_mov_b32 s17, 0x3fe55555
	s_mov_b32 s19, 0x3fc3ab76
	;; [unrolled: 1-line block ×4, first 2 shown]
	v_mov_b32_e32 v23, 0x3ff00000
	v_mov_b32_e32 v8, 0x6b47b09a
	;; [unrolled: 1-line block ×14, first 2 shown]
	v_pk_mov_b32 v[20:21], v[4:5], v[4:5] op_sel:[0,1]
	s_branch .LBB7_3
.LBB7_2:                                ;   in Loop: Header=BB7_3 Depth=1
	s_or_b64 exec, exec, s[24:25]
	v_lshlrev_b64 v[0:1], 3, v[4:5]
	v_mov_b32_e32 v2, s15
	v_add_co_u32_e32 v0, vcc, s14, v0
	v_addc_co_u32_e32 v1, vcc, v2, v1, vcc
	global_load_dwordx2 v[0:1], v[0:1], off
	v_mov_b32_e32 v3, s13
	v_add_co_u32_e32 v2, vcc, s12, v6
	v_addc_co_u32_e32 v3, vcc, v3, v7, vcc
	global_load_dwordx2 v[2:3], v[2:3], off
	v_mov_b32_e32 v4, s1
	v_mov_b32_e32 v25, s3
	v_mov_b32_e32 v26, s7
	s_waitcnt vmcnt(1)
	v_lshlrev_b64 v[0:1], 3, v[0:1]
	v_add_co_u32_e32 v0, vcc, s0, v0
	v_addc_co_u32_e32 v1, vcc, v4, v1, vcc
	s_waitcnt vmcnt(0)
	v_lshlrev_b64 v[2:3], 3, v[2:3]
	v_add_co_u32_e32 v0, vcc, v0, v2
	v_addc_co_u32_e32 v1, vcc, v1, v3, vcc
	global_store_dwordx2 v[0:1], v[20:21], off
	v_add_co_u32_e32 v20, vcc, s2, v20
	v_addc_co_u32_e32 v21, vcc, v21, v25, vcc
	v_cmp_le_i64_e32 vcc, s[8:9], v[20:21]
	s_or_b64 s[4:5], vcc, s[4:5]
	v_add_co_u32_e32 v6, vcc, s6, v6
	v_addc_co_u32_e32 v7, vcc, v7, v26, vcc
	s_andn2_b64 exec, exec, s[4:5]
	s_cbranch_execz .LBB7_5
.LBB7_3:                                ; =>This Inner Loop Header: Depth=1
	v_add_co_u32_e32 v0, vcc, s10, v6
	v_addc_co_u32_e32 v1, vcc, v22, v7, vcc
	global_load_dwordx4 v[0:3], v[0:1], off
	v_mov_b32_e32 v4, 0
	s_waitcnt vmcnt(0)
	v_cmp_ne_u64_e32 vcc, v[2:3], v[0:1]
	s_and_saveexec_b64 s[24:25], vcc
	s_cbranch_execz .LBB7_2
; %bb.4:                                ;   in Loop: Header=BB7_3 Depth=1
	v_sub_co_u32_e32 v0, vcc, v2, v0
	v_subb_co_u32_e32 v1, vcc, v3, v1, vcc
	v_cvt_f64_i32_e32 v[2:3], v1
	v_ldexp_f64 v[2:3], v[2:3], 32
	v_cvt_f64_u32_e32 v[26:27], v0
	v_add_f64 v[2:3], v[2:3], v[26:27]
	v_frexp_exp_i32_f64_e32 v4, v[2:3]
	v_frexp_mant_f64_e32 v[2:3], v[2:3]
	v_cmp_gt_f64_e32 vcc, s[16:17], v[2:3]
	v_cndmask_b32_e64 v27, v23, 2.0, vcc
	v_mov_b32_e32 v26, v5
	v_mul_f64 v[2:3], v[2:3], v[26:27]
	v_add_f64 v[26:27], v[2:3], 1.0
	v_rcp_f64_e32 v[28:29], v[26:27]
	v_add_f64 v[32:33], v[26:27], -1.0
	v_add_f64 v[30:31], v[2:3], -1.0
	v_add_f64 v[2:3], v[2:3], -v[32:33]
	v_fma_f64 v[32:33], -v[26:27], v[28:29], 1.0
	v_fmac_f64_e32 v[28:29], v[32:33], v[28:29]
	v_fma_f64 v[32:33], -v[26:27], v[28:29], 1.0
	v_fmac_f64_e32 v[28:29], v[32:33], v[28:29]
	v_mul_f64 v[32:33], v[30:31], v[28:29]
	v_mul_f64 v[34:35], v[26:27], v[32:33]
	v_fma_f64 v[26:27], v[32:33], v[26:27], -v[34:35]
	v_fmac_f64_e32 v[26:27], v[32:33], v[2:3]
	v_add_f64 v[2:3], v[34:35], v[26:27]
	v_add_f64 v[36:37], v[30:31], -v[2:3]
	v_add_f64 v[34:35], v[2:3], -v[34:35]
	;; [unrolled: 1-line block ×5, first 2 shown]
	v_add_f64 v[2:3], v[26:27], v[2:3]
	v_add_f64 v[2:3], v[36:37], v[2:3]
	v_mul_f64 v[2:3], v[28:29], v[2:3]
	v_add_f64 v[26:27], v[32:33], v[2:3]
	v_add_f64 v[28:29], v[26:27], -v[32:33]
	v_add_f64 v[2:3], v[2:3], -v[28:29]
	v_mul_f64 v[28:29], v[26:27], v[26:27]
	v_pk_mov_b32 v[30:31], v[8:9], v[8:9] op_sel:[0,1]
	v_fmac_f64_e32 v[30:31], s[18:19], v[28:29]
	v_pk_mov_b32 v[32:33], v[10:11], v[10:11] op_sel:[0,1]
	v_fmac_f64_e32 v[32:33], v[28:29], v[30:31]
	;; [unrolled: 2-line block ×6, first 2 shown]
	v_ldexp_f64 v[30:31], v[26:27], 1
	v_mul_f64 v[26:27], v[26:27], v[28:29]
	v_mul_f64 v[26:27], v[26:27], v[32:33]
	v_add_f64 v[28:29], v[30:31], v[26:27]
	v_add_f64 v[30:31], v[28:29], -v[30:31]
	v_ldexp_f64 v[2:3], v[2:3], 1
	v_add_f64 v[26:27], v[26:27], -v[30:31]
	v_add_f64 v[2:3], v[2:3], v[26:27]
	v_add_f64 v[26:27], v[28:29], v[2:3]
	v_add_f64 v[28:29], v[26:27], -v[28:29]
	v_mul_f64 v[30:31], v[26:27], s[20:21]
	v_add_f64 v[2:3], v[2:3], -v[28:29]
	v_fma_f64 v[32:33], v[26:27], s[20:21], -v[30:31]
	v_fmac_f64_e32 v[32:33], s[20:21], v[2:3]
	v_subbrev_co_u32_e32 v4, vcc, 0, v4, vcc
	v_fmac_f64_e32 v[32:33], s[22:23], v[26:27]
	v_cvt_f64_i32_e32 v[28:29], v4
	v_add_f64 v[2:3], v[30:31], v[32:33]
	v_add_f64 v[26:27], v[2:3], -v[30:31]
	v_add_f64 v[30:31], v[2:3], v[28:29]
	v_add_f64 v[26:27], v[32:33], -v[26:27]
	v_add_f64 v[32:33], v[30:31], -v[28:29]
	;; [unrolled: 1-line block ×3, first 2 shown]
	v_add_f64 v[28:29], v[34:35], v[28:29]
	v_add_f64 v[2:3], v[2:3], -v[32:33]
	v_add_f64 v[2:3], v[2:3], v[28:29]
	v_add_f64 v[2:3], v[26:27], v[2:3]
	;; [unrolled: 1-line block ×3, first 2 shown]
	v_cmp_lt_i64_e32 vcc, -1, v[0:1]
	v_cndmask_b32_e32 v1, v24, v3, vcc
	v_cndmask_b32_e32 v0, 0, v2, vcc
	v_ceil_f64_e32 v[0:1], v[0:1]
	v_cvt_u32_f64_e32 v4, v[0:1]
	s_branch .LBB7_2
.LBB7_5:
	s_endpgm
	.section	.rodata,"a",@progbits
	.p2align	6, 0x0
	.amdhsa_kernel _ZN9rocsparseL46csrmvn_preprocess_device_32_bins_3phase_phase3ILj256EllEEvT1_PKT0_PKS1_S6_PS1_
		.amdhsa_group_segment_fixed_size 0
		.amdhsa_private_segment_fixed_size 0
		.amdhsa_kernarg_size 296
		.amdhsa_user_sgpr_count 6
		.amdhsa_user_sgpr_private_segment_buffer 1
		.amdhsa_user_sgpr_dispatch_ptr 0
		.amdhsa_user_sgpr_queue_ptr 0
		.amdhsa_user_sgpr_kernarg_segment_ptr 1
		.amdhsa_user_sgpr_dispatch_id 0
		.amdhsa_user_sgpr_flat_scratch_init 0
		.amdhsa_user_sgpr_kernarg_preload_length 0
		.amdhsa_user_sgpr_kernarg_preload_offset 0
		.amdhsa_user_sgpr_private_segment_size 0
		.amdhsa_uses_dynamic_stack 0
		.amdhsa_system_sgpr_private_segment_wavefront_offset 0
		.amdhsa_system_sgpr_workgroup_id_x 1
		.amdhsa_system_sgpr_workgroup_id_y 0
		.amdhsa_system_sgpr_workgroup_id_z 0
		.amdhsa_system_sgpr_workgroup_info 0
		.amdhsa_system_vgpr_workitem_id 0
		.amdhsa_next_free_vgpr 38
		.amdhsa_next_free_sgpr 26
		.amdhsa_accum_offset 40
		.amdhsa_reserve_vcc 1
		.amdhsa_reserve_flat_scratch 0
		.amdhsa_float_round_mode_32 0
		.amdhsa_float_round_mode_16_64 0
		.amdhsa_float_denorm_mode_32 3
		.amdhsa_float_denorm_mode_16_64 3
		.amdhsa_dx10_clamp 1
		.amdhsa_ieee_mode 1
		.amdhsa_fp16_overflow 0
		.amdhsa_tg_split 0
		.amdhsa_exception_fp_ieee_invalid_op 0
		.amdhsa_exception_fp_denorm_src 0
		.amdhsa_exception_fp_ieee_div_zero 0
		.amdhsa_exception_fp_ieee_overflow 0
		.amdhsa_exception_fp_ieee_underflow 0
		.amdhsa_exception_fp_ieee_inexact 0
		.amdhsa_exception_int_div_zero 0
	.end_amdhsa_kernel
	.section	.text._ZN9rocsparseL46csrmvn_preprocess_device_32_bins_3phase_phase3ILj256EllEEvT1_PKT0_PKS1_S6_PS1_,"axG",@progbits,_ZN9rocsparseL46csrmvn_preprocess_device_32_bins_3phase_phase3ILj256EllEEvT1_PKT0_PKS1_S6_PS1_,comdat
.Lfunc_end7:
	.size	_ZN9rocsparseL46csrmvn_preprocess_device_32_bins_3phase_phase3ILj256EllEEvT1_PKT0_PKS1_S6_PS1_, .Lfunc_end7-_ZN9rocsparseL46csrmvn_preprocess_device_32_bins_3phase_phase3ILj256EllEEvT1_PKT0_PKS1_S6_PS1_
                                        ; -- End function
	.section	.AMDGPU.csdata,"",@progbits
; Kernel info:
; codeLenInByte = 1016
; NumSgprs: 30
; NumVgprs: 38
; NumAgprs: 0
; TotalNumVgprs: 38
; ScratchSize: 0
; MemoryBound: 0
; FloatMode: 240
; IeeeMode: 1
; LDSByteSize: 0 bytes/workgroup (compile time only)
; SGPRBlocks: 3
; VGPRBlocks: 4
; NumSGPRsForWavesPerEU: 30
; NumVGPRsForWavesPerEU: 38
; AccumOffset: 40
; Occupancy: 8
; WaveLimiterHint : 1
; COMPUTE_PGM_RSRC2:SCRATCH_EN: 0
; COMPUTE_PGM_RSRC2:USER_SGPR: 6
; COMPUTE_PGM_RSRC2:TRAP_HANDLER: 0
; COMPUTE_PGM_RSRC2:TGID_X_EN: 1
; COMPUTE_PGM_RSRC2:TGID_Y_EN: 0
; COMPUTE_PGM_RSRC2:TGID_Z_EN: 0
; COMPUTE_PGM_RSRC2:TIDIG_COMP_CNT: 0
; COMPUTE_PGM_RSRC3_GFX90A:ACCUM_OFFSET: 9
; COMPUTE_PGM_RSRC3_GFX90A:TG_SPLIT: 0
	.section	.text._ZN9rocsparseL28csrmvn_lrb_short_rows_kernelIiiffffEEvbT_PT0_S3_jNS_24const_host_device_scalarIT4_EEPKS1_PKS2_PKT1_PKT2_S6_PT3_21rocsparse_index_base_b,"axG",@progbits,_ZN9rocsparseL28csrmvn_lrb_short_rows_kernelIiiffffEEvbT_PT0_S3_jNS_24const_host_device_scalarIT4_EEPKS1_PKS2_PKT1_PKT2_S6_PT3_21rocsparse_index_base_b,comdat
	.globl	_ZN9rocsparseL28csrmvn_lrb_short_rows_kernelIiiffffEEvbT_PT0_S3_jNS_24const_host_device_scalarIT4_EEPKS1_PKS2_PKT1_PKT2_S6_PT3_21rocsparse_index_base_b ; -- Begin function _ZN9rocsparseL28csrmvn_lrb_short_rows_kernelIiiffffEEvbT_PT0_S3_jNS_24const_host_device_scalarIT4_EEPKS1_PKS2_PKT1_PKT2_S6_PT3_21rocsparse_index_base_b
	.p2align	8
	.type	_ZN9rocsparseL28csrmvn_lrb_short_rows_kernelIiiffffEEvbT_PT0_S3_jNS_24const_host_device_scalarIT4_EEPKS1_PKS2_PKT1_PKT2_S6_PT3_21rocsparse_index_base_b,@function
_ZN9rocsparseL28csrmvn_lrb_short_rows_kernelIiiffffEEvbT_PT0_S3_jNS_24const_host_device_scalarIT4_EEPKS1_PKS2_PKT1_PKT2_S6_PT3_21rocsparse_index_base_b: ; @_ZN9rocsparseL28csrmvn_lrb_short_rows_kernelIiiffffEEvbT_PT0_S3_jNS_24const_host_device_scalarIT4_EEPKS1_PKS2_PKT1_PKT2_S6_PT3_21rocsparse_index_base_b
; %bb.0:
	s_load_dwordx2 s[20:21], s[4:5], 0x58
	s_load_dwordx2 s[22:23], s[4:5], 0x20
	;; [unrolled: 1-line block ×3, first 2 shown]
	s_waitcnt lgkmcnt(0)
	s_bitcmp1_b32 s21, 0
	s_cselect_b64 s[2:3], -1, 0
	s_xor_b64 s[0:1], s[2:3], -1
	s_and_b64 vcc, exec, s[2:3]
	s_cbranch_vccnz .LBB8_2
; %bb.1:
	s_load_dword s22, s[22:23], 0x0
.LBB8_2:
	s_andn2_b64 vcc, exec, s[0:1]
	s_cbranch_vccnz .LBB8_4
; %bb.3:
	s_load_dword s16, s[16:17], 0x0
.LBB8_4:
	s_waitcnt lgkmcnt(0)
	v_cmp_neq_f32_e64 s[0:1], s22, 0
	v_cmp_neq_f32_e64 s[2:3], s16, 1.0
	s_or_b64 s[0:1], s[0:1], s[2:3]
	s_andn2_b64 vcc, exec, s[0:1]
	s_mov_b32 s19, 0
	s_cbranch_vccnz .LBB8_18
; %bb.5:
	s_load_dword s18, s[4:5], 0x18
	s_load_dwordx4 s[0:3], s[4:5], 0x8
	s_mov_b32 s9, s19
	s_waitcnt lgkmcnt(0)
	s_lshl_b64 s[10:11], s[18:19], 2
	s_add_u32 s10, s2, s10
	s_addc_u32 s11, s3, s11
	s_add_i32 s8, s18, 1
	s_lshl_b64 s[8:9], s[8:9], 2
	s_add_u32 s2, s2, s8
	s_addc_u32 s3, s3, s9
	s_load_dword s17, s[10:11], 0x0
	s_load_dword s7, s[2:3], 0x0
	s_lshl_b32 s19, s6, 8
	s_add_i32 s3, s19, 0x100
	s_waitcnt lgkmcnt(0)
	s_sub_i32 s2, s7, s17
	s_min_u32 s21, s2, s3
	s_cmp_gt_u32 s18, 23
	s_cbranch_scc1 .LBB8_12
; %bb.6:
	s_load_dwordx8 s[8:15], s[4:5], 0x28
	v_bfe_u32 v1, v0, 0, s18
	s_lshl_b32 s23, 0x100, s18
	v_subrev_u32_e32 v6, s20, v1
	s_mov_b32 s24, 0
	v_lshl_add_u32 v7, v0, 2, 0
	v_mov_b32_e32 v3, 0
	s_branch .LBB8_9
.LBB8_7:                                ;   in Loop: Header=BB8_9 Depth=1
	s_or_b64 exec, exec, s[6:7]
	ds_write_b32 v7, v2
.LBB8_8:                                ;   in Loop: Header=BB8_9 Depth=1
	s_or_b64 exec, exec, s[2:3]
	s_addk_i32 s24, 0x100
	s_cmp_ge_u32 s24, s23
	v_add_u32_e32 v7, 0x400, v7
	s_cbranch_scc1 .LBB8_12
.LBB8_9:                                ; =>This Inner Loop Header: Depth=1
	v_add_u32_e32 v2, s24, v0
	v_lshrrev_b32_e32 v2, s18, v2
	v_add_u32_e32 v2, s19, v2
	v_cmp_gt_u32_e32 vcc, s21, v2
	s_and_saveexec_b64 s[2:3], vcc
	s_cbranch_execz .LBB8_8
; %bb.10:                               ;   in Loop: Header=BB8_9 Depth=1
	v_add_u32_e32 v2, s17, v2
	v_lshlrev_b64 v[4:5], 2, v[2:3]
	v_mov_b32_e32 v2, s1
	v_add_co_u32_e32 v4, vcc, s0, v4
	v_addc_co_u32_e32 v5, vcc, v2, v5, vcc
	global_load_dword v4, v[4:5], off
	s_waitcnt lgkmcnt(0)
	v_mov_b32_e32 v2, s9
	s_waitcnt vmcnt(0)
	v_ashrrev_i32_e32 v5, 31, v4
	v_lshlrev_b64 v[4:5], 2, v[4:5]
	v_add_co_u32_e32 v4, vcc, s8, v4
	v_addc_co_u32_e32 v5, vcc, v2, v5, vcc
	global_load_dwordx2 v[4:5], v[4:5], off
	s_waitcnt vmcnt(0)
	v_sub_u32_e32 v2, v5, v4
	v_cmp_lt_u32_e32 vcc, v1, v2
	v_mov_b32_e32 v2, 0
	s_and_saveexec_b64 s[6:7], vcc
	s_cbranch_execz .LBB8_7
; %bb.11:                               ;   in Loop: Header=BB8_9 Depth=1
	v_add_u32_e32 v2, v6, v4
	v_lshlrev_b64 v[4:5], 2, v[2:3]
	v_mov_b32_e32 v2, s11
	v_add_co_u32_e32 v8, vcc, s10, v4
	v_addc_co_u32_e32 v9, vcc, v2, v5, vcc
	global_load_dword v2, v[8:9], off
	v_mov_b32_e32 v8, s13
	v_add_co_u32_e32 v4, vcc, s12, v4
	v_addc_co_u32_e32 v5, vcc, v8, v5, vcc
	global_load_dword v8, v[4:5], off
	v_mov_b32_e32 v9, s15
	s_waitcnt vmcnt(1)
	v_subrev_u32_e32 v4, s20, v2
	v_ashrrev_i32_e32 v5, 31, v4
	v_lshlrev_b64 v[4:5], 2, v[4:5]
	v_add_co_u32_e32 v4, vcc, s14, v4
	v_addc_co_u32_e32 v5, vcc, v9, v5, vcc
	global_load_dword v2, v[4:5], off
	s_waitcnt vmcnt(1)
	v_mul_f32_e32 v4, s22, v8
	s_waitcnt vmcnt(0)
	v_mul_f32_e32 v2, v4, v2
	s_branch .LBB8_7
.LBB8_12:
	s_sub_i32 s2, s21, s19
	v_cmp_gt_u32_e32 vcc, s2, v0
	s_waitcnt lgkmcnt(0)
	s_barrier
	s_and_saveexec_b64 s[2:3], vcc
	s_cbranch_execz .LBB8_18
; %bb.13:
	s_add_i32 s17, s17, s19
	v_add_u32_e32 v2, s17, v0
	v_mov_b32_e32 v3, 0
	v_lshlrev_b64 v[4:5], 2, v[2:3]
	v_mov_b32_e32 v1, s1
	v_add_co_u32_e32 v4, vcc, s0, v4
	v_addc_co_u32_e32 v5, vcc, v1, v5, vcc
	global_load_dword v4, v[4:5], off
	s_load_dwordx2 s[0:1], s[4:5], 0x50
	v_lshlrev_b32_e32 v0, s18, v0
	v_lshl_add_u32 v0, v0, 2, 0
	s_mov_b32 s2, 1
.LBB8_14:                               ; =>This Inner Loop Header: Depth=1
	ds_read_b32 v1, v0
	s_lshr_b32 s3, s2, s18
	s_add_i32 s2, s2, 1
	v_add_u32_e32 v0, 4, v0
	s_cmp_lg_u32 s3, 0
	s_waitcnt lgkmcnt(0)
	v_add_f32_e32 v3, v3, v1
	s_cbranch_scc0 .LBB8_14
; %bb.15:
	v_cmp_neq_f32_e64 s[2:3], s16, 0
	s_waitcnt vmcnt(0)
	v_ashrrev_i32_e32 v5, 31, v4
	s_and_b64 vcc, exec, s[2:3]
	v_lshlrev_b64 v[0:1], 2, v[4:5]
	s_cbranch_vccz .LBB8_17
; %bb.16:
	v_mov_b32_e32 v2, s1
	v_add_co_u32_e32 v4, vcc, s0, v0
	v_addc_co_u32_e32 v5, vcc, v2, v1, vcc
	global_load_dword v2, v[4:5], off
	s_waitcnt vmcnt(0)
	v_fmac_f32_e32 v3, s16, v2
.LBB8_17:
	v_mov_b32_e32 v2, s1
	v_add_co_u32_e32 v0, vcc, s0, v0
	v_addc_co_u32_e32 v1, vcc, v2, v1, vcc
	global_store_dword v[0:1], v3, off
.LBB8_18:
	s_endpgm
	.section	.rodata,"a",@progbits
	.p2align	6, 0x0
	.amdhsa_kernel _ZN9rocsparseL28csrmvn_lrb_short_rows_kernelIiiffffEEvbT_PT0_S3_jNS_24const_host_device_scalarIT4_EEPKS1_PKS2_PKT1_PKT2_S6_PT3_21rocsparse_index_base_b
		.amdhsa_group_segment_fixed_size 0
		.amdhsa_private_segment_fixed_size 0
		.amdhsa_kernarg_size 96
		.amdhsa_user_sgpr_count 6
		.amdhsa_user_sgpr_private_segment_buffer 1
		.amdhsa_user_sgpr_dispatch_ptr 0
		.amdhsa_user_sgpr_queue_ptr 0
		.amdhsa_user_sgpr_kernarg_segment_ptr 1
		.amdhsa_user_sgpr_dispatch_id 0
		.amdhsa_user_sgpr_flat_scratch_init 0
		.amdhsa_user_sgpr_kernarg_preload_length 0
		.amdhsa_user_sgpr_kernarg_preload_offset 0
		.amdhsa_user_sgpr_private_segment_size 0
		.amdhsa_uses_dynamic_stack 0
		.amdhsa_system_sgpr_private_segment_wavefront_offset 0
		.amdhsa_system_sgpr_workgroup_id_x 1
		.amdhsa_system_sgpr_workgroup_id_y 0
		.amdhsa_system_sgpr_workgroup_id_z 0
		.amdhsa_system_sgpr_workgroup_info 0
		.amdhsa_system_vgpr_workitem_id 0
		.amdhsa_next_free_vgpr 10
		.amdhsa_next_free_sgpr 25
		.amdhsa_accum_offset 12
		.amdhsa_reserve_vcc 1
		.amdhsa_reserve_flat_scratch 0
		.amdhsa_float_round_mode_32 0
		.amdhsa_float_round_mode_16_64 0
		.amdhsa_float_denorm_mode_32 3
		.amdhsa_float_denorm_mode_16_64 3
		.amdhsa_dx10_clamp 1
		.amdhsa_ieee_mode 1
		.amdhsa_fp16_overflow 0
		.amdhsa_tg_split 0
		.amdhsa_exception_fp_ieee_invalid_op 0
		.amdhsa_exception_fp_denorm_src 0
		.amdhsa_exception_fp_ieee_div_zero 0
		.amdhsa_exception_fp_ieee_overflow 0
		.amdhsa_exception_fp_ieee_underflow 0
		.amdhsa_exception_fp_ieee_inexact 0
		.amdhsa_exception_int_div_zero 0
	.end_amdhsa_kernel
	.section	.text._ZN9rocsparseL28csrmvn_lrb_short_rows_kernelIiiffffEEvbT_PT0_S3_jNS_24const_host_device_scalarIT4_EEPKS1_PKS2_PKT1_PKT2_S6_PT3_21rocsparse_index_base_b,"axG",@progbits,_ZN9rocsparseL28csrmvn_lrb_short_rows_kernelIiiffffEEvbT_PT0_S3_jNS_24const_host_device_scalarIT4_EEPKS1_PKS2_PKT1_PKT2_S6_PT3_21rocsparse_index_base_b,comdat
.Lfunc_end8:
	.size	_ZN9rocsparseL28csrmvn_lrb_short_rows_kernelIiiffffEEvbT_PT0_S3_jNS_24const_host_device_scalarIT4_EEPKS1_PKS2_PKT1_PKT2_S6_PT3_21rocsparse_index_base_b, .Lfunc_end8-_ZN9rocsparseL28csrmvn_lrb_short_rows_kernelIiiffffEEvbT_PT0_S3_jNS_24const_host_device_scalarIT4_EEPKS1_PKS2_PKT1_PKT2_S6_PT3_21rocsparse_index_base_b
                                        ; -- End function
	.section	.AMDGPU.csdata,"",@progbits
; Kernel info:
; codeLenInByte = 732
; NumSgprs: 29
; NumVgprs: 10
; NumAgprs: 0
; TotalNumVgprs: 10
; ScratchSize: 0
; MemoryBound: 0
; FloatMode: 240
; IeeeMode: 1
; LDSByteSize: 0 bytes/workgroup (compile time only)
; SGPRBlocks: 3
; VGPRBlocks: 1
; NumSGPRsForWavesPerEU: 29
; NumVGPRsForWavesPerEU: 10
; AccumOffset: 12
; Occupancy: 8
; WaveLimiterHint : 1
; COMPUTE_PGM_RSRC2:SCRATCH_EN: 0
; COMPUTE_PGM_RSRC2:USER_SGPR: 6
; COMPUTE_PGM_RSRC2:TRAP_HANDLER: 0
; COMPUTE_PGM_RSRC2:TGID_X_EN: 1
; COMPUTE_PGM_RSRC2:TGID_Y_EN: 0
; COMPUTE_PGM_RSRC2:TGID_Z_EN: 0
; COMPUTE_PGM_RSRC2:TIDIG_COMP_CNT: 0
; COMPUTE_PGM_RSRC3_GFX90A:ACCUM_OFFSET: 2
; COMPUTE_PGM_RSRC3_GFX90A:TG_SPLIT: 0
	.section	.text._ZN9rocsparseL30csrmvn_lrb_short_rows_2_kernelIiiffffEEvbT_PT0_S3_jNS_24const_host_device_scalarIT4_EEPKS1_PKS2_PKT1_PKT2_S6_PT3_21rocsparse_index_base_b,"axG",@progbits,_ZN9rocsparseL30csrmvn_lrb_short_rows_2_kernelIiiffffEEvbT_PT0_S3_jNS_24const_host_device_scalarIT4_EEPKS1_PKS2_PKT1_PKT2_S6_PT3_21rocsparse_index_base_b,comdat
	.globl	_ZN9rocsparseL30csrmvn_lrb_short_rows_2_kernelIiiffffEEvbT_PT0_S3_jNS_24const_host_device_scalarIT4_EEPKS1_PKS2_PKT1_PKT2_S6_PT3_21rocsparse_index_base_b ; -- Begin function _ZN9rocsparseL30csrmvn_lrb_short_rows_2_kernelIiiffffEEvbT_PT0_S3_jNS_24const_host_device_scalarIT4_EEPKS1_PKS2_PKT1_PKT2_S6_PT3_21rocsparse_index_base_b
	.p2align	8
	.type	_ZN9rocsparseL30csrmvn_lrb_short_rows_2_kernelIiiffffEEvbT_PT0_S3_jNS_24const_host_device_scalarIT4_EEPKS1_PKS2_PKT1_PKT2_S6_PT3_21rocsparse_index_base_b,@function
_ZN9rocsparseL30csrmvn_lrb_short_rows_2_kernelIiiffffEEvbT_PT0_S3_jNS_24const_host_device_scalarIT4_EEPKS1_PKS2_PKT1_PKT2_S6_PT3_21rocsparse_index_base_b: ; @_ZN9rocsparseL30csrmvn_lrb_short_rows_2_kernelIiiffffEEvbT_PT0_S3_jNS_24const_host_device_scalarIT4_EEPKS1_PKS2_PKT1_PKT2_S6_PT3_21rocsparse_index_base_b
; %bb.0:
	s_load_dwordx2 s[22:23], s[4:5], 0x58
	s_load_dwordx2 s[20:21], s[4:5], 0x20
	;; [unrolled: 1-line block ×3, first 2 shown]
	s_waitcnt lgkmcnt(0)
	s_bitcmp1_b32 s23, 0
	s_cselect_b64 s[2:3], -1, 0
	s_xor_b64 s[0:1], s[2:3], -1
	s_and_b64 vcc, exec, s[2:3]
	s_cbranch_vccnz .LBB9_2
; %bb.1:
	s_load_dword s20, s[20:21], 0x0
.LBB9_2:
	s_andn2_b64 vcc, exec, s[0:1]
	s_cbranch_vccnz .LBB9_4
; %bb.3:
	s_load_dword s16, s[16:17], 0x0
.LBB9_4:
	s_waitcnt lgkmcnt(0)
	v_cmp_neq_f32_e64 s[0:1], s20, 0
	v_cmp_neq_f32_e64 s[2:3], s16, 1.0
	s_or_b64 s[0:1], s[0:1], s[2:3]
	s_andn2_b64 vcc, exec, s[0:1]
	s_mov_b32 s19, 0
	s_cbranch_vccnz .LBB9_30
; %bb.5:
	s_load_dword s18, s[4:5], 0x18
	s_load_dwordx4 s[0:3], s[4:5], 0x8
	s_mov_b32 s9, s19
	s_waitcnt lgkmcnt(0)
	s_lshl_b64 s[10:11], s[18:19], 2
	s_add_u32 s24, s2, s10
	s_addc_u32 s25, s3, s11
	s_add_i32 s8, s18, 1
	s_lshl_b64 s[8:9], s[8:9], 2
	s_add_u32 s26, s2, s8
	s_addc_u32 s27, s3, s9
	s_load_dword s19, s[24:25], 0x0
	s_load_dword s7, s[26:27], 0x0
	s_load_dwordx2 s[2:3], s[4:5], 0x50
	s_load_dwordx8 s[8:15], s[4:5], 0x28
	s_lshr_b32 s17, 0x400, s18
	s_mul_i32 s21, s17, s6
	s_waitcnt lgkmcnt(0)
	s_sub_i32 s4, s7, s19
	s_add_i32 s5, s21, s17
	v_lshrrev_b32_e32 v2, s18, v0
	s_min_u32 s23, s4, s5
	v_bfe_u32 v6, v0, 0, s18
	v_add_u32_e32 v2, s21, v2
	v_subrev_u32_e32 v1, s22, v6
	v_cmp_gt_u32_e32 vcc, s23, v2
	s_and_saveexec_b64 s[4:5], vcc
	s_cbranch_execz .LBB9_9
; %bb.6:
	v_add_u32_e32 v2, s19, v2
	v_mov_b32_e32 v3, 0
	v_lshlrev_b64 v[4:5], 2, v[2:3]
	v_mov_b32_e32 v2, s1
	v_add_co_u32_e32 v4, vcc, s0, v4
	v_addc_co_u32_e32 v5, vcc, v2, v5, vcc
	global_load_dword v4, v[4:5], off
	v_mov_b32_e32 v2, s9
	s_waitcnt vmcnt(0)
	v_ashrrev_i32_e32 v5, 31, v4
	v_lshlrev_b64 v[4:5], 2, v[4:5]
	v_add_co_u32_e32 v4, vcc, s8, v4
	v_addc_co_u32_e32 v5, vcc, v2, v5, vcc
	global_load_dwordx2 v[4:5], v[4:5], off
	s_waitcnt vmcnt(0)
	v_sub_u32_e32 v2, v5, v4
	v_cmp_lt_u32_e32 vcc, v6, v2
	s_and_saveexec_b64 s[6:7], vcc
	s_cbranch_execz .LBB9_8
; %bb.7:
	v_add_u32_e32 v2, v4, v1
	v_mov_b32_e32 v3, 0
	v_lshlrev_b64 v[2:3], 2, v[2:3]
	v_mov_b32_e32 v5, s11
	v_add_co_u32_e32 v4, vcc, s10, v2
	v_addc_co_u32_e32 v5, vcc, v5, v3, vcc
	global_load_dword v4, v[4:5], off
	v_mov_b32_e32 v5, s13
	v_add_co_u32_e32 v2, vcc, s12, v2
	v_addc_co_u32_e32 v3, vcc, v5, v3, vcc
	global_load_dword v5, v[2:3], off
	v_mov_b32_e32 v7, s15
	s_waitcnt vmcnt(1)
	v_subrev_u32_e32 v2, s22, v4
	v_ashrrev_i32_e32 v3, 31, v2
	v_lshlrev_b64 v[2:3], 2, v[2:3]
	v_add_co_u32_e32 v2, vcc, s14, v2
	v_addc_co_u32_e32 v3, vcc, v7, v3, vcc
	global_load_dword v2, v[2:3], off
	s_waitcnt vmcnt(1)
	v_mul_f32_e32 v3, s20, v5
	s_waitcnt vmcnt(0)
	v_mul_f32_e32 v3, v3, v2
.LBB9_8:
	s_or_b64 exec, exec, s[6:7]
	v_lshlrev_b32_e32 v2, 2, v0
	ds_write_b32 v2, v3
.LBB9_9:
	s_or_b64 exec, exec, s[4:5]
	v_or_b32_e32 v2, 0x100, v0
	v_lshrrev_b32_e32 v2, s18, v2
	v_add_u32_e32 v2, s21, v2
	v_cmp_gt_u32_e32 vcc, s23, v2
	s_and_saveexec_b64 s[4:5], vcc
	s_cbranch_execz .LBB9_13
; %bb.10:
	v_add_u32_e32 v2, s19, v2
	v_mov_b32_e32 v3, 0
	v_lshlrev_b64 v[4:5], 2, v[2:3]
	v_mov_b32_e32 v2, s1
	v_add_co_u32_e32 v4, vcc, s0, v4
	v_addc_co_u32_e32 v5, vcc, v2, v5, vcc
	global_load_dword v4, v[4:5], off
	v_mov_b32_e32 v2, s9
	s_waitcnt vmcnt(0)
	v_ashrrev_i32_e32 v5, 31, v4
	v_lshlrev_b64 v[4:5], 2, v[4:5]
	v_add_co_u32_e32 v4, vcc, s8, v4
	v_addc_co_u32_e32 v5, vcc, v2, v5, vcc
	global_load_dwordx2 v[4:5], v[4:5], off
	s_waitcnt vmcnt(0)
	v_sub_u32_e32 v2, v5, v4
	v_cmp_lt_u32_e32 vcc, v6, v2
	s_and_saveexec_b64 s[6:7], vcc
	s_cbranch_execz .LBB9_12
; %bb.11:
	v_add_u32_e32 v2, v4, v1
	v_mov_b32_e32 v3, 0
	v_lshlrev_b64 v[2:3], 2, v[2:3]
	v_mov_b32_e32 v5, s11
	v_add_co_u32_e32 v4, vcc, s10, v2
	v_addc_co_u32_e32 v5, vcc, v5, v3, vcc
	global_load_dword v4, v[4:5], off
	v_mov_b32_e32 v5, s13
	v_add_co_u32_e32 v2, vcc, s12, v2
	v_addc_co_u32_e32 v3, vcc, v5, v3, vcc
	global_load_dword v5, v[2:3], off
	v_mov_b32_e32 v7, s15
	s_waitcnt vmcnt(1)
	v_subrev_u32_e32 v2, s22, v4
	v_ashrrev_i32_e32 v3, 31, v2
	v_lshlrev_b64 v[2:3], 2, v[2:3]
	v_add_co_u32_e32 v2, vcc, s14, v2
	v_addc_co_u32_e32 v3, vcc, v7, v3, vcc
	global_load_dword v2, v[2:3], off
	s_waitcnt vmcnt(1)
	v_mul_f32_e32 v3, s20, v5
	s_waitcnt vmcnt(0)
	v_mul_f32_e32 v3, v3, v2
.LBB9_12:
	s_or_b64 exec, exec, s[6:7]
	v_lshlrev_b32_e32 v2, 2, v0
	ds_write_b32 v2, v3 offset:1024
.LBB9_13:
	s_or_b64 exec, exec, s[4:5]
	v_or_b32_e32 v2, 0x200, v0
	v_lshrrev_b32_e32 v2, s18, v2
	v_add_u32_e32 v2, s21, v2
	v_cmp_gt_u32_e32 vcc, s23, v2
	s_and_saveexec_b64 s[4:5], vcc
	s_cbranch_execz .LBB9_17
; %bb.14:
	v_add_u32_e32 v2, s19, v2
	v_mov_b32_e32 v3, 0
	v_lshlrev_b64 v[4:5], 2, v[2:3]
	v_mov_b32_e32 v2, s1
	v_add_co_u32_e32 v4, vcc, s0, v4
	v_addc_co_u32_e32 v5, vcc, v2, v5, vcc
	global_load_dword v4, v[4:5], off
	v_mov_b32_e32 v2, s9
	s_waitcnt vmcnt(0)
	v_ashrrev_i32_e32 v5, 31, v4
	v_lshlrev_b64 v[4:5], 2, v[4:5]
	v_add_co_u32_e32 v4, vcc, s8, v4
	v_addc_co_u32_e32 v5, vcc, v2, v5, vcc
	global_load_dwordx2 v[4:5], v[4:5], off
	s_waitcnt vmcnt(0)
	v_sub_u32_e32 v2, v5, v4
	v_cmp_lt_u32_e32 vcc, v6, v2
	s_and_saveexec_b64 s[6:7], vcc
	s_cbranch_execz .LBB9_16
; %bb.15:
	v_add_u32_e32 v2, v4, v1
	v_mov_b32_e32 v3, 0
	v_lshlrev_b64 v[2:3], 2, v[2:3]
	v_mov_b32_e32 v5, s11
	v_add_co_u32_e32 v4, vcc, s10, v2
	v_addc_co_u32_e32 v5, vcc, v5, v3, vcc
	global_load_dword v4, v[4:5], off
	v_mov_b32_e32 v5, s13
	v_add_co_u32_e32 v2, vcc, s12, v2
	v_addc_co_u32_e32 v3, vcc, v5, v3, vcc
	global_load_dword v5, v[2:3], off
	v_mov_b32_e32 v7, s15
	s_waitcnt vmcnt(1)
	v_subrev_u32_e32 v2, s22, v4
	v_ashrrev_i32_e32 v3, 31, v2
	v_lshlrev_b64 v[2:3], 2, v[2:3]
	v_add_co_u32_e32 v2, vcc, s14, v2
	v_addc_co_u32_e32 v3, vcc, v7, v3, vcc
	global_load_dword v2, v[2:3], off
	s_waitcnt vmcnt(1)
	v_mul_f32_e32 v3, s20, v5
	s_waitcnt vmcnt(0)
	v_mul_f32_e32 v3, v3, v2
.LBB9_16:
	s_or_b64 exec, exec, s[6:7]
	v_lshlrev_b32_e32 v2, 2, v0
	ds_write_b32 v2, v3 offset:2048
.LBB9_17:
	;; [unrolled: 56-line block ×3, first 2 shown]
	s_or_b64 exec, exec, s[4:5]
	s_cmp_lt_u32 s18, 11
	s_waitcnt lgkmcnt(0)
	s_barrier
	s_cbranch_scc0 .LBB9_30
; %bb.22:
	s_sub_i32 s8, s23, s21
	s_add_i32 s19, s19, s21
	s_mov_b32 s9, 0
	v_cmp_neq_f32_e64 s[4:5], s16, 0
	v_mov_b32_e32 v3, 0
	s_branch .LBB9_25
.LBB9_23:                               ;   in Loop: Header=BB9_25 Depth=1
	v_mov_b32_e32 v2, s3
	v_add_co_u32_e32 v4, vcc, s2, v4
	v_addc_co_u32_e32 v5, vcc, v2, v5, vcc
	global_store_dword v[4:5], v1, off
.LBB9_24:                               ;   in Loop: Header=BB9_25 Depth=1
	s_or_b64 exec, exec, s[6:7]
	s_addk_i32 s9, 0x100
	s_cmp_lt_u32 s9, s17
	s_cbranch_scc0 .LBB9_30
.LBB9_25:                               ; =>This Loop Header: Depth=1
                                        ;     Child Loop BB9_27 Depth 2
	v_add_u32_e32 v1, s9, v0
	v_cmp_gt_u32_e32 vcc, s8, v1
	s_and_saveexec_b64 s[6:7], vcc
	s_cbranch_execz .LBB9_24
; %bb.26:                               ;   in Loop: Header=BB9_25 Depth=1
	v_add_u32_e32 v2, s19, v1
	v_lshlrev_b64 v[4:5], 2, v[2:3]
	v_mov_b32_e32 v2, s1
	v_add_co_u32_e32 v4, vcc, s0, v4
	v_addc_co_u32_e32 v5, vcc, v2, v5, vcc
	global_load_dword v4, v[4:5], off
	v_lshlrev_b32_e32 v1, s18, v1
	v_lshlrev_b32_e32 v2, 2, v1
	s_mov_b32 s10, 1
	v_mov_b32_e32 v1, 0
.LBB9_27:                               ;   Parent Loop BB9_25 Depth=1
                                        ; =>  This Inner Loop Header: Depth=2
	ds_read_b32 v5, v2
	s_lshr_b32 s11, s10, s18
	s_add_i32 s10, s10, 1
	v_add_u32_e32 v2, 4, v2
	s_cmp_lg_u32 s11, 0
	s_waitcnt lgkmcnt(0)
	v_add_f32_e32 v1, v1, v5
	s_cbranch_scc0 .LBB9_27
; %bb.28:                               ;   in Loop: Header=BB9_25 Depth=1
	s_waitcnt vmcnt(0)
	v_ashrrev_i32_e32 v5, 31, v4
	s_and_b64 vcc, exec, s[4:5]
	v_lshlrev_b64 v[4:5], 2, v[4:5]
	s_cbranch_vccz .LBB9_23
; %bb.29:                               ;   in Loop: Header=BB9_25 Depth=1
	v_mov_b32_e32 v2, s3
	v_add_co_u32_e32 v6, vcc, s2, v4
	v_addc_co_u32_e32 v7, vcc, v2, v5, vcc
	global_load_dword v2, v[6:7], off
	s_waitcnt vmcnt(0)
	v_fmac_f32_e32 v1, s16, v2
	s_branch .LBB9_23
.LBB9_30:
	s_endpgm
	.section	.rodata,"a",@progbits
	.p2align	6, 0x0
	.amdhsa_kernel _ZN9rocsparseL30csrmvn_lrb_short_rows_2_kernelIiiffffEEvbT_PT0_S3_jNS_24const_host_device_scalarIT4_EEPKS1_PKS2_PKT1_PKT2_S6_PT3_21rocsparse_index_base_b
		.amdhsa_group_segment_fixed_size 4096
		.amdhsa_private_segment_fixed_size 0
		.amdhsa_kernarg_size 96
		.amdhsa_user_sgpr_count 6
		.amdhsa_user_sgpr_private_segment_buffer 1
		.amdhsa_user_sgpr_dispatch_ptr 0
		.amdhsa_user_sgpr_queue_ptr 0
		.amdhsa_user_sgpr_kernarg_segment_ptr 1
		.amdhsa_user_sgpr_dispatch_id 0
		.amdhsa_user_sgpr_flat_scratch_init 0
		.amdhsa_user_sgpr_kernarg_preload_length 0
		.amdhsa_user_sgpr_kernarg_preload_offset 0
		.amdhsa_user_sgpr_private_segment_size 0
		.amdhsa_uses_dynamic_stack 0
		.amdhsa_system_sgpr_private_segment_wavefront_offset 0
		.amdhsa_system_sgpr_workgroup_id_x 1
		.amdhsa_system_sgpr_workgroup_id_y 0
		.amdhsa_system_sgpr_workgroup_id_z 0
		.amdhsa_system_sgpr_workgroup_info 0
		.amdhsa_system_vgpr_workitem_id 0
		.amdhsa_next_free_vgpr 8
		.amdhsa_next_free_sgpr 28
		.amdhsa_accum_offset 8
		.amdhsa_reserve_vcc 1
		.amdhsa_reserve_flat_scratch 0
		.amdhsa_float_round_mode_32 0
		.amdhsa_float_round_mode_16_64 0
		.amdhsa_float_denorm_mode_32 3
		.amdhsa_float_denorm_mode_16_64 3
		.amdhsa_dx10_clamp 1
		.amdhsa_ieee_mode 1
		.amdhsa_fp16_overflow 0
		.amdhsa_tg_split 0
		.amdhsa_exception_fp_ieee_invalid_op 0
		.amdhsa_exception_fp_denorm_src 0
		.amdhsa_exception_fp_ieee_div_zero 0
		.amdhsa_exception_fp_ieee_overflow 0
		.amdhsa_exception_fp_ieee_underflow 0
		.amdhsa_exception_fp_ieee_inexact 0
		.amdhsa_exception_int_div_zero 0
	.end_amdhsa_kernel
	.section	.text._ZN9rocsparseL30csrmvn_lrb_short_rows_2_kernelIiiffffEEvbT_PT0_S3_jNS_24const_host_device_scalarIT4_EEPKS1_PKS2_PKT1_PKT2_S6_PT3_21rocsparse_index_base_b,"axG",@progbits,_ZN9rocsparseL30csrmvn_lrb_short_rows_2_kernelIiiffffEEvbT_PT0_S3_jNS_24const_host_device_scalarIT4_EEPKS1_PKS2_PKT1_PKT2_S6_PT3_21rocsparse_index_base_b,comdat
.Lfunc_end9:
	.size	_ZN9rocsparseL30csrmvn_lrb_short_rows_2_kernelIiiffffEEvbT_PT0_S3_jNS_24const_host_device_scalarIT4_EEPKS1_PKS2_PKT1_PKT2_S6_PT3_21rocsparse_index_base_b, .Lfunc_end9-_ZN9rocsparseL30csrmvn_lrb_short_rows_2_kernelIiiffffEEvbT_PT0_S3_jNS_24const_host_device_scalarIT4_EEPKS1_PKS2_PKT1_PKT2_S6_PT3_21rocsparse_index_base_b
                                        ; -- End function
	.section	.AMDGPU.csdata,"",@progbits
; Kernel info:
; codeLenInByte = 1472
; NumSgprs: 32
; NumVgprs: 8
; NumAgprs: 0
; TotalNumVgprs: 8
; ScratchSize: 0
; MemoryBound: 0
; FloatMode: 240
; IeeeMode: 1
; LDSByteSize: 4096 bytes/workgroup (compile time only)
; SGPRBlocks: 3
; VGPRBlocks: 0
; NumSGPRsForWavesPerEU: 32
; NumVGPRsForWavesPerEU: 8
; AccumOffset: 8
; Occupancy: 8
; WaveLimiterHint : 1
; COMPUTE_PGM_RSRC2:SCRATCH_EN: 0
; COMPUTE_PGM_RSRC2:USER_SGPR: 6
; COMPUTE_PGM_RSRC2:TRAP_HANDLER: 0
; COMPUTE_PGM_RSRC2:TGID_X_EN: 1
; COMPUTE_PGM_RSRC2:TGID_Y_EN: 0
; COMPUTE_PGM_RSRC2:TGID_Z_EN: 0
; COMPUTE_PGM_RSRC2:TIDIG_COMP_CNT: 0
; COMPUTE_PGM_RSRC3_GFX90A:ACCUM_OFFSET: 1
; COMPUTE_PGM_RSRC3_GFX90A:TG_SPLIT: 0
	.section	.text._ZN9rocsparseL41csrmvn_lrb_medium_rows_warp_reduce_kernelILj256ELj32EiiffffEEvbT1_lPT2_S3_jNS_24const_host_device_scalarIT6_EEPKS1_PKS2_PKT3_PKT4_S6_PT5_21rocsparse_index_base_b,"axG",@progbits,_ZN9rocsparseL41csrmvn_lrb_medium_rows_warp_reduce_kernelILj256ELj32EiiffffEEvbT1_lPT2_S3_jNS_24const_host_device_scalarIT6_EEPKS1_PKS2_PKT3_PKT4_S6_PT5_21rocsparse_index_base_b,comdat
	.globl	_ZN9rocsparseL41csrmvn_lrb_medium_rows_warp_reduce_kernelILj256ELj32EiiffffEEvbT1_lPT2_S3_jNS_24const_host_device_scalarIT6_EEPKS1_PKS2_PKT3_PKT4_S6_PT5_21rocsparse_index_base_b ; -- Begin function _ZN9rocsparseL41csrmvn_lrb_medium_rows_warp_reduce_kernelILj256ELj32EiiffffEEvbT1_lPT2_S3_jNS_24const_host_device_scalarIT6_EEPKS1_PKS2_PKT3_PKT4_S6_PT5_21rocsparse_index_base_b
	.p2align	8
	.type	_ZN9rocsparseL41csrmvn_lrb_medium_rows_warp_reduce_kernelILj256ELj32EiiffffEEvbT1_lPT2_S3_jNS_24const_host_device_scalarIT6_EEPKS1_PKS2_PKT3_PKT4_S6_PT5_21rocsparse_index_base_b,@function
_ZN9rocsparseL41csrmvn_lrb_medium_rows_warp_reduce_kernelILj256ELj32EiiffffEEvbT1_lPT2_S3_jNS_24const_host_device_scalarIT6_EEPKS1_PKS2_PKT3_PKT4_S6_PT5_21rocsparse_index_base_b: ; @_ZN9rocsparseL41csrmvn_lrb_medium_rows_warp_reduce_kernelILj256ELj32EiiffffEEvbT1_lPT2_S3_jNS_24const_host_device_scalarIT6_EEPKS1_PKS2_PKT3_PKT4_S6_PT5_21rocsparse_index_base_b
; %bb.0:
	s_load_dwordx2 s[10:11], s[4:5], 0x60
	s_load_dwordx2 s[12:13], s[4:5], 0x28
	;; [unrolled: 1-line block ×3, first 2 shown]
	s_waitcnt lgkmcnt(0)
	s_bitcmp1_b32 s11, 0
	s_cselect_b64 s[2:3], -1, 0
	s_xor_b64 s[0:1], s[2:3], -1
	s_and_b64 vcc, exec, s[2:3]
	s_cbranch_vccnz .LBB10_2
; %bb.1:
	s_load_dword s12, s[12:13], 0x0
.LBB10_2:
	s_andn2_b64 vcc, exec, s[0:1]
	s_cbranch_vccnz .LBB10_4
; %bb.3:
	s_load_dword s8, s[8:9], 0x0
.LBB10_4:
	s_waitcnt lgkmcnt(0)
	v_cmp_neq_f32_e64 s[0:1], s12, 0
	v_cmp_neq_f32_e64 s[2:3], s8, 1.0
	s_or_b64 s[0:1], s[0:1], s[2:3]
	s_andn2_b64 vcc, exec, s[0:1]
	s_cbranch_vccnz .LBB10_14
; %bb.5:
	s_load_dwordx2 s[0:1], s[4:5], 0x8
	v_lshrrev_b32_e32 v1, 5, v0
	v_lshl_or_b32 v2, s6, 3, v1
	v_ashrrev_i32_e32 v3, 31, v2
	s_waitcnt lgkmcnt(0)
	v_cmp_gt_i64_e32 vcc, s[0:1], v[2:3]
	s_and_saveexec_b64 s[0:1], vcc
	s_cbranch_execz .LBB10_14
; %bb.6:
	s_load_dword s6, s[4:5], 0x20
	s_load_dwordx4 s[0:3], s[4:5], 0x10
	s_mov_b32 s7, 0
	s_waitcnt lgkmcnt(0)
	s_lshl_b64 s[6:7], s[6:7], 2
	s_add_u32 s2, s2, s6
	s_addc_u32 s3, s3, s7
	s_load_dword s2, s[2:3], 0x0
	v_mov_b32_e32 v1, s1
	s_load_dwordx2 s[6:7], s[4:5], 0x58
	s_waitcnt lgkmcnt(0)
	v_add_u32_e32 v2, s2, v2
	v_ashrrev_i32_e32 v3, 31, v2
	v_lshlrev_b64 v[2:3], 2, v[2:3]
	v_add_co_u32_e32 v2, vcc, s0, v2
	v_addc_co_u32_e32 v3, vcc, v1, v3, vcc
	global_load_dword v2, v[2:3], off
	s_load_dwordx2 s[0:1], s[4:5], 0x30
	s_waitcnt lgkmcnt(0)
	v_mov_b32_e32 v1, s1
	s_waitcnt vmcnt(0)
	v_ashrrev_i32_e32 v3, 31, v2
	v_lshlrev_b64 v[2:3], 2, v[2:3]
	v_add_co_u32_e32 v4, vcc, s0, v2
	v_addc_co_u32_e32 v5, vcc, v1, v3, vcc
	global_load_dwordx2 v[6:7], v[4:5], off
	v_and_b32_e32 v4, 31, v0
	v_subrev_u32_e32 v0, s10, v4
	s_waitcnt vmcnt(0)
	v_subrev_u32_e32 v5, s10, v7
	v_add_u32_e32 v0, v6, v0
	v_cmp_lt_i32_e32 vcc, v0, v5
	v_mov_b32_e32 v6, 0
	s_and_saveexec_b64 s[14:15], vcc
	s_cbranch_execz .LBB10_10
; %bb.7:
	s_load_dwordx4 s[0:3], s[4:5], 0x38
	s_load_dwordx2 s[16:17], s[4:5], 0x48
	s_mov_b64 s[4:5], 0
	v_mov_b32_e32 v6, 0
	s_waitcnt lgkmcnt(0)
	v_mov_b32_e32 v7, s3
	v_mov_b32_e32 v8, s1
	;; [unrolled: 1-line block ×3, first 2 shown]
.LBB10_8:                               ; =>This Inner Loop Header: Depth=1
	v_ashrrev_i32_e32 v1, 31, v0
	v_lshlrev_b64 v[10:11], 2, v[0:1]
	v_add_co_u32_e32 v12, vcc, s0, v10
	v_addc_co_u32_e32 v13, vcc, v8, v11, vcc
	global_load_dword v1, v[12:13], off
	v_add_co_u32_e32 v10, vcc, s2, v10
	v_addc_co_u32_e32 v11, vcc, v7, v11, vcc
	global_load_dword v12, v[10:11], off
	v_add_u32_e32 v0, 32, v0
	s_waitcnt vmcnt(1)
	v_subrev_u32_e32 v10, s10, v1
	v_ashrrev_i32_e32 v11, 31, v10
	v_lshlrev_b64 v[10:11], 2, v[10:11]
	v_add_co_u32_e32 v10, vcc, s16, v10
	v_addc_co_u32_e32 v11, vcc, v9, v11, vcc
	global_load_dword v1, v[10:11], off
	s_waitcnt vmcnt(1)
	v_mul_f32_e32 v10, s12, v12
	v_cmp_ge_i32_e32 vcc, v0, v5
	s_or_b64 s[4:5], vcc, s[4:5]
	s_waitcnt vmcnt(0)
	v_fmac_f32_e32 v6, v10, v1
	s_andn2_b64 exec, exec, s[4:5]
	s_cbranch_execnz .LBB10_8
; %bb.9:
	s_or_b64 exec, exec, s[4:5]
.LBB10_10:
	s_or_b64 exec, exec, s[14:15]
	v_mov_b32_dpp v0, v6 row_shr:1 row_mask:0xf bank_mask:0xf
	v_add_f32_e32 v0, v6, v0
	v_cmp_eq_u32_e32 vcc, 31, v4
	s_nop 0
	v_mov_b32_dpp v1, v0 row_shr:2 row_mask:0xf bank_mask:0xf
	v_add_f32_e32 v0, v0, v1
	s_nop 1
	v_mov_b32_dpp v1, v0 row_shr:4 row_mask:0xf bank_mask:0xe
	v_add_f32_e32 v0, v0, v1
	;; [unrolled: 3-line block ×3, first 2 shown]
	s_nop 1
	v_mov_b32_dpp v1, v0 row_bcast:15 row_mask:0xa bank_mask:0xf
	s_and_b64 exec, exec, vcc
	s_cbranch_execz .LBB10_14
; %bb.11:
	v_cmp_eq_f32_e64 s[0:1], s8, 0
	v_add_f32_e32 v0, v0, v1
	s_and_b64 vcc, exec, s[0:1]
	s_cbranch_vccnz .LBB10_13
; %bb.12:
	v_mov_b32_e32 v1, s7
	v_add_co_u32_e32 v4, vcc, s6, v2
	v_addc_co_u32_e32 v5, vcc, v1, v3, vcc
	global_load_dword v1, v[4:5], off
	s_waitcnt vmcnt(0)
	v_fmac_f32_e32 v0, s8, v1
.LBB10_13:
	v_mov_b32_e32 v1, s7
	v_add_co_u32_e32 v2, vcc, s6, v2
	v_addc_co_u32_e32 v3, vcc, v1, v3, vcc
	global_store_dword v[2:3], v0, off
.LBB10_14:
	s_endpgm
	.section	.rodata,"a",@progbits
	.p2align	6, 0x0
	.amdhsa_kernel _ZN9rocsparseL41csrmvn_lrb_medium_rows_warp_reduce_kernelILj256ELj32EiiffffEEvbT1_lPT2_S3_jNS_24const_host_device_scalarIT6_EEPKS1_PKS2_PKT3_PKT4_S6_PT5_21rocsparse_index_base_b
		.amdhsa_group_segment_fixed_size 0
		.amdhsa_private_segment_fixed_size 0
		.amdhsa_kernarg_size 104
		.amdhsa_user_sgpr_count 6
		.amdhsa_user_sgpr_private_segment_buffer 1
		.amdhsa_user_sgpr_dispatch_ptr 0
		.amdhsa_user_sgpr_queue_ptr 0
		.amdhsa_user_sgpr_kernarg_segment_ptr 1
		.amdhsa_user_sgpr_dispatch_id 0
		.amdhsa_user_sgpr_flat_scratch_init 0
		.amdhsa_user_sgpr_kernarg_preload_length 0
		.amdhsa_user_sgpr_kernarg_preload_offset 0
		.amdhsa_user_sgpr_private_segment_size 0
		.amdhsa_uses_dynamic_stack 0
		.amdhsa_system_sgpr_private_segment_wavefront_offset 0
		.amdhsa_system_sgpr_workgroup_id_x 1
		.amdhsa_system_sgpr_workgroup_id_y 0
		.amdhsa_system_sgpr_workgroup_id_z 0
		.amdhsa_system_sgpr_workgroup_info 0
		.amdhsa_system_vgpr_workitem_id 0
		.amdhsa_next_free_vgpr 14
		.amdhsa_next_free_sgpr 18
		.amdhsa_accum_offset 16
		.amdhsa_reserve_vcc 1
		.amdhsa_reserve_flat_scratch 0
		.amdhsa_float_round_mode_32 0
		.amdhsa_float_round_mode_16_64 0
		.amdhsa_float_denorm_mode_32 3
		.amdhsa_float_denorm_mode_16_64 3
		.amdhsa_dx10_clamp 1
		.amdhsa_ieee_mode 1
		.amdhsa_fp16_overflow 0
		.amdhsa_tg_split 0
		.amdhsa_exception_fp_ieee_invalid_op 0
		.amdhsa_exception_fp_denorm_src 0
		.amdhsa_exception_fp_ieee_div_zero 0
		.amdhsa_exception_fp_ieee_overflow 0
		.amdhsa_exception_fp_ieee_underflow 0
		.amdhsa_exception_fp_ieee_inexact 0
		.amdhsa_exception_int_div_zero 0
	.end_amdhsa_kernel
	.section	.text._ZN9rocsparseL41csrmvn_lrb_medium_rows_warp_reduce_kernelILj256ELj32EiiffffEEvbT1_lPT2_S3_jNS_24const_host_device_scalarIT6_EEPKS1_PKS2_PKT3_PKT4_S6_PT5_21rocsparse_index_base_b,"axG",@progbits,_ZN9rocsparseL41csrmvn_lrb_medium_rows_warp_reduce_kernelILj256ELj32EiiffffEEvbT1_lPT2_S3_jNS_24const_host_device_scalarIT6_EEPKS1_PKS2_PKT3_PKT4_S6_PT5_21rocsparse_index_base_b,comdat
.Lfunc_end10:
	.size	_ZN9rocsparseL41csrmvn_lrb_medium_rows_warp_reduce_kernelILj256ELj32EiiffffEEvbT1_lPT2_S3_jNS_24const_host_device_scalarIT6_EEPKS1_PKS2_PKT3_PKT4_S6_PT5_21rocsparse_index_base_b, .Lfunc_end10-_ZN9rocsparseL41csrmvn_lrb_medium_rows_warp_reduce_kernelILj256ELj32EiiffffEEvbT1_lPT2_S3_jNS_24const_host_device_scalarIT6_EEPKS1_PKS2_PKT3_PKT4_S6_PT5_21rocsparse_index_base_b
                                        ; -- End function
	.section	.AMDGPU.csdata,"",@progbits
; Kernel info:
; codeLenInByte = 640
; NumSgprs: 22
; NumVgprs: 14
; NumAgprs: 0
; TotalNumVgprs: 14
; ScratchSize: 0
; MemoryBound: 0
; FloatMode: 240
; IeeeMode: 1
; LDSByteSize: 0 bytes/workgroup (compile time only)
; SGPRBlocks: 2
; VGPRBlocks: 1
; NumSGPRsForWavesPerEU: 22
; NumVGPRsForWavesPerEU: 14
; AccumOffset: 16
; Occupancy: 8
; WaveLimiterHint : 1
; COMPUTE_PGM_RSRC2:SCRATCH_EN: 0
; COMPUTE_PGM_RSRC2:USER_SGPR: 6
; COMPUTE_PGM_RSRC2:TRAP_HANDLER: 0
; COMPUTE_PGM_RSRC2:TGID_X_EN: 1
; COMPUTE_PGM_RSRC2:TGID_Y_EN: 0
; COMPUTE_PGM_RSRC2:TGID_Z_EN: 0
; COMPUTE_PGM_RSRC2:TIDIG_COMP_CNT: 0
; COMPUTE_PGM_RSRC3_GFX90A:ACCUM_OFFSET: 3
; COMPUTE_PGM_RSRC3_GFX90A:TG_SPLIT: 0
	.section	.text._ZN9rocsparseL41csrmvn_lrb_medium_rows_warp_reduce_kernelILj256ELj64EiiffffEEvbT1_lPT2_S3_jNS_24const_host_device_scalarIT6_EEPKS1_PKS2_PKT3_PKT4_S6_PT5_21rocsparse_index_base_b,"axG",@progbits,_ZN9rocsparseL41csrmvn_lrb_medium_rows_warp_reduce_kernelILj256ELj64EiiffffEEvbT1_lPT2_S3_jNS_24const_host_device_scalarIT6_EEPKS1_PKS2_PKT3_PKT4_S6_PT5_21rocsparse_index_base_b,comdat
	.globl	_ZN9rocsparseL41csrmvn_lrb_medium_rows_warp_reduce_kernelILj256ELj64EiiffffEEvbT1_lPT2_S3_jNS_24const_host_device_scalarIT6_EEPKS1_PKS2_PKT3_PKT4_S6_PT5_21rocsparse_index_base_b ; -- Begin function _ZN9rocsparseL41csrmvn_lrb_medium_rows_warp_reduce_kernelILj256ELj64EiiffffEEvbT1_lPT2_S3_jNS_24const_host_device_scalarIT6_EEPKS1_PKS2_PKT3_PKT4_S6_PT5_21rocsparse_index_base_b
	.p2align	8
	.type	_ZN9rocsparseL41csrmvn_lrb_medium_rows_warp_reduce_kernelILj256ELj64EiiffffEEvbT1_lPT2_S3_jNS_24const_host_device_scalarIT6_EEPKS1_PKS2_PKT3_PKT4_S6_PT5_21rocsparse_index_base_b,@function
_ZN9rocsparseL41csrmvn_lrb_medium_rows_warp_reduce_kernelILj256ELj64EiiffffEEvbT1_lPT2_S3_jNS_24const_host_device_scalarIT6_EEPKS1_PKS2_PKT3_PKT4_S6_PT5_21rocsparse_index_base_b: ; @_ZN9rocsparseL41csrmvn_lrb_medium_rows_warp_reduce_kernelILj256ELj64EiiffffEEvbT1_lPT2_S3_jNS_24const_host_device_scalarIT6_EEPKS1_PKS2_PKT3_PKT4_S6_PT5_21rocsparse_index_base_b
; %bb.0:
	s_load_dwordx2 s[10:11], s[4:5], 0x60
	s_load_dwordx2 s[12:13], s[4:5], 0x28
	;; [unrolled: 1-line block ×3, first 2 shown]
	s_waitcnt lgkmcnt(0)
	s_bitcmp1_b32 s11, 0
	s_cselect_b64 s[2:3], -1, 0
	s_xor_b64 s[0:1], s[2:3], -1
	s_and_b64 vcc, exec, s[2:3]
	s_cbranch_vccnz .LBB11_2
; %bb.1:
	s_load_dword s12, s[12:13], 0x0
.LBB11_2:
	s_andn2_b64 vcc, exec, s[0:1]
	s_cbranch_vccnz .LBB11_4
; %bb.3:
	s_load_dword s8, s[8:9], 0x0
.LBB11_4:
	s_waitcnt lgkmcnt(0)
	v_cmp_neq_f32_e64 s[0:1], s12, 0
	v_cmp_neq_f32_e64 s[2:3], s8, 1.0
	s_or_b64 s[0:1], s[0:1], s[2:3]
	s_andn2_b64 vcc, exec, s[0:1]
	s_cbranch_vccnz .LBB11_14
; %bb.5:
	s_load_dwordx2 s[0:1], s[4:5], 0x8
	v_lshrrev_b32_e32 v1, 6, v0
	v_lshl_or_b32 v2, s6, 2, v1
	v_ashrrev_i32_e32 v3, 31, v2
	s_waitcnt lgkmcnt(0)
	v_cmp_gt_i64_e32 vcc, s[0:1], v[2:3]
	s_and_saveexec_b64 s[0:1], vcc
	s_cbranch_execz .LBB11_14
; %bb.6:
	s_load_dword s6, s[4:5], 0x20
	s_load_dwordx4 s[0:3], s[4:5], 0x10
	s_mov_b32 s7, 0
	s_waitcnt lgkmcnt(0)
	s_lshl_b64 s[6:7], s[6:7], 2
	s_add_u32 s2, s2, s6
	s_addc_u32 s3, s3, s7
	s_load_dword s2, s[2:3], 0x0
	v_mov_b32_e32 v1, s1
	s_load_dwordx2 s[6:7], s[4:5], 0x58
	s_waitcnt lgkmcnt(0)
	v_add_u32_e32 v2, s2, v2
	v_ashrrev_i32_e32 v3, 31, v2
	v_lshlrev_b64 v[2:3], 2, v[2:3]
	v_add_co_u32_e32 v2, vcc, s0, v2
	v_addc_co_u32_e32 v3, vcc, v1, v3, vcc
	global_load_dword v2, v[2:3], off
	s_load_dwordx2 s[0:1], s[4:5], 0x30
	s_waitcnt lgkmcnt(0)
	v_mov_b32_e32 v1, s1
	s_waitcnt vmcnt(0)
	v_ashrrev_i32_e32 v3, 31, v2
	v_lshlrev_b64 v[2:3], 2, v[2:3]
	v_add_co_u32_e32 v4, vcc, s0, v2
	v_addc_co_u32_e32 v5, vcc, v1, v3, vcc
	global_load_dwordx2 v[6:7], v[4:5], off
	v_and_b32_e32 v4, 63, v0
	v_subrev_u32_e32 v0, s10, v4
	s_waitcnt vmcnt(0)
	v_subrev_u32_e32 v5, s10, v7
	v_add_u32_e32 v0, v6, v0
	v_cmp_lt_i32_e32 vcc, v0, v5
	v_mov_b32_e32 v6, 0
	s_and_saveexec_b64 s[14:15], vcc
	s_cbranch_execz .LBB11_10
; %bb.7:
	s_load_dwordx4 s[0:3], s[4:5], 0x38
	s_load_dwordx2 s[16:17], s[4:5], 0x48
	s_mov_b64 s[4:5], 0
	v_mov_b32_e32 v6, 0
	s_waitcnt lgkmcnt(0)
	v_mov_b32_e32 v7, s3
	v_mov_b32_e32 v8, s1
	;; [unrolled: 1-line block ×3, first 2 shown]
.LBB11_8:                               ; =>This Inner Loop Header: Depth=1
	v_ashrrev_i32_e32 v1, 31, v0
	v_lshlrev_b64 v[10:11], 2, v[0:1]
	v_add_co_u32_e32 v12, vcc, s0, v10
	v_addc_co_u32_e32 v13, vcc, v8, v11, vcc
	global_load_dword v1, v[12:13], off
	v_add_co_u32_e32 v10, vcc, s2, v10
	v_addc_co_u32_e32 v11, vcc, v7, v11, vcc
	global_load_dword v12, v[10:11], off
	v_add_u32_e32 v0, 64, v0
	s_waitcnt vmcnt(1)
	v_subrev_u32_e32 v10, s10, v1
	v_ashrrev_i32_e32 v11, 31, v10
	v_lshlrev_b64 v[10:11], 2, v[10:11]
	v_add_co_u32_e32 v10, vcc, s16, v10
	v_addc_co_u32_e32 v11, vcc, v9, v11, vcc
	global_load_dword v1, v[10:11], off
	s_waitcnt vmcnt(1)
	v_mul_f32_e32 v10, s12, v12
	v_cmp_ge_i32_e32 vcc, v0, v5
	s_or_b64 s[4:5], vcc, s[4:5]
	s_waitcnt vmcnt(0)
	v_fmac_f32_e32 v6, v10, v1
	s_andn2_b64 exec, exec, s[4:5]
	s_cbranch_execnz .LBB11_8
; %bb.9:
	s_or_b64 exec, exec, s[4:5]
.LBB11_10:
	s_or_b64 exec, exec, s[14:15]
	v_mov_b32_dpp v0, v6 row_shr:1 row_mask:0xf bank_mask:0xf
	v_add_f32_e32 v0, v6, v0
	v_cmp_eq_u32_e32 vcc, 63, v4
	s_nop 0
	v_mov_b32_dpp v1, v0 row_shr:2 row_mask:0xf bank_mask:0xf
	v_add_f32_e32 v0, v0, v1
	s_nop 1
	v_mov_b32_dpp v1, v0 row_shr:4 row_mask:0xf bank_mask:0xe
	v_add_f32_e32 v0, v0, v1
	;; [unrolled: 3-line block ×3, first 2 shown]
	s_nop 1
	v_mov_b32_dpp v1, v0 row_bcast:15 row_mask:0xa bank_mask:0xf
	v_add_f32_e32 v0, v0, v1
	s_nop 1
	v_mov_b32_dpp v1, v0 row_bcast:31 row_mask:0xc bank_mask:0xf
	s_and_b64 exec, exec, vcc
	s_cbranch_execz .LBB11_14
; %bb.11:
	v_cmp_eq_f32_e64 s[0:1], s8, 0
	v_add_f32_e32 v0, v0, v1
	s_and_b64 vcc, exec, s[0:1]
	s_cbranch_vccnz .LBB11_13
; %bb.12:
	v_mov_b32_e32 v1, s7
	v_add_co_u32_e32 v4, vcc, s6, v2
	v_addc_co_u32_e32 v5, vcc, v1, v3, vcc
	global_load_dword v1, v[4:5], off
	s_waitcnt vmcnt(0)
	v_fmac_f32_e32 v0, s8, v1
.LBB11_13:
	v_mov_b32_e32 v1, s7
	v_add_co_u32_e32 v2, vcc, s6, v2
	v_addc_co_u32_e32 v3, vcc, v1, v3, vcc
	global_store_dword v[2:3], v0, off
.LBB11_14:
	s_endpgm
	.section	.rodata,"a",@progbits
	.p2align	6, 0x0
	.amdhsa_kernel _ZN9rocsparseL41csrmvn_lrb_medium_rows_warp_reduce_kernelILj256ELj64EiiffffEEvbT1_lPT2_S3_jNS_24const_host_device_scalarIT6_EEPKS1_PKS2_PKT3_PKT4_S6_PT5_21rocsparse_index_base_b
		.amdhsa_group_segment_fixed_size 0
		.amdhsa_private_segment_fixed_size 0
		.amdhsa_kernarg_size 104
		.amdhsa_user_sgpr_count 6
		.amdhsa_user_sgpr_private_segment_buffer 1
		.amdhsa_user_sgpr_dispatch_ptr 0
		.amdhsa_user_sgpr_queue_ptr 0
		.amdhsa_user_sgpr_kernarg_segment_ptr 1
		.amdhsa_user_sgpr_dispatch_id 0
		.amdhsa_user_sgpr_flat_scratch_init 0
		.amdhsa_user_sgpr_kernarg_preload_length 0
		.amdhsa_user_sgpr_kernarg_preload_offset 0
		.amdhsa_user_sgpr_private_segment_size 0
		.amdhsa_uses_dynamic_stack 0
		.amdhsa_system_sgpr_private_segment_wavefront_offset 0
		.amdhsa_system_sgpr_workgroup_id_x 1
		.amdhsa_system_sgpr_workgroup_id_y 0
		.amdhsa_system_sgpr_workgroup_id_z 0
		.amdhsa_system_sgpr_workgroup_info 0
		.amdhsa_system_vgpr_workitem_id 0
		.amdhsa_next_free_vgpr 14
		.amdhsa_next_free_sgpr 18
		.amdhsa_accum_offset 16
		.amdhsa_reserve_vcc 1
		.amdhsa_reserve_flat_scratch 0
		.amdhsa_float_round_mode_32 0
		.amdhsa_float_round_mode_16_64 0
		.amdhsa_float_denorm_mode_32 3
		.amdhsa_float_denorm_mode_16_64 3
		.amdhsa_dx10_clamp 1
		.amdhsa_ieee_mode 1
		.amdhsa_fp16_overflow 0
		.amdhsa_tg_split 0
		.amdhsa_exception_fp_ieee_invalid_op 0
		.amdhsa_exception_fp_denorm_src 0
		.amdhsa_exception_fp_ieee_div_zero 0
		.amdhsa_exception_fp_ieee_overflow 0
		.amdhsa_exception_fp_ieee_underflow 0
		.amdhsa_exception_fp_ieee_inexact 0
		.amdhsa_exception_int_div_zero 0
	.end_amdhsa_kernel
	.section	.text._ZN9rocsparseL41csrmvn_lrb_medium_rows_warp_reduce_kernelILj256ELj64EiiffffEEvbT1_lPT2_S3_jNS_24const_host_device_scalarIT6_EEPKS1_PKS2_PKT3_PKT4_S6_PT5_21rocsparse_index_base_b,"axG",@progbits,_ZN9rocsparseL41csrmvn_lrb_medium_rows_warp_reduce_kernelILj256ELj64EiiffffEEvbT1_lPT2_S3_jNS_24const_host_device_scalarIT6_EEPKS1_PKS2_PKT3_PKT4_S6_PT5_21rocsparse_index_base_b,comdat
.Lfunc_end11:
	.size	_ZN9rocsparseL41csrmvn_lrb_medium_rows_warp_reduce_kernelILj256ELj64EiiffffEEvbT1_lPT2_S3_jNS_24const_host_device_scalarIT6_EEPKS1_PKS2_PKT3_PKT4_S6_PT5_21rocsparse_index_base_b, .Lfunc_end11-_ZN9rocsparseL41csrmvn_lrb_medium_rows_warp_reduce_kernelILj256ELj64EiiffffEEvbT1_lPT2_S3_jNS_24const_host_device_scalarIT6_EEPKS1_PKS2_PKT3_PKT4_S6_PT5_21rocsparse_index_base_b
                                        ; -- End function
	.section	.AMDGPU.csdata,"",@progbits
; Kernel info:
; codeLenInByte = 656
; NumSgprs: 22
; NumVgprs: 14
; NumAgprs: 0
; TotalNumVgprs: 14
; ScratchSize: 0
; MemoryBound: 0
; FloatMode: 240
; IeeeMode: 1
; LDSByteSize: 0 bytes/workgroup (compile time only)
; SGPRBlocks: 2
; VGPRBlocks: 1
; NumSGPRsForWavesPerEU: 22
; NumVGPRsForWavesPerEU: 14
; AccumOffset: 16
; Occupancy: 8
; WaveLimiterHint : 1
; COMPUTE_PGM_RSRC2:SCRATCH_EN: 0
; COMPUTE_PGM_RSRC2:USER_SGPR: 6
; COMPUTE_PGM_RSRC2:TRAP_HANDLER: 0
; COMPUTE_PGM_RSRC2:TGID_X_EN: 1
; COMPUTE_PGM_RSRC2:TGID_Y_EN: 0
; COMPUTE_PGM_RSRC2:TGID_Z_EN: 0
; COMPUTE_PGM_RSRC2:TIDIG_COMP_CNT: 0
; COMPUTE_PGM_RSRC3_GFX90A:ACCUM_OFFSET: 3
; COMPUTE_PGM_RSRC3_GFX90A:TG_SPLIT: 0
	.section	.text._ZN9rocsparseL29csrmvn_lrb_medium_rows_kernelILj256EiiffffEEvbT0_PT1_S3_jNS_24const_host_device_scalarIT5_EEPKS1_PKS2_PKT2_PKT3_S6_PT4_21rocsparse_index_base_b,"axG",@progbits,_ZN9rocsparseL29csrmvn_lrb_medium_rows_kernelILj256EiiffffEEvbT0_PT1_S3_jNS_24const_host_device_scalarIT5_EEPKS1_PKS2_PKT2_PKT3_S6_PT4_21rocsparse_index_base_b,comdat
	.globl	_ZN9rocsparseL29csrmvn_lrb_medium_rows_kernelILj256EiiffffEEvbT0_PT1_S3_jNS_24const_host_device_scalarIT5_EEPKS1_PKS2_PKT2_PKT3_S6_PT4_21rocsparse_index_base_b ; -- Begin function _ZN9rocsparseL29csrmvn_lrb_medium_rows_kernelILj256EiiffffEEvbT0_PT1_S3_jNS_24const_host_device_scalarIT5_EEPKS1_PKS2_PKT2_PKT3_S6_PT4_21rocsparse_index_base_b
	.p2align	8
	.type	_ZN9rocsparseL29csrmvn_lrb_medium_rows_kernelILj256EiiffffEEvbT0_PT1_S3_jNS_24const_host_device_scalarIT5_EEPKS1_PKS2_PKT2_PKT3_S6_PT4_21rocsparse_index_base_b,@function
_ZN9rocsparseL29csrmvn_lrb_medium_rows_kernelILj256EiiffffEEvbT0_PT1_S3_jNS_24const_host_device_scalarIT5_EEPKS1_PKS2_PKT2_PKT3_S6_PT4_21rocsparse_index_base_b: ; @_ZN9rocsparseL29csrmvn_lrb_medium_rows_kernelILj256EiiffffEEvbT0_PT1_S3_jNS_24const_host_device_scalarIT5_EEPKS1_PKS2_PKT2_PKT3_S6_PT4_21rocsparse_index_base_b
; %bb.0:
	s_load_dwordx2 s[12:13], s[4:5], 0x58
	s_load_dwordx2 s[14:15], s[4:5], 0x20
	;; [unrolled: 1-line block ×3, first 2 shown]
	s_waitcnt lgkmcnt(0)
	s_bitcmp1_b32 s13, 0
	s_cselect_b64 s[2:3], -1, 0
	s_xor_b64 s[0:1], s[2:3], -1
	s_and_b64 vcc, exec, s[2:3]
	s_cbranch_vccnz .LBB12_2
; %bb.1:
	s_load_dword s14, s[14:15], 0x0
.LBB12_2:
	s_andn2_b64 vcc, exec, s[0:1]
	s_cbranch_vccnz .LBB12_4
; %bb.3:
	s_load_dword s8, s[8:9], 0x0
.LBB12_4:
	s_waitcnt lgkmcnt(0)
	v_cmp_neq_f32_e64 s[0:1], s14, 0
	v_cmp_neq_f32_e64 s[2:3], s8, 1.0
	s_or_b64 s[0:1], s[0:1], s[2:3]
	s_andn2_b64 vcc, exec, s[0:1]
	s_mov_b32 s1, 0
	s_cbranch_vccnz .LBB12_29
; %bb.5:
	s_load_dword s0, s[4:5], 0x18
	s_load_dwordx4 s[16:19], s[4:5], 0x8
	v_subrev_u32_e32 v1, s12, v0
	v_mov_b32_e32 v4, 0
	s_waitcnt lgkmcnt(0)
	s_lshl_b64 s[0:1], s[0:1], 2
	s_add_u32 s0, s18, s0
	s_addc_u32 s1, s19, s1
	s_load_dword s0, s[0:1], 0x0
	s_waitcnt lgkmcnt(0)
	s_add_i32 s0, s0, s6
	s_ashr_i32 s1, s0, 31
	s_lshl_b64 s[0:1], s[0:1], 2
	s_add_u32 s0, s16, s0
	s_addc_u32 s1, s17, s1
	s_load_dword s2, s[0:1], 0x0
	s_load_dwordx2 s[10:11], s[4:5], 0x28
	s_waitcnt lgkmcnt(0)
	s_ashr_i32 s3, s2, 31
	s_lshl_b64 s[6:7], s[2:3], 2
	s_add_u32 s0, s10, s6
	s_addc_u32 s1, s11, s7
	s_load_dwordx2 s[2:3], s[0:1], 0x0
	s_load_dwordx2 s[10:11], s[4:5], 0x50
	s_waitcnt lgkmcnt(0)
	s_sub_i32 s9, s3, s12
	v_add_u32_e32 v2, s2, v1
	v_cmp_gt_i32_e32 vcc, s9, v2
	s_and_saveexec_b64 s[16:17], vcc
	s_cbranch_execz .LBB12_9
; %bb.6:
	s_load_dwordx4 s[0:3], s[4:5], 0x30
	s_load_dwordx2 s[18:19], s[4:5], 0x40
	s_mov_b64 s[4:5], 0
	v_mov_b32_e32 v4, 0
	s_waitcnt lgkmcnt(0)
	v_mov_b32_e32 v1, s3
	v_mov_b32_e32 v5, s1
	;; [unrolled: 1-line block ×3, first 2 shown]
.LBB12_7:                               ; =>This Inner Loop Header: Depth=1
	v_ashrrev_i32_e32 v3, 31, v2
	v_lshlrev_b64 v[8:9], 2, v[2:3]
	v_add_co_u32_e32 v10, vcc, s0, v8
	v_addc_co_u32_e32 v11, vcc, v5, v9, vcc
	global_load_dword v3, v[10:11], off
	v_add_co_u32_e32 v8, vcc, s2, v8
	v_addc_co_u32_e32 v9, vcc, v1, v9, vcc
	global_load_dword v7, v[8:9], off
	v_add_u32_e32 v2, 0x100, v2
	s_waitcnt vmcnt(1)
	v_subrev_u32_e32 v8, s12, v3
	v_ashrrev_i32_e32 v9, 31, v8
	v_lshlrev_b64 v[8:9], 2, v[8:9]
	v_add_co_u32_e32 v8, vcc, s18, v8
	v_addc_co_u32_e32 v9, vcc, v6, v9, vcc
	global_load_dword v3, v[8:9], off
	s_waitcnt vmcnt(1)
	v_mul_f32_e32 v7, s14, v7
	v_cmp_le_i32_e32 vcc, s9, v2
	s_or_b64 s[4:5], vcc, s[4:5]
	s_waitcnt vmcnt(0)
	v_fmac_f32_e32 v4, v7, v3
	s_andn2_b64 exec, exec, s[4:5]
	s_cbranch_execnz .LBB12_7
; %bb.8:
	s_or_b64 exec, exec, s[4:5]
.LBB12_9:
	s_or_b64 exec, exec, s[16:17]
	s_movk_i32 s0, 0x80
	v_lshlrev_b32_e32 v1, 2, v0
	v_cmp_gt_u32_e32 vcc, s0, v0
	ds_write_b32 v1, v4
	s_waitcnt lgkmcnt(0)
	s_barrier
	s_and_saveexec_b64 s[0:1], vcc
	s_cbranch_execz .LBB12_11
; %bb.10:
	ds_read2st64_b32 v[2:3], v1 offset1:2
	s_waitcnt lgkmcnt(0)
	v_add_f32_e32 v2, v2, v3
	ds_write_b32 v1, v2
.LBB12_11:
	s_or_b64 exec, exec, s[0:1]
	v_cmp_gt_u32_e32 vcc, 64, v0
	s_waitcnt lgkmcnt(0)
	s_barrier
	s_and_saveexec_b64 s[0:1], vcc
	s_cbranch_execz .LBB12_13
; %bb.12:
	ds_read2st64_b32 v[2:3], v1 offset1:1
	s_waitcnt lgkmcnt(0)
	v_add_f32_e32 v2, v2, v3
	ds_write_b32 v1, v2
.LBB12_13:
	s_or_b64 exec, exec, s[0:1]
	v_cmp_gt_u32_e32 vcc, 32, v0
	s_waitcnt lgkmcnt(0)
	s_barrier
	s_and_saveexec_b64 s[0:1], vcc
	s_cbranch_execz .LBB12_15
; %bb.14:
	ds_read2_b32 v[2:3], v1 offset1:32
	s_waitcnt lgkmcnt(0)
	v_add_f32_e32 v2, v2, v3
	ds_write_b32 v1, v2
.LBB12_15:
	s_or_b64 exec, exec, s[0:1]
	v_cmp_gt_u32_e32 vcc, 16, v0
	s_waitcnt lgkmcnt(0)
	s_barrier
	s_and_saveexec_b64 s[0:1], vcc
	s_cbranch_execz .LBB12_17
; %bb.16:
	ds_read2_b32 v[2:3], v1 offset1:16
	s_waitcnt lgkmcnt(0)
	v_add_f32_e32 v2, v2, v3
	ds_write_b32 v1, v2
.LBB12_17:
	;; [unrolled: 12-line block ×5, first 2 shown]
	s_or_b64 exec, exec, s[0:1]
	v_cmp_eq_u32_e32 vcc, 0, v0
	s_waitcnt lgkmcnt(0)
	s_barrier
	s_and_saveexec_b64 s[0:1], vcc
	s_cbranch_execz .LBB12_25
; %bb.24:
	v_mov_b32_e32 v2, 0
	ds_read_b64 v[0:1], v2
	s_waitcnt lgkmcnt(0)
	v_add_f32_e32 v0, v0, v1
	ds_write_b32 v2, v0
.LBB12_25:
	s_or_b64 exec, exec, s[0:1]
	s_waitcnt lgkmcnt(0)
	s_barrier
	s_and_saveexec_b64 s[0:1], vcc
	s_cbranch_execz .LBB12_29
; %bb.26:
	v_mov_b32_e32 v0, 0
	ds_read_b32 v1, v0
	v_cmp_eq_f32_e64 s[0:1], s8, 0
	s_and_b64 vcc, exec, s[0:1]
	s_cbranch_vccnz .LBB12_28
; %bb.27:
	s_add_u32 s0, s10, s6
	s_addc_u32 s1, s11, s7
	s_load_dword s0, s[0:1], 0x0
	s_waitcnt lgkmcnt(0)
	v_mov_b32_e32 v2, s0
	v_fmac_f32_e32 v1, s8, v2
.LBB12_28:
	s_add_u32 s0, s10, s6
	s_addc_u32 s1, s11, s7
	s_waitcnt lgkmcnt(0)
	global_store_dword v0, v1, s[0:1]
.LBB12_29:
	s_endpgm
	.section	.rodata,"a",@progbits
	.p2align	6, 0x0
	.amdhsa_kernel _ZN9rocsparseL29csrmvn_lrb_medium_rows_kernelILj256EiiffffEEvbT0_PT1_S3_jNS_24const_host_device_scalarIT5_EEPKS1_PKS2_PKT2_PKT3_S6_PT4_21rocsparse_index_base_b
		.amdhsa_group_segment_fixed_size 1024
		.amdhsa_private_segment_fixed_size 0
		.amdhsa_kernarg_size 96
		.amdhsa_user_sgpr_count 6
		.amdhsa_user_sgpr_private_segment_buffer 1
		.amdhsa_user_sgpr_dispatch_ptr 0
		.amdhsa_user_sgpr_queue_ptr 0
		.amdhsa_user_sgpr_kernarg_segment_ptr 1
		.amdhsa_user_sgpr_dispatch_id 0
		.amdhsa_user_sgpr_flat_scratch_init 0
		.amdhsa_user_sgpr_kernarg_preload_length 0
		.amdhsa_user_sgpr_kernarg_preload_offset 0
		.amdhsa_user_sgpr_private_segment_size 0
		.amdhsa_uses_dynamic_stack 0
		.amdhsa_system_sgpr_private_segment_wavefront_offset 0
		.amdhsa_system_sgpr_workgroup_id_x 1
		.amdhsa_system_sgpr_workgroup_id_y 0
		.amdhsa_system_sgpr_workgroup_id_z 0
		.amdhsa_system_sgpr_workgroup_info 0
		.amdhsa_system_vgpr_workitem_id 0
		.amdhsa_next_free_vgpr 12
		.amdhsa_next_free_sgpr 20
		.amdhsa_accum_offset 12
		.amdhsa_reserve_vcc 1
		.amdhsa_reserve_flat_scratch 0
		.amdhsa_float_round_mode_32 0
		.amdhsa_float_round_mode_16_64 0
		.amdhsa_float_denorm_mode_32 3
		.amdhsa_float_denorm_mode_16_64 3
		.amdhsa_dx10_clamp 1
		.amdhsa_ieee_mode 1
		.amdhsa_fp16_overflow 0
		.amdhsa_tg_split 0
		.amdhsa_exception_fp_ieee_invalid_op 0
		.amdhsa_exception_fp_denorm_src 0
		.amdhsa_exception_fp_ieee_div_zero 0
		.amdhsa_exception_fp_ieee_overflow 0
		.amdhsa_exception_fp_ieee_underflow 0
		.amdhsa_exception_fp_ieee_inexact 0
		.amdhsa_exception_int_div_zero 0
	.end_amdhsa_kernel
	.section	.text._ZN9rocsparseL29csrmvn_lrb_medium_rows_kernelILj256EiiffffEEvbT0_PT1_S3_jNS_24const_host_device_scalarIT5_EEPKS1_PKS2_PKT2_PKT3_S6_PT4_21rocsparse_index_base_b,"axG",@progbits,_ZN9rocsparseL29csrmvn_lrb_medium_rows_kernelILj256EiiffffEEvbT0_PT1_S3_jNS_24const_host_device_scalarIT5_EEPKS1_PKS2_PKT2_PKT3_S6_PT4_21rocsparse_index_base_b,comdat
.Lfunc_end12:
	.size	_ZN9rocsparseL29csrmvn_lrb_medium_rows_kernelILj256EiiffffEEvbT0_PT1_S3_jNS_24const_host_device_scalarIT5_EEPKS1_PKS2_PKT2_PKT3_S6_PT4_21rocsparse_index_base_b, .Lfunc_end12-_ZN9rocsparseL29csrmvn_lrb_medium_rows_kernelILj256EiiffffEEvbT0_PT1_S3_jNS_24const_host_device_scalarIT5_EEPKS1_PKS2_PKT2_PKT3_S6_PT4_21rocsparse_index_base_b
                                        ; -- End function
	.section	.AMDGPU.csdata,"",@progbits
; Kernel info:
; codeLenInByte = 924
; NumSgprs: 24
; NumVgprs: 12
; NumAgprs: 0
; TotalNumVgprs: 12
; ScratchSize: 0
; MemoryBound: 0
; FloatMode: 240
; IeeeMode: 1
; LDSByteSize: 1024 bytes/workgroup (compile time only)
; SGPRBlocks: 2
; VGPRBlocks: 1
; NumSGPRsForWavesPerEU: 24
; NumVGPRsForWavesPerEU: 12
; AccumOffset: 12
; Occupancy: 8
; WaveLimiterHint : 1
; COMPUTE_PGM_RSRC2:SCRATCH_EN: 0
; COMPUTE_PGM_RSRC2:USER_SGPR: 6
; COMPUTE_PGM_RSRC2:TRAP_HANDLER: 0
; COMPUTE_PGM_RSRC2:TGID_X_EN: 1
; COMPUTE_PGM_RSRC2:TGID_Y_EN: 0
; COMPUTE_PGM_RSRC2:TGID_Z_EN: 0
; COMPUTE_PGM_RSRC2:TIDIG_COMP_CNT: 0
; COMPUTE_PGM_RSRC3_GFX90A:ACCUM_OFFSET: 2
; COMPUTE_PGM_RSRC3_GFX90A:TG_SPLIT: 0
	.section	.text._ZN9rocsparseL27csrmvn_lrb_long_rows_kernelIiiffffEEvbT_PjPT0_S4_jNS_24const_host_device_scalarIT4_EEPKS1_PKS3_PKT1_PKT2_S7_PT3_21rocsparse_index_base_b,"axG",@progbits,_ZN9rocsparseL27csrmvn_lrb_long_rows_kernelIiiffffEEvbT_PjPT0_S4_jNS_24const_host_device_scalarIT4_EEPKS1_PKS3_PKT1_PKT2_S7_PT3_21rocsparse_index_base_b,comdat
	.globl	_ZN9rocsparseL27csrmvn_lrb_long_rows_kernelIiiffffEEvbT_PjPT0_S4_jNS_24const_host_device_scalarIT4_EEPKS1_PKS3_PKT1_PKT2_S7_PT3_21rocsparse_index_base_b ; -- Begin function _ZN9rocsparseL27csrmvn_lrb_long_rows_kernelIiiffffEEvbT_PjPT0_S4_jNS_24const_host_device_scalarIT4_EEPKS1_PKS3_PKT1_PKT2_S7_PT3_21rocsparse_index_base_b
	.p2align	8
	.type	_ZN9rocsparseL27csrmvn_lrb_long_rows_kernelIiiffffEEvbT_PjPT0_S4_jNS_24const_host_device_scalarIT4_EEPKS1_PKS3_PKT1_PKT2_S7_PT3_21rocsparse_index_base_b,@function
_ZN9rocsparseL27csrmvn_lrb_long_rows_kernelIiiffffEEvbT_PjPT0_S4_jNS_24const_host_device_scalarIT4_EEPKS1_PKS3_PKT1_PKT2_S7_PT3_21rocsparse_index_base_b: ; @_ZN9rocsparseL27csrmvn_lrb_long_rows_kernelIiiffffEEvbT_PjPT0_S4_jNS_24const_host_device_scalarIT4_EEPKS1_PKS3_PKT1_PKT2_S7_PT3_21rocsparse_index_base_b
; %bb.0:
	s_load_dwordx2 s[16:17], s[4:5], 0x60
	s_load_dwordx2 s[18:19], s[4:5], 0x28
	;; [unrolled: 1-line block ×3, first 2 shown]
	s_waitcnt lgkmcnt(0)
	s_bitcmp1_b32 s17, 0
	s_cselect_b64 s[2:3], -1, 0
	s_xor_b64 s[0:1], s[2:3], -1
	s_and_b64 vcc, exec, s[2:3]
	s_cbranch_vccnz .LBB13_2
; %bb.1:
	s_load_dword s18, s[18:19], 0x0
.LBB13_2:
	s_andn2_b64 vcc, exec, s[0:1]
	s_cbranch_vccnz .LBB13_4
; %bb.3:
	s_load_dword s8, s[8:9], 0x0
.LBB13_4:
	s_waitcnt lgkmcnt(0)
	v_cmp_neq_f32_e64 s[0:1], s18, 0
	v_cmp_neq_f32_e64 s[2:3], s8, 1.0
	s_or_b64 s[0:1], s[0:1], s[2:3]
	s_andn2_b64 vcc, exec, s[0:1]
	s_mov_b32 s1, 0
	s_cbranch_vccnz .LBB13_39
; %bb.5:
	s_load_dword s0, s[4:5], 0x20
	s_load_dwordx2 s[2:3], s[4:5], 0x18
	v_mov_b32_e32 v4, 0
	s_waitcnt lgkmcnt(0)
	s_lshl_b64 s[10:11], s[0:1], 2
	s_add_u32 s10, s2, s10
	s_addc_u32 s11, s3, s11
	s_lshl_b32 s0, -1, s0
	s_not_b32 s0, s0
	s_mul_hi_u32 s0, s0, 0x2aaaaaab
	s_lshr_b32 s7, s0, 7
	s_add_i32 s9, s7, 1
	v_cvt_f32_u32_e32 v1, s9
	s_load_dwordx4 s[0:3], s[4:5], 0x8
	s_load_dword s12, s[10:11], 0x0
	s_not_b32 s7, s7
	v_rcp_iflag_f32_e32 v1, v1
	v_mul_f32_e32 v1, 0x4f7ffffe, v1
	v_cvt_u32_f32_e32 v1, v1
	v_readfirstlane_b32 s10, v1
	s_mul_i32 s7, s7, s10
	s_mul_hi_u32 s7, s10, s7
	s_add_i32 s10, s10, s7
	s_mul_hi_u32 s7, s6, s10
	s_mul_i32 s10, s7, s9
	s_sub_i32 s10, s6, s10
	s_add_i32 s11, s7, 1
	s_sub_i32 s13, s10, s9
	s_cmp_ge_u32 s10, s9
	s_cselect_b32 s7, s11, s7
	s_cselect_b32 s10, s13, s10
	s_add_i32 s11, s7, 1
	s_cmp_ge_u32 s10, s9
	s_cselect_b32 s7, s11, s7
	s_waitcnt lgkmcnt(0)
	s_add_i32 s10, s7, s12
	s_mul_i32 s14, s7, s9
	s_ashr_i32 s11, s10, 31
	s_sub_i32 s19, s6, s14
	s_lshl_b64 s[10:11], s[10:11], 2
	s_add_u32 s10, s2, s10
	s_addc_u32 s11, s3, s11
	s_load_dword s12, s[10:11], 0x0
	s_load_dwordx2 s[20:21], s[4:5], 0x30
	s_load_dwordx2 s[2:3], s[4:5], 0x58
	v_or_b32_e32 v1, s19, v0
	v_cmp_eq_u32_e32 vcc, 0, v1
	s_waitcnt lgkmcnt(0)
	s_ashr_i32 s13, s12, 31
	s_lshl_b64 s[12:13], s[12:13], 2
	s_add_u32 s10, s20, s12
	s_addc_u32 s11, s21, s13
	s_ashr_i32 s7, s6, 31
	s_lshl_b64 s[6:7], s[6:7], 2
	s_add_u32 s6, s0, s6
	s_addc_u32 s7, s1, s7
	s_load_dwordx2 s[10:11], s[10:11], 0x0
	s_nop 0
	s_load_dword s17, s[6:7], 0x0
	s_and_saveexec_b64 s[20:21], vcc
	s_cbranch_execz .LBB13_9
; %bb.6:
	s_add_u32 s24, s2, s12
	s_addc_u32 s25, s3, s13
	s_load_dword s24, s[24:25], 0x0
	s_mov_b64 s[22:23], exec
	v_mbcnt_lo_u32_b32 v2, s22, 0
	v_mbcnt_hi_u32_b32 v2, s23, v2
	v_add_f32_e64 v1, s8, -1.0
	v_cmp_eq_u32_e32 vcc, 0, v2
	s_waitcnt vmcnt(0) expcnt(0) lgkmcnt(0)
	s_and_saveexec_b64 s[8:9], vcc
	s_cbranch_execz .LBB13_8
; %bb.7:
	s_ashr_i32 s15, s14, 31
	s_lshl_b64 s[26:27], s[14:15], 2
	s_add_u32 s26, s0, s26
	s_addc_u32 s27, s1, s27
	s_bcnt1_i32_b64 s15, s[22:23]
	s_and_b32 s15, s15, 1
	v_mov_b32_e32 v2, 0
	v_mov_b32_e32 v3, s15
	global_atomic_xor v2, v3, s[26:27]
.LBB13_8:
	s_or_b64 exec, exec, s[8:9]
	v_mul_f32_e32 v4, s24, v1
.LBB13_9:
	s_or_b64 exec, exec, s[20:21]
	s_mul_i32 s8, s19, 0x300
	s_sub_i32 s8, s8, s16
	s_waitcnt lgkmcnt(0)
	s_add_i32 s8, s8, s10
	s_sub_i32 s9, s11, s16
	s_add_i32 s10, s8, 0x300
	s_min_i32 s15, s10, s9
	v_add_u32_e32 v2, s8, v0
	v_cmp_gt_i32_e32 vcc, s15, v2
	s_and_saveexec_b64 s[20:21], vcc
	s_cbranch_execz .LBB13_13
; %bb.10:
	s_load_dwordx4 s[8:11], s[4:5], 0x38
	s_load_dwordx2 s[22:23], s[4:5], 0x48
	s_mov_b64 s[4:5], 0
	s_waitcnt lgkmcnt(0)
	v_mov_b32_e32 v1, s11
	v_mov_b32_e32 v5, s9
	;; [unrolled: 1-line block ×3, first 2 shown]
.LBB13_11:                              ; =>This Inner Loop Header: Depth=1
	v_ashrrev_i32_e32 v3, 31, v2
	v_lshlrev_b64 v[8:9], 2, v[2:3]
	v_add_co_u32_e32 v10, vcc, s8, v8
	v_addc_co_u32_e32 v11, vcc, v5, v9, vcc
	global_load_dword v3, v[10:11], off
	v_add_co_u32_e32 v8, vcc, s10, v8
	v_addc_co_u32_e32 v9, vcc, v1, v9, vcc
	global_load_dword v7, v[8:9], off
	v_add_u32_e32 v2, 0x100, v2
	s_waitcnt vmcnt(1)
	v_subrev_u32_e32 v8, s16, v3
	v_ashrrev_i32_e32 v9, 31, v8
	v_lshlrev_b64 v[8:9], 2, v[8:9]
	v_add_co_u32_e32 v8, vcc, s22, v8
	v_addc_co_u32_e32 v9, vcc, v6, v9, vcc
	global_load_dword v3, v[8:9], off
	s_waitcnt vmcnt(1)
	v_mul_f32_e32 v7, s18, v7
	v_cmp_le_i32_e32 vcc, s15, v2
	s_or_b64 s[4:5], vcc, s[4:5]
	s_waitcnt vmcnt(0)
	v_fmac_f32_e32 v4, v7, v3
	s_andn2_b64 exec, exec, s[4:5]
	s_cbranch_execnz .LBB13_11
; %bb.12:
	s_or_b64 exec, exec, s[4:5]
.LBB13_13:
	s_or_b64 exec, exec, s[20:21]
	s_movk_i32 s4, 0x80
	v_lshlrev_b32_e32 v1, 2, v0
	v_cmp_gt_u32_e32 vcc, s4, v0
	ds_write_b32 v1, v4
	s_waitcnt lgkmcnt(0)
	s_barrier
	s_and_saveexec_b64 s[4:5], vcc
	s_cbranch_execz .LBB13_15
; %bb.14:
	ds_read2st64_b32 v[2:3], v1 offset1:2
	s_waitcnt lgkmcnt(0)
	v_add_f32_e32 v2, v2, v3
	ds_write_b32 v1, v2
.LBB13_15:
	s_or_b64 exec, exec, s[4:5]
	v_cmp_gt_u32_e32 vcc, 64, v0
	s_waitcnt lgkmcnt(0)
	s_barrier
	s_and_saveexec_b64 s[4:5], vcc
	s_cbranch_execz .LBB13_17
; %bb.16:
	ds_read2st64_b32 v[2:3], v1 offset1:1
	s_waitcnt lgkmcnt(0)
	v_add_f32_e32 v2, v2, v3
	ds_write_b32 v1, v2
.LBB13_17:
	s_or_b64 exec, exec, s[4:5]
	v_cmp_gt_u32_e32 vcc, 32, v0
	s_waitcnt lgkmcnt(0)
	s_barrier
	s_and_saveexec_b64 s[4:5], vcc
	s_cbranch_execz .LBB13_19
; %bb.18:
	ds_read2_b32 v[2:3], v1 offset1:32
	s_waitcnt lgkmcnt(0)
	v_add_f32_e32 v2, v2, v3
	ds_write_b32 v1, v2
.LBB13_19:
	s_or_b64 exec, exec, s[4:5]
	v_cmp_gt_u32_e32 vcc, 16, v0
	s_waitcnt lgkmcnt(0)
	s_barrier
	s_and_saveexec_b64 s[4:5], vcc
	s_cbranch_execz .LBB13_21
; %bb.20:
	ds_read2_b32 v[2:3], v1 offset1:16
	s_waitcnt lgkmcnt(0)
	v_add_f32_e32 v2, v2, v3
	ds_write_b32 v1, v2
.LBB13_21:
	;; [unrolled: 12-line block ×5, first 2 shown]
	s_or_b64 exec, exec, s[4:5]
	v_cmp_eq_u32_e32 vcc, 0, v0
	s_waitcnt lgkmcnt(0)
	s_barrier
	s_and_saveexec_b64 s[4:5], vcc
	s_cbranch_execz .LBB13_29
; %bb.28:
	v_mov_b32_e32 v2, 0
	ds_read_b64 v[0:1], v2
	s_waitcnt lgkmcnt(0)
	v_add_f32_e32 v0, v0, v1
	ds_write_b32 v2, v0
.LBB13_29:
	s_or_b64 exec, exec, s[4:5]
	s_waitcnt lgkmcnt(0)
	s_barrier
	s_and_saveexec_b64 s[4:5], vcc
	s_cbranch_execz .LBB13_39
; %bb.30:
	s_cmp_eq_u32 s19, 0
	s_cbranch_scc1 .LBB13_36
; %bb.31:
	s_ashr_i32 s15, s14, 31
	s_lshl_b64 s[4:5], s[14:15], 2
	s_add_u32 s0, s0, s4
	s_addc_u32 s1, s1, s5
	v_mov_b32_e32 v0, 0
	s_branch .LBB13_33
.LBB13_32:                              ;   in Loop: Header=BB13_33 Depth=1
	s_or_b64 exec, exec, s[4:5]
	s_waitcnt vmcnt(0)
	v_readfirstlane_b32 s4, v1
	s_cmp_eq_u32 s4, s17
	s_cbranch_scc0 .LBB13_35
.LBB13_33:                              ; =>This Inner Loop Header: Depth=1
	v_mbcnt_lo_u32_b32 v1, exec_lo, 0
	v_mbcnt_hi_u32_b32 v1, exec_hi, v1
	v_cmp_eq_u32_e32 vcc, 0, v1
                                        ; implicit-def: $vgpr1
	s_and_saveexec_b64 s[4:5], vcc
	s_cbranch_execz .LBB13_32
; %bb.34:                               ;   in Loop: Header=BB13_33 Depth=1
	global_load_dword v1, v0, s[0:1] glc
	s_branch .LBB13_32
.LBB13_35:
	v_mov_b32_e32 v0, 0
	global_load_dword v1, v0, s[6:7]
	s_waitcnt vmcnt(0)
	v_xor_b32_e32 v1, 1, v1
	global_store_dword v0, v1, s[6:7]
.LBB13_36:
	s_mov_b64 s[4:5], exec
	v_mbcnt_lo_u32_b32 v0, s4, 0
	v_mbcnt_hi_u32_b32 v0, s5, v0
	v_cmp_eq_u32_e32 vcc, 0, v0
	s_and_b64 s[0:1], exec, vcc
	s_mov_b64 exec, s[0:1]
	s_cbranch_execz .LBB13_39
; %bb.37:
	s_add_u32 s0, s2, s12
	s_addc_u32 s1, s3, s13
	v_mov_b32_e32 v2, 0
	global_load_dword v1, v2, s[0:1]
	ds_read_b32 v0, v2
	s_bcnt1_i32_b64 s2, s[4:5]
	v_cvt_f32_ubyte0_e32 v3, s2
	s_mov_b64 s[2:3], 0
	s_waitcnt lgkmcnt(0)
	v_mul_f32_e32 v3, v0, v3
.LBB13_38:                              ; =>This Inner Loop Header: Depth=1
	s_waitcnt vmcnt(0)
	v_add_f32_e32 v0, v1, v3
	global_atomic_cmpswap v0, v2, v[0:1], s[0:1] glc
	s_waitcnt vmcnt(0)
	v_cmp_eq_u32_e32 vcc, v0, v1
	s_or_b64 s[2:3], vcc, s[2:3]
	v_mov_b32_e32 v1, v0
	s_andn2_b64 exec, exec, s[2:3]
	s_cbranch_execnz .LBB13_38
.LBB13_39:
	s_endpgm
	.section	.rodata,"a",@progbits
	.p2align	6, 0x0
	.amdhsa_kernel _ZN9rocsparseL27csrmvn_lrb_long_rows_kernelIiiffffEEvbT_PjPT0_S4_jNS_24const_host_device_scalarIT4_EEPKS1_PKS3_PKT1_PKT2_S7_PT3_21rocsparse_index_base_b
		.amdhsa_group_segment_fixed_size 1024
		.amdhsa_private_segment_fixed_size 0
		.amdhsa_kernarg_size 104
		.amdhsa_user_sgpr_count 6
		.amdhsa_user_sgpr_private_segment_buffer 1
		.amdhsa_user_sgpr_dispatch_ptr 0
		.amdhsa_user_sgpr_queue_ptr 0
		.amdhsa_user_sgpr_kernarg_segment_ptr 1
		.amdhsa_user_sgpr_dispatch_id 0
		.amdhsa_user_sgpr_flat_scratch_init 0
		.amdhsa_user_sgpr_kernarg_preload_length 0
		.amdhsa_user_sgpr_kernarg_preload_offset 0
		.amdhsa_user_sgpr_private_segment_size 0
		.amdhsa_uses_dynamic_stack 0
		.amdhsa_system_sgpr_private_segment_wavefront_offset 0
		.amdhsa_system_sgpr_workgroup_id_x 1
		.amdhsa_system_sgpr_workgroup_id_y 0
		.amdhsa_system_sgpr_workgroup_id_z 0
		.amdhsa_system_sgpr_workgroup_info 0
		.amdhsa_system_vgpr_workitem_id 0
		.amdhsa_next_free_vgpr 12
		.amdhsa_next_free_sgpr 28
		.amdhsa_accum_offset 12
		.amdhsa_reserve_vcc 1
		.amdhsa_reserve_flat_scratch 0
		.amdhsa_float_round_mode_32 0
		.amdhsa_float_round_mode_16_64 0
		.amdhsa_float_denorm_mode_32 3
		.amdhsa_float_denorm_mode_16_64 3
		.amdhsa_dx10_clamp 1
		.amdhsa_ieee_mode 1
		.amdhsa_fp16_overflow 0
		.amdhsa_tg_split 0
		.amdhsa_exception_fp_ieee_invalid_op 0
		.amdhsa_exception_fp_denorm_src 0
		.amdhsa_exception_fp_ieee_div_zero 0
		.amdhsa_exception_fp_ieee_overflow 0
		.amdhsa_exception_fp_ieee_underflow 0
		.amdhsa_exception_fp_ieee_inexact 0
		.amdhsa_exception_int_div_zero 0
	.end_amdhsa_kernel
	.section	.text._ZN9rocsparseL27csrmvn_lrb_long_rows_kernelIiiffffEEvbT_PjPT0_S4_jNS_24const_host_device_scalarIT4_EEPKS1_PKS3_PKT1_PKT2_S7_PT3_21rocsparse_index_base_b,"axG",@progbits,_ZN9rocsparseL27csrmvn_lrb_long_rows_kernelIiiffffEEvbT_PjPT0_S4_jNS_24const_host_device_scalarIT4_EEPKS1_PKS3_PKT1_PKT2_S7_PT3_21rocsparse_index_base_b,comdat
.Lfunc_end13:
	.size	_ZN9rocsparseL27csrmvn_lrb_long_rows_kernelIiiffffEEvbT_PjPT0_S4_jNS_24const_host_device_scalarIT4_EEPKS1_PKS3_PKT1_PKT2_S7_PT3_21rocsparse_index_base_b, .Lfunc_end13-_ZN9rocsparseL27csrmvn_lrb_long_rows_kernelIiiffffEEvbT_PjPT0_S4_jNS_24const_host_device_scalarIT4_EEPKS1_PKS3_PKT1_PKT2_S7_PT3_21rocsparse_index_base_b
                                        ; -- End function
	.section	.AMDGPU.csdata,"",@progbits
; Kernel info:
; codeLenInByte = 1392
; NumSgprs: 32
; NumVgprs: 12
; NumAgprs: 0
; TotalNumVgprs: 12
; ScratchSize: 0
; MemoryBound: 0
; FloatMode: 240
; IeeeMode: 1
; LDSByteSize: 1024 bytes/workgroup (compile time only)
; SGPRBlocks: 3
; VGPRBlocks: 1
; NumSGPRsForWavesPerEU: 32
; NumVGPRsForWavesPerEU: 12
; AccumOffset: 12
; Occupancy: 8
; WaveLimiterHint : 1
; COMPUTE_PGM_RSRC2:SCRATCH_EN: 0
; COMPUTE_PGM_RSRC2:USER_SGPR: 6
; COMPUTE_PGM_RSRC2:TRAP_HANDLER: 0
; COMPUTE_PGM_RSRC2:TGID_X_EN: 1
; COMPUTE_PGM_RSRC2:TGID_Y_EN: 0
; COMPUTE_PGM_RSRC2:TGID_Z_EN: 0
; COMPUTE_PGM_RSRC2:TIDIG_COMP_CNT: 0
; COMPUTE_PGM_RSRC3_GFX90A:ACCUM_OFFSET: 2
; COMPUTE_PGM_RSRC3_GFX90A:TG_SPLIT: 0
	.section	.text._ZN9rocsparseL28csrmvn_lrb_short_rows_kernelIliffffEEvbT_PT0_S3_jNS_24const_host_device_scalarIT4_EEPKS1_PKS2_PKT1_PKT2_S6_PT3_21rocsparse_index_base_b,"axG",@progbits,_ZN9rocsparseL28csrmvn_lrb_short_rows_kernelIliffffEEvbT_PT0_S3_jNS_24const_host_device_scalarIT4_EEPKS1_PKS2_PKT1_PKT2_S6_PT3_21rocsparse_index_base_b,comdat
	.globl	_ZN9rocsparseL28csrmvn_lrb_short_rows_kernelIliffffEEvbT_PT0_S3_jNS_24const_host_device_scalarIT4_EEPKS1_PKS2_PKT1_PKT2_S6_PT3_21rocsparse_index_base_b ; -- Begin function _ZN9rocsparseL28csrmvn_lrb_short_rows_kernelIliffffEEvbT_PT0_S3_jNS_24const_host_device_scalarIT4_EEPKS1_PKS2_PKT1_PKT2_S6_PT3_21rocsparse_index_base_b
	.p2align	8
	.type	_ZN9rocsparseL28csrmvn_lrb_short_rows_kernelIliffffEEvbT_PT0_S3_jNS_24const_host_device_scalarIT4_EEPKS1_PKS2_PKT1_PKT2_S6_PT3_21rocsparse_index_base_b,@function
_ZN9rocsparseL28csrmvn_lrb_short_rows_kernelIliffffEEvbT_PT0_S3_jNS_24const_host_device_scalarIT4_EEPKS1_PKS2_PKT1_PKT2_S6_PT3_21rocsparse_index_base_b: ; @_ZN9rocsparseL28csrmvn_lrb_short_rows_kernelIliffffEEvbT_PT0_S3_jNS_24const_host_device_scalarIT4_EEPKS1_PKS2_PKT1_PKT2_S6_PT3_21rocsparse_index_base_b
; %bb.0:
	s_load_dwordx2 s[20:21], s[4:5], 0x60
	s_load_dwordx2 s[22:23], s[4:5], 0x28
	;; [unrolled: 1-line block ×3, first 2 shown]
	s_waitcnt lgkmcnt(0)
	s_bitcmp1_b32 s21, 0
	s_cselect_b64 s[2:3], -1, 0
	s_xor_b64 s[0:1], s[2:3], -1
	s_and_b64 vcc, exec, s[2:3]
	s_cbranch_vccnz .LBB14_2
; %bb.1:
	s_load_dword s22, s[22:23], 0x0
.LBB14_2:
	s_andn2_b64 vcc, exec, s[0:1]
	s_cbranch_vccnz .LBB14_4
; %bb.3:
	s_load_dword s16, s[16:17], 0x0
.LBB14_4:
	s_waitcnt lgkmcnt(0)
	v_cmp_neq_f32_e64 s[0:1], s22, 0
	v_cmp_neq_f32_e64 s[2:3], s16, 1.0
	s_or_b64 s[0:1], s[0:1], s[2:3]
	s_andn2_b64 vcc, exec, s[0:1]
	s_mov_b32 s19, 0
	s_cbranch_vccnz .LBB14_18
; %bb.5:
	s_load_dword s18, s[4:5], 0x20
	s_load_dwordx4 s[0:3], s[4:5], 0x10
	s_mov_b32 s9, s19
	s_waitcnt lgkmcnt(0)
	s_lshl_b64 s[10:11], s[18:19], 2
	s_add_u32 s10, s2, s10
	s_addc_u32 s11, s3, s11
	s_add_i32 s8, s18, 1
	s_lshl_b64 s[8:9], s[8:9], 2
	s_add_u32 s2, s2, s8
	s_addc_u32 s3, s3, s9
	s_load_dword s17, s[10:11], 0x0
	s_load_dword s7, s[2:3], 0x0
	s_lshl_b32 s19, s6, 8
	s_add_i32 s3, s19, 0x100
	s_waitcnt lgkmcnt(0)
	s_sub_i32 s2, s7, s17
	s_min_u32 s21, s2, s3
	s_cmp_gt_u32 s18, 23
	s_cbranch_scc1 .LBB14_12
; %bb.6:
	s_load_dwordx8 s[8:15], s[4:5], 0x30
	s_mov_b32 s24, 0
	v_mov_b32_e32 v9, 0
	s_lshl_b32 s23, 0x100, s18
	v_bfe_u32 v6, v0, 0, s18
	v_mov_b32_e32 v7, v9
	v_lshl_add_u32 v1, v0, 2, 0
	s_mov_b32 s25, s24
	s_branch .LBB14_9
.LBB14_7:                               ;   in Loop: Header=BB14_9 Depth=1
	s_or_b64 exec, exec, s[6:7]
	ds_write_b32 v1, v4
.LBB14_8:                               ;   in Loop: Header=BB14_9 Depth=1
	s_or_b64 exec, exec, s[2:3]
	s_addk_i32 s25, 0x100
	s_cmp_ge_u32 s25, s23
	v_add_u32_e32 v1, 0x400, v1
	s_cbranch_scc1 .LBB14_12
.LBB14_9:                               ; =>This Inner Loop Header: Depth=1
	v_add_u32_e32 v2, s25, v0
	v_lshrrev_b32_e32 v2, s18, v2
	v_add_u32_e32 v2, s19, v2
	v_cmp_gt_u32_e32 vcc, s21, v2
	s_and_saveexec_b64 s[2:3], vcc
	s_cbranch_execz .LBB14_8
; %bb.10:                               ;   in Loop: Header=BB14_9 Depth=1
	v_add_u32_e32 v8, s17, v2
	v_lshlrev_b64 v[2:3], 2, v[8:9]
	v_mov_b32_e32 v4, s1
	v_add_co_u32_e32 v2, vcc, s0, v2
	v_addc_co_u32_e32 v3, vcc, v4, v3, vcc
	global_load_dword v2, v[2:3], off
	s_waitcnt lgkmcnt(0)
	v_mov_b32_e32 v4, s9
	s_waitcnt vmcnt(0)
	v_ashrrev_i32_e32 v3, 31, v2
	v_lshlrev_b64 v[2:3], 3, v[2:3]
	v_add_co_u32_e32 v2, vcc, s8, v2
	v_addc_co_u32_e32 v3, vcc, v4, v3, vcc
	global_load_dwordx4 v[2:5], v[2:3], off
	s_waitcnt vmcnt(0)
	v_sub_co_u32_e32 v4, vcc, v4, v2
	v_subb_co_u32_e32 v5, vcc, v5, v3, vcc
	v_cmp_gt_i64_e32 vcc, v[4:5], v[6:7]
	v_mov_b32_e32 v4, 0
	s_and_saveexec_b64 s[6:7], vcc
	s_cbranch_execz .LBB14_7
; %bb.11:                               ;   in Loop: Header=BB14_9 Depth=1
	v_mov_b32_e32 v4, s24
	v_subrev_co_u32_e32 v2, vcc, s20, v2
	v_subb_co_u32_e32 v3, vcc, v3, v4, vcc
	v_add_co_u32_e32 v2, vcc, v2, v6
	v_addc_co_u32_e32 v3, vcc, 0, v3, vcc
	v_lshlrev_b64 v[2:3], 2, v[2:3]
	v_mov_b32_e32 v5, s11
	v_add_co_u32_e32 v4, vcc, s10, v2
	v_addc_co_u32_e32 v5, vcc, v5, v3, vcc
	global_load_dword v4, v[4:5], off
	v_mov_b32_e32 v5, s13
	v_add_co_u32_e32 v2, vcc, s12, v2
	v_addc_co_u32_e32 v3, vcc, v5, v3, vcc
	global_load_dword v5, v[2:3], off
	v_mov_b32_e32 v8, s15
	s_waitcnt vmcnt(1)
	v_subrev_u32_e32 v2, s20, v4
	v_ashrrev_i32_e32 v3, 31, v2
	v_lshlrev_b64 v[2:3], 2, v[2:3]
	v_add_co_u32_e32 v2, vcc, s14, v2
	v_addc_co_u32_e32 v3, vcc, v8, v3, vcc
	global_load_dword v2, v[2:3], off
	s_waitcnt vmcnt(1)
	v_mul_f32_e32 v3, s22, v5
	s_waitcnt vmcnt(0)
	v_mul_f32_e32 v4, v3, v2
	s_branch .LBB14_7
.LBB14_12:
	s_sub_i32 s2, s21, s19
	v_cmp_gt_u32_e32 vcc, s2, v0
	s_waitcnt lgkmcnt(0)
	s_barrier
	s_and_saveexec_b64 s[2:3], vcc
	s_cbranch_execz .LBB14_18
; %bb.13:
	s_add_i32 s17, s17, s19
	v_add_u32_e32 v2, s17, v0
	v_mov_b32_e32 v3, 0
	v_lshlrev_b64 v[4:5], 2, v[2:3]
	v_mov_b32_e32 v1, s1
	v_add_co_u32_e32 v4, vcc, s0, v4
	v_addc_co_u32_e32 v5, vcc, v1, v5, vcc
	global_load_dword v4, v[4:5], off
	s_load_dwordx2 s[0:1], s[4:5], 0x58
	v_lshlrev_b32_e32 v0, s18, v0
	v_lshl_add_u32 v0, v0, 2, 0
	s_mov_b32 s2, 1
.LBB14_14:                              ; =>This Inner Loop Header: Depth=1
	ds_read_b32 v1, v0
	s_lshr_b32 s3, s2, s18
	s_add_i32 s2, s2, 1
	v_add_u32_e32 v0, 4, v0
	s_cmp_lg_u32 s3, 0
	s_waitcnt lgkmcnt(0)
	v_add_f32_e32 v3, v3, v1
	s_cbranch_scc0 .LBB14_14
; %bb.15:
	v_cmp_neq_f32_e64 s[2:3], s16, 0
	s_waitcnt vmcnt(0)
	v_ashrrev_i32_e32 v5, 31, v4
	s_and_b64 vcc, exec, s[2:3]
	v_lshlrev_b64 v[0:1], 2, v[4:5]
	s_cbranch_vccz .LBB14_17
; %bb.16:
	v_mov_b32_e32 v2, s1
	v_add_co_u32_e32 v4, vcc, s0, v0
	v_addc_co_u32_e32 v5, vcc, v2, v1, vcc
	global_load_dword v2, v[4:5], off
	s_waitcnt vmcnt(0)
	v_fmac_f32_e32 v3, s16, v2
.LBB14_17:
	v_mov_b32_e32 v2, s1
	v_add_co_u32_e32 v0, vcc, s0, v0
	v_addc_co_u32_e32 v1, vcc, v2, v1, vcc
	global_store_dword v[0:1], v3, off
.LBB14_18:
	s_endpgm
	.section	.rodata,"a",@progbits
	.p2align	6, 0x0
	.amdhsa_kernel _ZN9rocsparseL28csrmvn_lrb_short_rows_kernelIliffffEEvbT_PT0_S3_jNS_24const_host_device_scalarIT4_EEPKS1_PKS2_PKT1_PKT2_S6_PT3_21rocsparse_index_base_b
		.amdhsa_group_segment_fixed_size 0
		.amdhsa_private_segment_fixed_size 0
		.amdhsa_kernarg_size 104
		.amdhsa_user_sgpr_count 6
		.amdhsa_user_sgpr_private_segment_buffer 1
		.amdhsa_user_sgpr_dispatch_ptr 0
		.amdhsa_user_sgpr_queue_ptr 0
		.amdhsa_user_sgpr_kernarg_segment_ptr 1
		.amdhsa_user_sgpr_dispatch_id 0
		.amdhsa_user_sgpr_flat_scratch_init 0
		.amdhsa_user_sgpr_kernarg_preload_length 0
		.amdhsa_user_sgpr_kernarg_preload_offset 0
		.amdhsa_user_sgpr_private_segment_size 0
		.amdhsa_uses_dynamic_stack 0
		.amdhsa_system_sgpr_private_segment_wavefront_offset 0
		.amdhsa_system_sgpr_workgroup_id_x 1
		.amdhsa_system_sgpr_workgroup_id_y 0
		.amdhsa_system_sgpr_workgroup_id_z 0
		.amdhsa_system_sgpr_workgroup_info 0
		.amdhsa_system_vgpr_workitem_id 0
		.amdhsa_next_free_vgpr 10
		.amdhsa_next_free_sgpr 26
		.amdhsa_accum_offset 12
		.amdhsa_reserve_vcc 1
		.amdhsa_reserve_flat_scratch 0
		.amdhsa_float_round_mode_32 0
		.amdhsa_float_round_mode_16_64 0
		.amdhsa_float_denorm_mode_32 3
		.amdhsa_float_denorm_mode_16_64 3
		.amdhsa_dx10_clamp 1
		.amdhsa_ieee_mode 1
		.amdhsa_fp16_overflow 0
		.amdhsa_tg_split 0
		.amdhsa_exception_fp_ieee_invalid_op 0
		.amdhsa_exception_fp_denorm_src 0
		.amdhsa_exception_fp_ieee_div_zero 0
		.amdhsa_exception_fp_ieee_overflow 0
		.amdhsa_exception_fp_ieee_underflow 0
		.amdhsa_exception_fp_ieee_inexact 0
		.amdhsa_exception_int_div_zero 0
	.end_amdhsa_kernel
	.section	.text._ZN9rocsparseL28csrmvn_lrb_short_rows_kernelIliffffEEvbT_PT0_S3_jNS_24const_host_device_scalarIT4_EEPKS1_PKS2_PKT1_PKT2_S6_PT3_21rocsparse_index_base_b,"axG",@progbits,_ZN9rocsparseL28csrmvn_lrb_short_rows_kernelIliffffEEvbT_PT0_S3_jNS_24const_host_device_scalarIT4_EEPKS1_PKS2_PKT1_PKT2_S6_PT3_21rocsparse_index_base_b,comdat
.Lfunc_end14:
	.size	_ZN9rocsparseL28csrmvn_lrb_short_rows_kernelIliffffEEvbT_PT0_S3_jNS_24const_host_device_scalarIT4_EEPKS1_PKS2_PKT1_PKT2_S6_PT3_21rocsparse_index_base_b, .Lfunc_end14-_ZN9rocsparseL28csrmvn_lrb_short_rows_kernelIliffffEEvbT_PT0_S3_jNS_24const_host_device_scalarIT4_EEPKS1_PKS2_PKT1_PKT2_S6_PT3_21rocsparse_index_base_b
                                        ; -- End function
	.section	.AMDGPU.csdata,"",@progbits
; Kernel info:
; codeLenInByte = 756
; NumSgprs: 30
; NumVgprs: 10
; NumAgprs: 0
; TotalNumVgprs: 10
; ScratchSize: 0
; MemoryBound: 0
; FloatMode: 240
; IeeeMode: 1
; LDSByteSize: 0 bytes/workgroup (compile time only)
; SGPRBlocks: 3
; VGPRBlocks: 1
; NumSGPRsForWavesPerEU: 30
; NumVGPRsForWavesPerEU: 10
; AccumOffset: 12
; Occupancy: 8
; WaveLimiterHint : 1
; COMPUTE_PGM_RSRC2:SCRATCH_EN: 0
; COMPUTE_PGM_RSRC2:USER_SGPR: 6
; COMPUTE_PGM_RSRC2:TRAP_HANDLER: 0
; COMPUTE_PGM_RSRC2:TGID_X_EN: 1
; COMPUTE_PGM_RSRC2:TGID_Y_EN: 0
; COMPUTE_PGM_RSRC2:TGID_Z_EN: 0
; COMPUTE_PGM_RSRC2:TIDIG_COMP_CNT: 0
; COMPUTE_PGM_RSRC3_GFX90A:ACCUM_OFFSET: 2
; COMPUTE_PGM_RSRC3_GFX90A:TG_SPLIT: 0
	.section	.text._ZN9rocsparseL30csrmvn_lrb_short_rows_2_kernelIliffffEEvbT_PT0_S3_jNS_24const_host_device_scalarIT4_EEPKS1_PKS2_PKT1_PKT2_S6_PT3_21rocsparse_index_base_b,"axG",@progbits,_ZN9rocsparseL30csrmvn_lrb_short_rows_2_kernelIliffffEEvbT_PT0_S3_jNS_24const_host_device_scalarIT4_EEPKS1_PKS2_PKT1_PKT2_S6_PT3_21rocsparse_index_base_b,comdat
	.globl	_ZN9rocsparseL30csrmvn_lrb_short_rows_2_kernelIliffffEEvbT_PT0_S3_jNS_24const_host_device_scalarIT4_EEPKS1_PKS2_PKT1_PKT2_S6_PT3_21rocsparse_index_base_b ; -- Begin function _ZN9rocsparseL30csrmvn_lrb_short_rows_2_kernelIliffffEEvbT_PT0_S3_jNS_24const_host_device_scalarIT4_EEPKS1_PKS2_PKT1_PKT2_S6_PT3_21rocsparse_index_base_b
	.p2align	8
	.type	_ZN9rocsparseL30csrmvn_lrb_short_rows_2_kernelIliffffEEvbT_PT0_S3_jNS_24const_host_device_scalarIT4_EEPKS1_PKS2_PKT1_PKT2_S6_PT3_21rocsparse_index_base_b,@function
_ZN9rocsparseL30csrmvn_lrb_short_rows_2_kernelIliffffEEvbT_PT0_S3_jNS_24const_host_device_scalarIT4_EEPKS1_PKS2_PKT1_PKT2_S6_PT3_21rocsparse_index_base_b: ; @_ZN9rocsparseL30csrmvn_lrb_short_rows_2_kernelIliffffEEvbT_PT0_S3_jNS_24const_host_device_scalarIT4_EEPKS1_PKS2_PKT1_PKT2_S6_PT3_21rocsparse_index_base_b
; %bb.0:
	s_load_dwordx2 s[22:23], s[4:5], 0x60
	s_load_dwordx2 s[20:21], s[4:5], 0x28
	;; [unrolled: 1-line block ×3, first 2 shown]
	s_waitcnt lgkmcnt(0)
	s_bitcmp1_b32 s23, 0
	s_cselect_b64 s[2:3], -1, 0
	s_xor_b64 s[0:1], s[2:3], -1
	s_and_b64 vcc, exec, s[2:3]
	s_cbranch_vccnz .LBB15_2
; %bb.1:
	s_load_dword s20, s[20:21], 0x0
.LBB15_2:
	s_andn2_b64 vcc, exec, s[0:1]
	s_cbranch_vccnz .LBB15_4
; %bb.3:
	s_load_dword s16, s[16:17], 0x0
.LBB15_4:
	s_waitcnt lgkmcnt(0)
	v_cmp_neq_f32_e64 s[0:1], s20, 0
	v_cmp_neq_f32_e64 s[2:3], s16, 1.0
	s_or_b64 s[0:1], s[0:1], s[2:3]
	s_andn2_b64 vcc, exec, s[0:1]
	s_mov_b32 s19, 0
	s_cbranch_vccnz .LBB15_30
; %bb.5:
	s_load_dword s18, s[4:5], 0x20
	s_load_dwordx4 s[0:3], s[4:5], 0x10
	s_mov_b32 s9, s19
	v_mov_b32_e32 v7, 0
	s_waitcnt lgkmcnt(0)
	s_lshl_b64 s[10:11], s[18:19], 2
	s_add_u32 s24, s2, s10
	s_addc_u32 s25, s3, s11
	s_add_i32 s8, s18, 1
	s_lshl_b64 s[8:9], s[8:9], 2
	s_add_u32 s26, s2, s8
	s_addc_u32 s27, s3, s9
	s_load_dword s19, s[24:25], 0x0
	s_load_dword s7, s[26:27], 0x0
	s_load_dwordx2 s[2:3], s[4:5], 0x58
	s_load_dwordx8 s[8:15], s[4:5], 0x30
	s_lshr_b32 s17, 0x400, s18
	s_mul_i32 s21, s17, s6
	s_waitcnt lgkmcnt(0)
	s_sub_i32 s4, s7, s19
	s_add_i32 s5, s21, s17
	v_lshrrev_b32_e32 v1, s18, v0
	s_min_u32 s23, s4, s5
	v_add_u32_e32 v1, s21, v1
	v_bfe_u32 v6, v0, 0, s18
	v_cmp_gt_u32_e32 vcc, s23, v1
	s_and_saveexec_b64 s[4:5], vcc
	s_cbranch_execz .LBB15_9
; %bb.6:
	v_add_u32_e32 v2, s19, v1
	v_mov_b32_e32 v3, v7
	v_lshlrev_b64 v[2:3], 2, v[2:3]
	v_mov_b32_e32 v1, s1
	v_add_co_u32_e32 v2, vcc, s0, v2
	v_addc_co_u32_e32 v3, vcc, v1, v3, vcc
	global_load_dword v2, v[2:3], off
	v_mov_b32_e32 v1, s9
	s_waitcnt vmcnt(0)
	v_ashrrev_i32_e32 v3, 31, v2
	v_lshlrev_b64 v[2:3], 3, v[2:3]
	v_add_co_u32_e32 v2, vcc, s8, v2
	v_addc_co_u32_e32 v3, vcc, v1, v3, vcc
	global_load_dwordx4 v[2:5], v[2:3], off
	v_mov_b32_e32 v1, v7
	s_waitcnt vmcnt(0)
	v_sub_co_u32_e32 v4, vcc, v4, v2
	v_subb_co_u32_e32 v5, vcc, v5, v3, vcc
	v_cmp_gt_i64_e32 vcc, v[4:5], v[6:7]
	s_and_saveexec_b64 s[6:7], vcc
	s_cbranch_execz .LBB15_8
; %bb.7:
	v_subrev_co_u32_e32 v1, vcc, s22, v2
	v_subbrev_co_u32_e32 v3, vcc, 0, v3, vcc
	v_add_co_u32_e32 v2, vcc, v1, v6
	v_addc_co_u32_e32 v3, vcc, 0, v3, vcc
	v_lshlrev_b64 v[2:3], 2, v[2:3]
	v_mov_b32_e32 v1, s11
	v_add_co_u32_e32 v4, vcc, s10, v2
	v_addc_co_u32_e32 v5, vcc, v1, v3, vcc
	global_load_dword v1, v[4:5], off
	v_mov_b32_e32 v4, s13
	v_add_co_u32_e32 v2, vcc, s12, v2
	v_addc_co_u32_e32 v3, vcc, v4, v3, vcc
	global_load_dword v4, v[2:3], off
	v_mov_b32_e32 v5, s15
	s_waitcnt vmcnt(1)
	v_subrev_u32_e32 v2, s22, v1
	v_ashrrev_i32_e32 v3, 31, v2
	v_lshlrev_b64 v[2:3], 2, v[2:3]
	v_add_co_u32_e32 v2, vcc, s14, v2
	v_addc_co_u32_e32 v3, vcc, v5, v3, vcc
	global_load_dword v1, v[2:3], off
	s_waitcnt vmcnt(1)
	v_mul_f32_e32 v2, s20, v4
	s_waitcnt vmcnt(0)
	v_mul_f32_e32 v1, v2, v1
.LBB15_8:
	s_or_b64 exec, exec, s[6:7]
	v_lshlrev_b32_e32 v2, 2, v0
	ds_write_b32 v2, v1
.LBB15_9:
	s_or_b64 exec, exec, s[4:5]
	v_or_b32_e32 v1, 0x100, v0
	v_lshrrev_b32_e32 v1, s18, v1
	v_add_u32_e32 v1, s21, v1
	v_cmp_gt_u32_e32 vcc, s23, v1
	s_and_saveexec_b64 s[4:5], vcc
	s_cbranch_execz .LBB15_13
; %bb.10:
	v_add_u32_e32 v8, s19, v1
	v_mov_b32_e32 v9, 0
	v_lshlrev_b64 v[2:3], 2, v[8:9]
	v_mov_b32_e32 v1, s1
	v_add_co_u32_e32 v2, vcc, s0, v2
	v_addc_co_u32_e32 v3, vcc, v1, v3, vcc
	global_load_dword v2, v[2:3], off
	v_mov_b32_e32 v1, s9
	s_waitcnt vmcnt(0)
	v_ashrrev_i32_e32 v3, 31, v2
	v_lshlrev_b64 v[2:3], 3, v[2:3]
	v_add_co_u32_e32 v2, vcc, s8, v2
	v_addc_co_u32_e32 v3, vcc, v1, v3, vcc
	global_load_dwordx4 v[2:5], v[2:3], off
	s_waitcnt vmcnt(0)
	v_sub_co_u32_e32 v4, vcc, v4, v2
	v_subb_co_u32_e32 v5, vcc, v5, v3, vcc
	v_cmp_gt_i64_e32 vcc, v[4:5], v[6:7]
	s_and_saveexec_b64 s[6:7], vcc
	s_cbranch_execz .LBB15_12
; %bb.11:
	v_subrev_co_u32_e32 v1, vcc, s22, v2
	v_subbrev_co_u32_e32 v3, vcc, 0, v3, vcc
	v_add_co_u32_e32 v2, vcc, v1, v6
	v_addc_co_u32_e32 v3, vcc, 0, v3, vcc
	v_lshlrev_b64 v[2:3], 2, v[2:3]
	v_mov_b32_e32 v1, s11
	v_add_co_u32_e32 v4, vcc, s10, v2
	v_addc_co_u32_e32 v5, vcc, v1, v3, vcc
	global_load_dword v1, v[4:5], off
	v_mov_b32_e32 v4, s13
	v_add_co_u32_e32 v2, vcc, s12, v2
	v_addc_co_u32_e32 v3, vcc, v4, v3, vcc
	global_load_dword v4, v[2:3], off
	v_mov_b32_e32 v5, s15
	s_waitcnt vmcnt(1)
	v_subrev_u32_e32 v2, s22, v1
	v_ashrrev_i32_e32 v3, 31, v2
	v_lshlrev_b64 v[2:3], 2, v[2:3]
	v_add_co_u32_e32 v2, vcc, s14, v2
	v_addc_co_u32_e32 v3, vcc, v5, v3, vcc
	global_load_dword v1, v[2:3], off
	s_waitcnt vmcnt(1)
	v_mul_f32_e32 v2, s20, v4
	s_waitcnt vmcnt(0)
	v_mul_f32_e32 v9, v2, v1
.LBB15_12:
	s_or_b64 exec, exec, s[6:7]
	v_lshlrev_b32_e32 v1, 2, v0
	ds_write_b32 v1, v9 offset:1024
.LBB15_13:
	s_or_b64 exec, exec, s[4:5]
	v_or_b32_e32 v1, 0x200, v0
	v_lshrrev_b32_e32 v1, s18, v1
	v_add_u32_e32 v1, s21, v1
	v_cmp_gt_u32_e32 vcc, s23, v1
	s_and_saveexec_b64 s[4:5], vcc
	s_cbranch_execz .LBB15_17
; %bb.14:
	v_add_u32_e32 v8, s19, v1
	v_mov_b32_e32 v9, 0
	v_lshlrev_b64 v[2:3], 2, v[8:9]
	v_mov_b32_e32 v1, s1
	v_add_co_u32_e32 v2, vcc, s0, v2
	v_addc_co_u32_e32 v3, vcc, v1, v3, vcc
	global_load_dword v2, v[2:3], off
	v_mov_b32_e32 v1, s9
	s_waitcnt vmcnt(0)
	v_ashrrev_i32_e32 v3, 31, v2
	v_lshlrev_b64 v[2:3], 3, v[2:3]
	v_add_co_u32_e32 v2, vcc, s8, v2
	v_addc_co_u32_e32 v3, vcc, v1, v3, vcc
	global_load_dwordx4 v[2:5], v[2:3], off
	s_waitcnt vmcnt(0)
	v_sub_co_u32_e32 v4, vcc, v4, v2
	v_subb_co_u32_e32 v5, vcc, v5, v3, vcc
	v_cmp_gt_i64_e32 vcc, v[4:5], v[6:7]
	s_and_saveexec_b64 s[6:7], vcc
	s_cbranch_execz .LBB15_16
; %bb.15:
	v_subrev_co_u32_e32 v1, vcc, s22, v2
	v_subbrev_co_u32_e32 v3, vcc, 0, v3, vcc
	v_add_co_u32_e32 v2, vcc, v1, v6
	v_addc_co_u32_e32 v3, vcc, 0, v3, vcc
	v_lshlrev_b64 v[2:3], 2, v[2:3]
	v_mov_b32_e32 v1, s11
	v_add_co_u32_e32 v4, vcc, s10, v2
	v_addc_co_u32_e32 v5, vcc, v1, v3, vcc
	global_load_dword v1, v[4:5], off
	v_mov_b32_e32 v4, s13
	v_add_co_u32_e32 v2, vcc, s12, v2
	v_addc_co_u32_e32 v3, vcc, v4, v3, vcc
	global_load_dword v4, v[2:3], off
	v_mov_b32_e32 v5, s15
	s_waitcnt vmcnt(1)
	v_subrev_u32_e32 v2, s22, v1
	v_ashrrev_i32_e32 v3, 31, v2
	v_lshlrev_b64 v[2:3], 2, v[2:3]
	v_add_co_u32_e32 v2, vcc, s14, v2
	v_addc_co_u32_e32 v3, vcc, v5, v3, vcc
	global_load_dword v1, v[2:3], off
	s_waitcnt vmcnt(1)
	v_mul_f32_e32 v2, s20, v4
	s_waitcnt vmcnt(0)
	v_mul_f32_e32 v9, v2, v1
.LBB15_16:
	s_or_b64 exec, exec, s[6:7]
	v_lshlrev_b32_e32 v1, 2, v0
	ds_write_b32 v1, v9 offset:2048
.LBB15_17:
	;; [unrolled: 59-line block ×3, first 2 shown]
	s_or_b64 exec, exec, s[4:5]
	s_cmp_lt_u32 s18, 11
	s_waitcnt lgkmcnt(0)
	s_barrier
	s_cbranch_scc0 .LBB15_30
; %bb.22:
	s_sub_i32 s8, s23, s21
	s_add_i32 s19, s19, s21
	s_mov_b32 s9, 0
	v_cmp_neq_f32_e64 s[4:5], s16, 0
	v_mov_b32_e32 v3, 0
	s_branch .LBB15_25
.LBB15_23:                              ;   in Loop: Header=BB15_25 Depth=1
	v_mov_b32_e32 v2, s3
	v_add_co_u32_e32 v4, vcc, s2, v4
	v_addc_co_u32_e32 v5, vcc, v2, v5, vcc
	global_store_dword v[4:5], v1, off
.LBB15_24:                              ;   in Loop: Header=BB15_25 Depth=1
	s_or_b64 exec, exec, s[6:7]
	s_addk_i32 s9, 0x100
	s_cmp_lt_u32 s9, s17
	s_cbranch_scc0 .LBB15_30
.LBB15_25:                              ; =>This Loop Header: Depth=1
                                        ;     Child Loop BB15_27 Depth 2
	v_add_u32_e32 v1, s9, v0
	v_cmp_gt_u32_e32 vcc, s8, v1
	s_and_saveexec_b64 s[6:7], vcc
	s_cbranch_execz .LBB15_24
; %bb.26:                               ;   in Loop: Header=BB15_25 Depth=1
	v_add_u32_e32 v2, s19, v1
	v_lshlrev_b64 v[4:5], 2, v[2:3]
	v_mov_b32_e32 v2, s1
	v_add_co_u32_e32 v4, vcc, s0, v4
	v_addc_co_u32_e32 v5, vcc, v2, v5, vcc
	global_load_dword v4, v[4:5], off
	v_lshlrev_b32_e32 v1, s18, v1
	v_lshlrev_b32_e32 v2, 2, v1
	s_mov_b32 s10, 1
	v_mov_b32_e32 v1, 0
.LBB15_27:                              ;   Parent Loop BB15_25 Depth=1
                                        ; =>  This Inner Loop Header: Depth=2
	ds_read_b32 v5, v2
	s_lshr_b32 s11, s10, s18
	s_add_i32 s10, s10, 1
	v_add_u32_e32 v2, 4, v2
	s_cmp_lg_u32 s11, 0
	s_waitcnt lgkmcnt(0)
	v_add_f32_e32 v1, v1, v5
	s_cbranch_scc0 .LBB15_27
; %bb.28:                               ;   in Loop: Header=BB15_25 Depth=1
	s_waitcnt vmcnt(0)
	v_ashrrev_i32_e32 v5, 31, v4
	s_and_b64 vcc, exec, s[4:5]
	v_lshlrev_b64 v[4:5], 2, v[4:5]
	s_cbranch_vccz .LBB15_23
; %bb.29:                               ;   in Loop: Header=BB15_25 Depth=1
	v_mov_b32_e32 v2, s3
	v_add_co_u32_e32 v6, vcc, s2, v4
	v_addc_co_u32_e32 v7, vcc, v2, v5, vcc
	global_load_dword v2, v[6:7], off
	s_waitcnt vmcnt(0)
	v_fmac_f32_e32 v1, s16, v2
	s_branch .LBB15_23
.LBB15_30:
	s_endpgm
	.section	.rodata,"a",@progbits
	.p2align	6, 0x0
	.amdhsa_kernel _ZN9rocsparseL30csrmvn_lrb_short_rows_2_kernelIliffffEEvbT_PT0_S3_jNS_24const_host_device_scalarIT4_EEPKS1_PKS2_PKT1_PKT2_S6_PT3_21rocsparse_index_base_b
		.amdhsa_group_segment_fixed_size 4096
		.amdhsa_private_segment_fixed_size 0
		.amdhsa_kernarg_size 104
		.amdhsa_user_sgpr_count 6
		.amdhsa_user_sgpr_private_segment_buffer 1
		.amdhsa_user_sgpr_dispatch_ptr 0
		.amdhsa_user_sgpr_queue_ptr 0
		.amdhsa_user_sgpr_kernarg_segment_ptr 1
		.amdhsa_user_sgpr_dispatch_id 0
		.amdhsa_user_sgpr_flat_scratch_init 0
		.amdhsa_user_sgpr_kernarg_preload_length 0
		.amdhsa_user_sgpr_kernarg_preload_offset 0
		.amdhsa_user_sgpr_private_segment_size 0
		.amdhsa_uses_dynamic_stack 0
		.amdhsa_system_sgpr_private_segment_wavefront_offset 0
		.amdhsa_system_sgpr_workgroup_id_x 1
		.amdhsa_system_sgpr_workgroup_id_y 0
		.amdhsa_system_sgpr_workgroup_id_z 0
		.amdhsa_system_sgpr_workgroup_info 0
		.amdhsa_system_vgpr_workitem_id 0
		.amdhsa_next_free_vgpr 10
		.amdhsa_next_free_sgpr 28
		.amdhsa_accum_offset 12
		.amdhsa_reserve_vcc 1
		.amdhsa_reserve_flat_scratch 0
		.amdhsa_float_round_mode_32 0
		.amdhsa_float_round_mode_16_64 0
		.amdhsa_float_denorm_mode_32 3
		.amdhsa_float_denorm_mode_16_64 3
		.amdhsa_dx10_clamp 1
		.amdhsa_ieee_mode 1
		.amdhsa_fp16_overflow 0
		.amdhsa_tg_split 0
		.amdhsa_exception_fp_ieee_invalid_op 0
		.amdhsa_exception_fp_denorm_src 0
		.amdhsa_exception_fp_ieee_div_zero 0
		.amdhsa_exception_fp_ieee_overflow 0
		.amdhsa_exception_fp_ieee_underflow 0
		.amdhsa_exception_fp_ieee_inexact 0
		.amdhsa_exception_int_div_zero 0
	.end_amdhsa_kernel
	.section	.text._ZN9rocsparseL30csrmvn_lrb_short_rows_2_kernelIliffffEEvbT_PT0_S3_jNS_24const_host_device_scalarIT4_EEPKS1_PKS2_PKT1_PKT2_S6_PT3_21rocsparse_index_base_b,"axG",@progbits,_ZN9rocsparseL30csrmvn_lrb_short_rows_2_kernelIliffffEEvbT_PT0_S3_jNS_24const_host_device_scalarIT4_EEPKS1_PKS2_PKT1_PKT2_S6_PT3_21rocsparse_index_base_b,comdat
.Lfunc_end15:
	.size	_ZN9rocsparseL30csrmvn_lrb_short_rows_2_kernelIliffffEEvbT_PT0_S3_jNS_24const_host_device_scalarIT4_EEPKS1_PKS2_PKT1_PKT2_S6_PT3_21rocsparse_index_base_b, .Lfunc_end15-_ZN9rocsparseL30csrmvn_lrb_short_rows_2_kernelIliffffEEvbT_PT0_S3_jNS_24const_host_device_scalarIT4_EEPKS1_PKS2_PKT1_PKT2_S6_PT3_21rocsparse_index_base_b
                                        ; -- End function
	.section	.AMDGPU.csdata,"",@progbits
; Kernel info:
; codeLenInByte = 1524
; NumSgprs: 32
; NumVgprs: 10
; NumAgprs: 0
; TotalNumVgprs: 10
; ScratchSize: 0
; MemoryBound: 0
; FloatMode: 240
; IeeeMode: 1
; LDSByteSize: 4096 bytes/workgroup (compile time only)
; SGPRBlocks: 3
; VGPRBlocks: 1
; NumSGPRsForWavesPerEU: 32
; NumVGPRsForWavesPerEU: 10
; AccumOffset: 12
; Occupancy: 8
; WaveLimiterHint : 1
; COMPUTE_PGM_RSRC2:SCRATCH_EN: 0
; COMPUTE_PGM_RSRC2:USER_SGPR: 6
; COMPUTE_PGM_RSRC2:TRAP_HANDLER: 0
; COMPUTE_PGM_RSRC2:TGID_X_EN: 1
; COMPUTE_PGM_RSRC2:TGID_Y_EN: 0
; COMPUTE_PGM_RSRC2:TGID_Z_EN: 0
; COMPUTE_PGM_RSRC2:TIDIG_COMP_CNT: 0
; COMPUTE_PGM_RSRC3_GFX90A:ACCUM_OFFSET: 2
; COMPUTE_PGM_RSRC3_GFX90A:TG_SPLIT: 0
	.section	.text._ZN9rocsparseL41csrmvn_lrb_medium_rows_warp_reduce_kernelILj256ELj32EliffffEEvbT1_lPT2_S3_jNS_24const_host_device_scalarIT6_EEPKS1_PKS2_PKT3_PKT4_S6_PT5_21rocsparse_index_base_b,"axG",@progbits,_ZN9rocsparseL41csrmvn_lrb_medium_rows_warp_reduce_kernelILj256ELj32EliffffEEvbT1_lPT2_S3_jNS_24const_host_device_scalarIT6_EEPKS1_PKS2_PKT3_PKT4_S6_PT5_21rocsparse_index_base_b,comdat
	.globl	_ZN9rocsparseL41csrmvn_lrb_medium_rows_warp_reduce_kernelILj256ELj32EliffffEEvbT1_lPT2_S3_jNS_24const_host_device_scalarIT6_EEPKS1_PKS2_PKT3_PKT4_S6_PT5_21rocsparse_index_base_b ; -- Begin function _ZN9rocsparseL41csrmvn_lrb_medium_rows_warp_reduce_kernelILj256ELj32EliffffEEvbT1_lPT2_S3_jNS_24const_host_device_scalarIT6_EEPKS1_PKS2_PKT3_PKT4_S6_PT5_21rocsparse_index_base_b
	.p2align	8
	.type	_ZN9rocsparseL41csrmvn_lrb_medium_rows_warp_reduce_kernelILj256ELj32EliffffEEvbT1_lPT2_S3_jNS_24const_host_device_scalarIT6_EEPKS1_PKS2_PKT3_PKT4_S6_PT5_21rocsparse_index_base_b,@function
_ZN9rocsparseL41csrmvn_lrb_medium_rows_warp_reduce_kernelILj256ELj32EliffffEEvbT1_lPT2_S3_jNS_24const_host_device_scalarIT6_EEPKS1_PKS2_PKT3_PKT4_S6_PT5_21rocsparse_index_base_b: ; @_ZN9rocsparseL41csrmvn_lrb_medium_rows_warp_reduce_kernelILj256ELj32EliffffEEvbT1_lPT2_S3_jNS_24const_host_device_scalarIT6_EEPKS1_PKS2_PKT3_PKT4_S6_PT5_21rocsparse_index_base_b
; %bb.0:
	s_load_dwordx2 s[8:9], s[4:5], 0x68
	s_load_dwordx2 s[10:11], s[4:5], 0x30
	;; [unrolled: 1-line block ×3, first 2 shown]
	s_waitcnt lgkmcnt(0)
	s_bitcmp1_b32 s9, 0
	s_cselect_b64 s[12:13], -1, 0
	s_xor_b64 s[0:1], s[12:13], -1
	s_and_b64 vcc, exec, s[12:13]
	s_cbranch_vccnz .LBB16_2
; %bb.1:
	s_load_dword s10, s[10:11], 0x0
.LBB16_2:
	s_andn2_b64 vcc, exec, s[0:1]
	s_cbranch_vccnz .LBB16_4
; %bb.3:
	s_load_dword s2, s[2:3], 0x0
.LBB16_4:
	s_waitcnt lgkmcnt(0)
	v_cmp_neq_f32_e64 s[0:1], s10, 0
	v_cmp_neq_f32_e64 s[12:13], s2, 1.0
	s_or_b64 s[0:1], s[0:1], s[12:13]
	s_andn2_b64 vcc, exec, s[0:1]
	s_cbranch_vccnz .LBB16_14
; %bb.5:
	s_load_dwordx2 s[0:1], s[4:5], 0x10
	v_lshrrev_b32_e32 v1, 5, v0
	v_lshl_or_b32 v2, s6, 3, v1
	v_ashrrev_i32_e32 v3, 31, v2
	s_waitcnt lgkmcnt(0)
	v_cmp_gt_i64_e32 vcc, s[0:1], v[2:3]
	s_and_saveexec_b64 s[0:1], vcc
	s_cbranch_execz .LBB16_14
; %bb.6:
	s_load_dword s0, s[4:5], 0x28
	s_load_dwordx4 s[12:15], s[4:5], 0x18
	s_mov_b32 s1, 0
	v_and_b32_e32 v10, 31, v0
	v_mov_b32_e32 v11, 0
	s_waitcnt lgkmcnt(0)
	s_lshl_b64 s[0:1], s[0:1], 2
	s_add_u32 s0, s14, s0
	s_addc_u32 s1, s15, s1
	s_load_dword s0, s[0:1], 0x0
	v_mov_b32_e32 v1, s13
	s_load_dwordx2 s[6:7], s[4:5], 0x60
	s_waitcnt lgkmcnt(0)
	v_add_u32_e32 v2, s0, v2
	v_ashrrev_i32_e32 v3, 31, v2
	v_lshlrev_b64 v[2:3], 2, v[2:3]
	v_add_co_u32_e32 v2, vcc, s12, v2
	v_addc_co_u32_e32 v3, vcc, v1, v3, vcc
	global_load_dword v2, v[2:3], off
	s_load_dwordx2 s[0:1], s[4:5], 0x38
	s_waitcnt lgkmcnt(0)
	v_mov_b32_e32 v1, s1
	s_waitcnt vmcnt(0)
	v_ashrrev_i32_e32 v3, 31, v2
	v_lshlrev_b64 v[4:5], 3, v[2:3]
	v_add_co_u32_e32 v4, vcc, s0, v4
	v_addc_co_u32_e32 v5, vcc, v1, v5, vcc
	global_load_dwordx4 v[4:7], v[4:5], off
	v_subrev_co_u32_e32 v8, vcc, s8, v10
	v_subb_co_u32_e64 v9, s[0:1], 0, 0, vcc
	s_waitcnt vmcnt(0)
	v_subrev_co_u32_e32 v0, vcc, s8, v6
	v_subbrev_co_u32_e32 v1, vcc, 0, v7, vcc
	v_add_co_u32_e32 v4, vcc, v4, v8
	v_addc_co_u32_e32 v5, vcc, v5, v9, vcc
	v_cmp_lt_i64_e32 vcc, v[4:5], v[0:1]
	s_and_saveexec_b64 s[12:13], vcc
	s_cbranch_execz .LBB16_10
; %bb.7:
	s_load_dwordx4 s[16:19], s[4:5], 0x40
	s_load_dwordx2 s[14:15], s[4:5], 0x50
	v_lshlrev_b64 v[8:9], 2, v[4:5]
	s_mov_b64 s[4:5], 0
	s_waitcnt lgkmcnt(0)
	v_mov_b32_e32 v7, s19
	v_add_co_u32_e32 v6, vcc, s18, v8
	v_addc_co_u32_e32 v7, vcc, v7, v9, vcc
	v_mov_b32_e32 v11, s17
	v_add_co_u32_e32 v8, vcc, s16, v8
	v_addc_co_u32_e32 v9, vcc, v11, v9, vcc
	v_mov_b32_e32 v11, 0
	v_mov_b32_e32 v12, s15
.LBB16_8:                               ; =>This Inner Loop Header: Depth=1
	global_load_dword v13, v[8:9], off
	global_load_dword v16, v[6:7], off
	s_waitcnt vmcnt(1)
	v_subrev_u32_e32 v14, s8, v13
	v_ashrrev_i32_e32 v15, 31, v14
	v_lshlrev_b64 v[14:15], 2, v[14:15]
	v_add_co_u32_e32 v14, vcc, s14, v14
	v_addc_co_u32_e32 v15, vcc, v12, v15, vcc
	global_load_dword v13, v[14:15], off
	v_add_co_u32_e32 v4, vcc, 32, v4
	v_addc_co_u32_e32 v5, vcc, 0, v5, vcc
	v_add_co_u32_e32 v6, vcc, 0x80, v6
	v_addc_co_u32_e32 v7, vcc, 0, v7, vcc
	v_add_co_u32_e32 v8, vcc, 0x80, v8
	v_cmp_ge_i64_e64 s[0:1], v[4:5], v[0:1]
	s_waitcnt vmcnt(1)
	v_mul_f32_e32 v14, s10, v16
	v_addc_co_u32_e32 v9, vcc, 0, v9, vcc
	s_or_b64 s[4:5], s[0:1], s[4:5]
	s_waitcnt vmcnt(0)
	v_fmac_f32_e32 v11, v14, v13
	s_andn2_b64 exec, exec, s[4:5]
	s_cbranch_execnz .LBB16_8
; %bb.9:
	s_or_b64 exec, exec, s[4:5]
.LBB16_10:
	s_or_b64 exec, exec, s[12:13]
	v_mov_b32_dpp v0, v11 row_shr:1 row_mask:0xf bank_mask:0xf
	v_add_f32_e32 v0, v11, v0
	v_cmp_eq_u32_e32 vcc, 31, v10
	s_nop 0
	v_mov_b32_dpp v1, v0 row_shr:2 row_mask:0xf bank_mask:0xf
	v_add_f32_e32 v0, v0, v1
	s_nop 1
	v_mov_b32_dpp v1, v0 row_shr:4 row_mask:0xf bank_mask:0xe
	v_add_f32_e32 v0, v0, v1
	;; [unrolled: 3-line block ×3, first 2 shown]
	s_nop 1
	v_mov_b32_dpp v1, v0 row_bcast:15 row_mask:0xa bank_mask:0xf
	s_and_b64 exec, exec, vcc
	s_cbranch_execz .LBB16_14
; %bb.11:
	v_cmp_eq_f32_e64 s[0:1], s2, 0
	v_add_f32_e32 v4, v0, v1
	s_and_b64 vcc, exec, s[0:1]
	v_lshlrev_b64 v[0:1], 2, v[2:3]
	s_cbranch_vccnz .LBB16_13
; %bb.12:
	v_mov_b32_e32 v3, s7
	v_add_co_u32_e32 v2, vcc, s6, v0
	v_addc_co_u32_e32 v3, vcc, v3, v1, vcc
	global_load_dword v2, v[2:3], off
	s_waitcnt vmcnt(0)
	v_fmac_f32_e32 v4, s2, v2
.LBB16_13:
	v_mov_b32_e32 v2, s7
	v_add_co_u32_e32 v0, vcc, s6, v0
	v_addc_co_u32_e32 v1, vcc, v2, v1, vcc
	global_store_dword v[0:1], v4, off
.LBB16_14:
	s_endpgm
	.section	.rodata,"a",@progbits
	.p2align	6, 0x0
	.amdhsa_kernel _ZN9rocsparseL41csrmvn_lrb_medium_rows_warp_reduce_kernelILj256ELj32EliffffEEvbT1_lPT2_S3_jNS_24const_host_device_scalarIT6_EEPKS1_PKS2_PKT3_PKT4_S6_PT5_21rocsparse_index_base_b
		.amdhsa_group_segment_fixed_size 0
		.amdhsa_private_segment_fixed_size 0
		.amdhsa_kernarg_size 112
		.amdhsa_user_sgpr_count 6
		.amdhsa_user_sgpr_private_segment_buffer 1
		.amdhsa_user_sgpr_dispatch_ptr 0
		.amdhsa_user_sgpr_queue_ptr 0
		.amdhsa_user_sgpr_kernarg_segment_ptr 1
		.amdhsa_user_sgpr_dispatch_id 0
		.amdhsa_user_sgpr_flat_scratch_init 0
		.amdhsa_user_sgpr_kernarg_preload_length 0
		.amdhsa_user_sgpr_kernarg_preload_offset 0
		.amdhsa_user_sgpr_private_segment_size 0
		.amdhsa_uses_dynamic_stack 0
		.amdhsa_system_sgpr_private_segment_wavefront_offset 0
		.amdhsa_system_sgpr_workgroup_id_x 1
		.amdhsa_system_sgpr_workgroup_id_y 0
		.amdhsa_system_sgpr_workgroup_id_z 0
		.amdhsa_system_sgpr_workgroup_info 0
		.amdhsa_system_vgpr_workitem_id 0
		.amdhsa_next_free_vgpr 17
		.amdhsa_next_free_sgpr 20
		.amdhsa_accum_offset 20
		.amdhsa_reserve_vcc 1
		.amdhsa_reserve_flat_scratch 0
		.amdhsa_float_round_mode_32 0
		.amdhsa_float_round_mode_16_64 0
		.amdhsa_float_denorm_mode_32 3
		.amdhsa_float_denorm_mode_16_64 3
		.amdhsa_dx10_clamp 1
		.amdhsa_ieee_mode 1
		.amdhsa_fp16_overflow 0
		.amdhsa_tg_split 0
		.amdhsa_exception_fp_ieee_invalid_op 0
		.amdhsa_exception_fp_denorm_src 0
		.amdhsa_exception_fp_ieee_div_zero 0
		.amdhsa_exception_fp_ieee_overflow 0
		.amdhsa_exception_fp_ieee_underflow 0
		.amdhsa_exception_fp_ieee_inexact 0
		.amdhsa_exception_int_div_zero 0
	.end_amdhsa_kernel
	.section	.text._ZN9rocsparseL41csrmvn_lrb_medium_rows_warp_reduce_kernelILj256ELj32EliffffEEvbT1_lPT2_S3_jNS_24const_host_device_scalarIT6_EEPKS1_PKS2_PKT3_PKT4_S6_PT5_21rocsparse_index_base_b,"axG",@progbits,_ZN9rocsparseL41csrmvn_lrb_medium_rows_warp_reduce_kernelILj256ELj32EliffffEEvbT1_lPT2_S3_jNS_24const_host_device_scalarIT6_EEPKS1_PKS2_PKT3_PKT4_S6_PT5_21rocsparse_index_base_b,comdat
.Lfunc_end16:
	.size	_ZN9rocsparseL41csrmvn_lrb_medium_rows_warp_reduce_kernelILj256ELj32EliffffEEvbT1_lPT2_S3_jNS_24const_host_device_scalarIT6_EEPKS1_PKS2_PKT3_PKT4_S6_PT5_21rocsparse_index_base_b, .Lfunc_end16-_ZN9rocsparseL41csrmvn_lrb_medium_rows_warp_reduce_kernelILj256ELj32EliffffEEvbT1_lPT2_S3_jNS_24const_host_device_scalarIT6_EEPKS1_PKS2_PKT3_PKT4_S6_PT5_21rocsparse_index_base_b
                                        ; -- End function
	.section	.AMDGPU.csdata,"",@progbits
; Kernel info:
; codeLenInByte = 692
; NumSgprs: 24
; NumVgprs: 17
; NumAgprs: 0
; TotalNumVgprs: 17
; ScratchSize: 0
; MemoryBound: 0
; FloatMode: 240
; IeeeMode: 1
; LDSByteSize: 0 bytes/workgroup (compile time only)
; SGPRBlocks: 2
; VGPRBlocks: 2
; NumSGPRsForWavesPerEU: 24
; NumVGPRsForWavesPerEU: 17
; AccumOffset: 20
; Occupancy: 8
; WaveLimiterHint : 1
; COMPUTE_PGM_RSRC2:SCRATCH_EN: 0
; COMPUTE_PGM_RSRC2:USER_SGPR: 6
; COMPUTE_PGM_RSRC2:TRAP_HANDLER: 0
; COMPUTE_PGM_RSRC2:TGID_X_EN: 1
; COMPUTE_PGM_RSRC2:TGID_Y_EN: 0
; COMPUTE_PGM_RSRC2:TGID_Z_EN: 0
; COMPUTE_PGM_RSRC2:TIDIG_COMP_CNT: 0
; COMPUTE_PGM_RSRC3_GFX90A:ACCUM_OFFSET: 4
; COMPUTE_PGM_RSRC3_GFX90A:TG_SPLIT: 0
	.section	.text._ZN9rocsparseL41csrmvn_lrb_medium_rows_warp_reduce_kernelILj256ELj64EliffffEEvbT1_lPT2_S3_jNS_24const_host_device_scalarIT6_EEPKS1_PKS2_PKT3_PKT4_S6_PT5_21rocsparse_index_base_b,"axG",@progbits,_ZN9rocsparseL41csrmvn_lrb_medium_rows_warp_reduce_kernelILj256ELj64EliffffEEvbT1_lPT2_S3_jNS_24const_host_device_scalarIT6_EEPKS1_PKS2_PKT3_PKT4_S6_PT5_21rocsparse_index_base_b,comdat
	.globl	_ZN9rocsparseL41csrmvn_lrb_medium_rows_warp_reduce_kernelILj256ELj64EliffffEEvbT1_lPT2_S3_jNS_24const_host_device_scalarIT6_EEPKS1_PKS2_PKT3_PKT4_S6_PT5_21rocsparse_index_base_b ; -- Begin function _ZN9rocsparseL41csrmvn_lrb_medium_rows_warp_reduce_kernelILj256ELj64EliffffEEvbT1_lPT2_S3_jNS_24const_host_device_scalarIT6_EEPKS1_PKS2_PKT3_PKT4_S6_PT5_21rocsparse_index_base_b
	.p2align	8
	.type	_ZN9rocsparseL41csrmvn_lrb_medium_rows_warp_reduce_kernelILj256ELj64EliffffEEvbT1_lPT2_S3_jNS_24const_host_device_scalarIT6_EEPKS1_PKS2_PKT3_PKT4_S6_PT5_21rocsparse_index_base_b,@function
_ZN9rocsparseL41csrmvn_lrb_medium_rows_warp_reduce_kernelILj256ELj64EliffffEEvbT1_lPT2_S3_jNS_24const_host_device_scalarIT6_EEPKS1_PKS2_PKT3_PKT4_S6_PT5_21rocsparse_index_base_b: ; @_ZN9rocsparseL41csrmvn_lrb_medium_rows_warp_reduce_kernelILj256ELj64EliffffEEvbT1_lPT2_S3_jNS_24const_host_device_scalarIT6_EEPKS1_PKS2_PKT3_PKT4_S6_PT5_21rocsparse_index_base_b
; %bb.0:
	s_load_dwordx2 s[8:9], s[4:5], 0x68
	s_load_dwordx2 s[10:11], s[4:5], 0x30
	;; [unrolled: 1-line block ×3, first 2 shown]
	s_waitcnt lgkmcnt(0)
	s_bitcmp1_b32 s9, 0
	s_cselect_b64 s[12:13], -1, 0
	s_xor_b64 s[0:1], s[12:13], -1
	s_and_b64 vcc, exec, s[12:13]
	s_cbranch_vccnz .LBB17_2
; %bb.1:
	s_load_dword s10, s[10:11], 0x0
.LBB17_2:
	s_andn2_b64 vcc, exec, s[0:1]
	s_cbranch_vccnz .LBB17_4
; %bb.3:
	s_load_dword s2, s[2:3], 0x0
.LBB17_4:
	s_waitcnt lgkmcnt(0)
	v_cmp_neq_f32_e64 s[0:1], s10, 0
	v_cmp_neq_f32_e64 s[12:13], s2, 1.0
	s_or_b64 s[0:1], s[0:1], s[12:13]
	s_andn2_b64 vcc, exec, s[0:1]
	s_cbranch_vccnz .LBB17_14
; %bb.5:
	s_load_dwordx2 s[0:1], s[4:5], 0x10
	v_lshrrev_b32_e32 v1, 6, v0
	v_lshl_or_b32 v2, s6, 2, v1
	v_ashrrev_i32_e32 v3, 31, v2
	s_waitcnt lgkmcnt(0)
	v_cmp_gt_i64_e32 vcc, s[0:1], v[2:3]
	s_and_saveexec_b64 s[0:1], vcc
	s_cbranch_execz .LBB17_14
; %bb.6:
	s_load_dword s0, s[4:5], 0x28
	s_load_dwordx4 s[12:15], s[4:5], 0x18
	s_mov_b32 s1, 0
	v_and_b32_e32 v10, 63, v0
	v_mov_b32_e32 v11, 0
	s_waitcnt lgkmcnt(0)
	s_lshl_b64 s[0:1], s[0:1], 2
	s_add_u32 s0, s14, s0
	s_addc_u32 s1, s15, s1
	s_load_dword s0, s[0:1], 0x0
	v_mov_b32_e32 v1, s13
	s_load_dwordx2 s[6:7], s[4:5], 0x60
	s_waitcnt lgkmcnt(0)
	v_add_u32_e32 v2, s0, v2
	v_ashrrev_i32_e32 v3, 31, v2
	v_lshlrev_b64 v[2:3], 2, v[2:3]
	v_add_co_u32_e32 v2, vcc, s12, v2
	v_addc_co_u32_e32 v3, vcc, v1, v3, vcc
	global_load_dword v2, v[2:3], off
	s_load_dwordx2 s[0:1], s[4:5], 0x38
	s_waitcnt lgkmcnt(0)
	v_mov_b32_e32 v1, s1
	s_waitcnt vmcnt(0)
	v_ashrrev_i32_e32 v3, 31, v2
	v_lshlrev_b64 v[4:5], 3, v[2:3]
	v_add_co_u32_e32 v4, vcc, s0, v4
	v_addc_co_u32_e32 v5, vcc, v1, v5, vcc
	global_load_dwordx4 v[4:7], v[4:5], off
	v_subrev_co_u32_e32 v8, vcc, s8, v10
	v_subb_co_u32_e64 v9, s[0:1], 0, 0, vcc
	s_waitcnt vmcnt(0)
	v_subrev_co_u32_e32 v0, vcc, s8, v6
	v_subbrev_co_u32_e32 v1, vcc, 0, v7, vcc
	v_add_co_u32_e32 v4, vcc, v4, v8
	v_addc_co_u32_e32 v5, vcc, v5, v9, vcc
	v_cmp_lt_i64_e32 vcc, v[4:5], v[0:1]
	s_and_saveexec_b64 s[12:13], vcc
	s_cbranch_execz .LBB17_10
; %bb.7:
	s_load_dwordx4 s[16:19], s[4:5], 0x40
	s_load_dwordx2 s[14:15], s[4:5], 0x50
	v_lshlrev_b64 v[8:9], 2, v[4:5]
	s_mov_b64 s[4:5], 0
	s_waitcnt lgkmcnt(0)
	v_mov_b32_e32 v7, s19
	v_add_co_u32_e32 v6, vcc, s18, v8
	v_addc_co_u32_e32 v7, vcc, v7, v9, vcc
	v_mov_b32_e32 v11, s17
	v_add_co_u32_e32 v8, vcc, s16, v8
	v_addc_co_u32_e32 v9, vcc, v11, v9, vcc
	v_mov_b32_e32 v11, 0
	v_mov_b32_e32 v12, s15
.LBB17_8:                               ; =>This Inner Loop Header: Depth=1
	global_load_dword v13, v[8:9], off
	global_load_dword v16, v[6:7], off
	s_waitcnt vmcnt(1)
	v_subrev_u32_e32 v14, s8, v13
	v_ashrrev_i32_e32 v15, 31, v14
	v_lshlrev_b64 v[14:15], 2, v[14:15]
	v_add_co_u32_e32 v14, vcc, s14, v14
	v_addc_co_u32_e32 v15, vcc, v12, v15, vcc
	global_load_dword v13, v[14:15], off
	v_add_co_u32_e32 v4, vcc, 64, v4
	v_addc_co_u32_e32 v5, vcc, 0, v5, vcc
	v_add_co_u32_e32 v6, vcc, 0x100, v6
	v_addc_co_u32_e32 v7, vcc, 0, v7, vcc
	v_add_co_u32_e32 v8, vcc, 0x100, v8
	v_cmp_ge_i64_e64 s[0:1], v[4:5], v[0:1]
	s_waitcnt vmcnt(1)
	v_mul_f32_e32 v14, s10, v16
	v_addc_co_u32_e32 v9, vcc, 0, v9, vcc
	s_or_b64 s[4:5], s[0:1], s[4:5]
	s_waitcnt vmcnt(0)
	v_fmac_f32_e32 v11, v14, v13
	s_andn2_b64 exec, exec, s[4:5]
	s_cbranch_execnz .LBB17_8
; %bb.9:
	s_or_b64 exec, exec, s[4:5]
.LBB17_10:
	s_or_b64 exec, exec, s[12:13]
	v_mov_b32_dpp v0, v11 row_shr:1 row_mask:0xf bank_mask:0xf
	v_add_f32_e32 v0, v11, v0
	v_cmp_eq_u32_e32 vcc, 63, v10
	s_nop 0
	v_mov_b32_dpp v1, v0 row_shr:2 row_mask:0xf bank_mask:0xf
	v_add_f32_e32 v0, v0, v1
	s_nop 1
	v_mov_b32_dpp v1, v0 row_shr:4 row_mask:0xf bank_mask:0xe
	v_add_f32_e32 v0, v0, v1
	;; [unrolled: 3-line block ×3, first 2 shown]
	s_nop 1
	v_mov_b32_dpp v1, v0 row_bcast:15 row_mask:0xa bank_mask:0xf
	v_add_f32_e32 v0, v0, v1
	s_nop 1
	v_mov_b32_dpp v1, v0 row_bcast:31 row_mask:0xc bank_mask:0xf
	s_and_b64 exec, exec, vcc
	s_cbranch_execz .LBB17_14
; %bb.11:
	v_cmp_eq_f32_e64 s[0:1], s2, 0
	v_add_f32_e32 v4, v0, v1
	s_and_b64 vcc, exec, s[0:1]
	v_lshlrev_b64 v[0:1], 2, v[2:3]
	s_cbranch_vccnz .LBB17_13
; %bb.12:
	v_mov_b32_e32 v3, s7
	v_add_co_u32_e32 v2, vcc, s6, v0
	v_addc_co_u32_e32 v3, vcc, v3, v1, vcc
	global_load_dword v2, v[2:3], off
	s_waitcnt vmcnt(0)
	v_fmac_f32_e32 v4, s2, v2
.LBB17_13:
	v_mov_b32_e32 v2, s7
	v_add_co_u32_e32 v0, vcc, s6, v0
	v_addc_co_u32_e32 v1, vcc, v2, v1, vcc
	global_store_dword v[0:1], v4, off
.LBB17_14:
	s_endpgm
	.section	.rodata,"a",@progbits
	.p2align	6, 0x0
	.amdhsa_kernel _ZN9rocsparseL41csrmvn_lrb_medium_rows_warp_reduce_kernelILj256ELj64EliffffEEvbT1_lPT2_S3_jNS_24const_host_device_scalarIT6_EEPKS1_PKS2_PKT3_PKT4_S6_PT5_21rocsparse_index_base_b
		.amdhsa_group_segment_fixed_size 0
		.amdhsa_private_segment_fixed_size 0
		.amdhsa_kernarg_size 112
		.amdhsa_user_sgpr_count 6
		.amdhsa_user_sgpr_private_segment_buffer 1
		.amdhsa_user_sgpr_dispatch_ptr 0
		.amdhsa_user_sgpr_queue_ptr 0
		.amdhsa_user_sgpr_kernarg_segment_ptr 1
		.amdhsa_user_sgpr_dispatch_id 0
		.amdhsa_user_sgpr_flat_scratch_init 0
		.amdhsa_user_sgpr_kernarg_preload_length 0
		.amdhsa_user_sgpr_kernarg_preload_offset 0
		.amdhsa_user_sgpr_private_segment_size 0
		.amdhsa_uses_dynamic_stack 0
		.amdhsa_system_sgpr_private_segment_wavefront_offset 0
		.amdhsa_system_sgpr_workgroup_id_x 1
		.amdhsa_system_sgpr_workgroup_id_y 0
		.amdhsa_system_sgpr_workgroup_id_z 0
		.amdhsa_system_sgpr_workgroup_info 0
		.amdhsa_system_vgpr_workitem_id 0
		.amdhsa_next_free_vgpr 17
		.amdhsa_next_free_sgpr 20
		.amdhsa_accum_offset 20
		.amdhsa_reserve_vcc 1
		.amdhsa_reserve_flat_scratch 0
		.amdhsa_float_round_mode_32 0
		.amdhsa_float_round_mode_16_64 0
		.amdhsa_float_denorm_mode_32 3
		.amdhsa_float_denorm_mode_16_64 3
		.amdhsa_dx10_clamp 1
		.amdhsa_ieee_mode 1
		.amdhsa_fp16_overflow 0
		.amdhsa_tg_split 0
		.amdhsa_exception_fp_ieee_invalid_op 0
		.amdhsa_exception_fp_denorm_src 0
		.amdhsa_exception_fp_ieee_div_zero 0
		.amdhsa_exception_fp_ieee_overflow 0
		.amdhsa_exception_fp_ieee_underflow 0
		.amdhsa_exception_fp_ieee_inexact 0
		.amdhsa_exception_int_div_zero 0
	.end_amdhsa_kernel
	.section	.text._ZN9rocsparseL41csrmvn_lrb_medium_rows_warp_reduce_kernelILj256ELj64EliffffEEvbT1_lPT2_S3_jNS_24const_host_device_scalarIT6_EEPKS1_PKS2_PKT3_PKT4_S6_PT5_21rocsparse_index_base_b,"axG",@progbits,_ZN9rocsparseL41csrmvn_lrb_medium_rows_warp_reduce_kernelILj256ELj64EliffffEEvbT1_lPT2_S3_jNS_24const_host_device_scalarIT6_EEPKS1_PKS2_PKT3_PKT4_S6_PT5_21rocsparse_index_base_b,comdat
.Lfunc_end17:
	.size	_ZN9rocsparseL41csrmvn_lrb_medium_rows_warp_reduce_kernelILj256ELj64EliffffEEvbT1_lPT2_S3_jNS_24const_host_device_scalarIT6_EEPKS1_PKS2_PKT3_PKT4_S6_PT5_21rocsparse_index_base_b, .Lfunc_end17-_ZN9rocsparseL41csrmvn_lrb_medium_rows_warp_reduce_kernelILj256ELj64EliffffEEvbT1_lPT2_S3_jNS_24const_host_device_scalarIT6_EEPKS1_PKS2_PKT3_PKT4_S6_PT5_21rocsparse_index_base_b
                                        ; -- End function
	.section	.AMDGPU.csdata,"",@progbits
; Kernel info:
; codeLenInByte = 708
; NumSgprs: 24
; NumVgprs: 17
; NumAgprs: 0
; TotalNumVgprs: 17
; ScratchSize: 0
; MemoryBound: 0
; FloatMode: 240
; IeeeMode: 1
; LDSByteSize: 0 bytes/workgroup (compile time only)
; SGPRBlocks: 2
; VGPRBlocks: 2
; NumSGPRsForWavesPerEU: 24
; NumVGPRsForWavesPerEU: 17
; AccumOffset: 20
; Occupancy: 8
; WaveLimiterHint : 1
; COMPUTE_PGM_RSRC2:SCRATCH_EN: 0
; COMPUTE_PGM_RSRC2:USER_SGPR: 6
; COMPUTE_PGM_RSRC2:TRAP_HANDLER: 0
; COMPUTE_PGM_RSRC2:TGID_X_EN: 1
; COMPUTE_PGM_RSRC2:TGID_Y_EN: 0
; COMPUTE_PGM_RSRC2:TGID_Z_EN: 0
; COMPUTE_PGM_RSRC2:TIDIG_COMP_CNT: 0
; COMPUTE_PGM_RSRC3_GFX90A:ACCUM_OFFSET: 4
; COMPUTE_PGM_RSRC3_GFX90A:TG_SPLIT: 0
	.section	.text._ZN9rocsparseL29csrmvn_lrb_medium_rows_kernelILj256EliffffEEvbT0_PT1_S3_jNS_24const_host_device_scalarIT5_EEPKS1_PKS2_PKT2_PKT3_S6_PT4_21rocsparse_index_base_b,"axG",@progbits,_ZN9rocsparseL29csrmvn_lrb_medium_rows_kernelILj256EliffffEEvbT0_PT1_S3_jNS_24const_host_device_scalarIT5_EEPKS1_PKS2_PKT2_PKT3_S6_PT4_21rocsparse_index_base_b,comdat
	.globl	_ZN9rocsparseL29csrmvn_lrb_medium_rows_kernelILj256EliffffEEvbT0_PT1_S3_jNS_24const_host_device_scalarIT5_EEPKS1_PKS2_PKT2_PKT3_S6_PT4_21rocsparse_index_base_b ; -- Begin function _ZN9rocsparseL29csrmvn_lrb_medium_rows_kernelILj256EliffffEEvbT0_PT1_S3_jNS_24const_host_device_scalarIT5_EEPKS1_PKS2_PKT2_PKT3_S6_PT4_21rocsparse_index_base_b
	.p2align	8
	.type	_ZN9rocsparseL29csrmvn_lrb_medium_rows_kernelILj256EliffffEEvbT0_PT1_S3_jNS_24const_host_device_scalarIT5_EEPKS1_PKS2_PKT2_PKT3_S6_PT4_21rocsparse_index_base_b,@function
_ZN9rocsparseL29csrmvn_lrb_medium_rows_kernelILj256EliffffEEvbT0_PT1_S3_jNS_24const_host_device_scalarIT5_EEPKS1_PKS2_PKT2_PKT3_S6_PT4_21rocsparse_index_base_b: ; @_ZN9rocsparseL29csrmvn_lrb_medium_rows_kernelILj256EliffffEEvbT0_PT1_S3_jNS_24const_host_device_scalarIT5_EEPKS1_PKS2_PKT2_PKT3_S6_PT4_21rocsparse_index_base_b
; %bb.0:
	s_load_dwordx2 s[10:11], s[4:5], 0x60
	s_load_dwordx2 s[12:13], s[4:5], 0x28
	;; [unrolled: 1-line block ×3, first 2 shown]
	s_waitcnt lgkmcnt(0)
	s_bitcmp1_b32 s11, 0
	s_cselect_b64 s[8:9], -1, 0
	s_xor_b64 s[0:1], s[8:9], -1
	s_and_b64 vcc, exec, s[8:9]
	s_cbranch_vccnz .LBB18_2
; %bb.1:
	s_load_dword s12, s[12:13], 0x0
.LBB18_2:
	s_andn2_b64 vcc, exec, s[0:1]
	s_cbranch_vccnz .LBB18_4
; %bb.3:
	s_load_dword s2, s[2:3], 0x0
.LBB18_4:
	s_waitcnt lgkmcnt(0)
	v_cmp_neq_f32_e64 s[0:1], s12, 0
	v_cmp_neq_f32_e64 s[8:9], s2, 1.0
	s_or_b64 s[0:1], s[0:1], s[8:9]
	s_andn2_b64 vcc, exec, s[0:1]
	s_mov_b32 s1, 0
	s_cbranch_vccnz .LBB18_29
; %bb.5:
	s_load_dword s0, s[4:5], 0x20
	s_load_dwordx4 s[16:19], s[4:5], 0x10
	v_subrev_co_u32_e32 v1, vcc, s10, v0
	v_mov_b32_e32 v8, 0
	s_waitcnt lgkmcnt(0)
	s_lshl_b64 s[0:1], s[0:1], 2
	s_add_u32 s0, s18, s0
	s_addc_u32 s1, s19, s1
	s_load_dword s0, s[0:1], 0x0
	s_waitcnt lgkmcnt(0)
	s_add_i32 s0, s0, s6
	s_ashr_i32 s1, s0, 31
	s_lshl_b64 s[0:1], s[0:1], 2
	s_add_u32 s0, s16, s0
	s_addc_u32 s1, s17, s1
	s_load_dword s8, s[0:1], 0x0
	s_load_dwordx2 s[14:15], s[4:5], 0x30
	s_load_dwordx2 s[6:7], s[4:5], 0x58
	s_waitcnt lgkmcnt(0)
	s_ashr_i32 s9, s8, 31
	s_lshl_b64 s[0:1], s[8:9], 3
	s_add_u32 s0, s14, s0
	s_addc_u32 s1, s15, s1
	s_load_dwordx4 s[16:19], s[0:1], 0x0
	v_subb_co_u32_e64 v3, s[0:1], 0, 0, vcc
	s_waitcnt lgkmcnt(0)
	s_sub_u32 s14, s18, s10
	v_mov_b32_e32 v4, s17
	v_add_co_u32_e32 v2, vcc, s16, v1
	s_subb_u32 s15, s19, 0
	v_addc_co_u32_e32 v3, vcc, v4, v3, vcc
	v_cmp_gt_i64_e32 vcc, s[14:15], v[2:3]
	s_and_saveexec_b64 s[16:17], vcc
	s_cbranch_execz .LBB18_9
; %bb.6:
	s_load_dwordx4 s[20:23], s[4:5], 0x38
	s_load_dwordx2 s[18:19], s[4:5], 0x48
	v_lshlrev_b64 v[6:7], 2, v[2:3]
	s_mov_b64 s[4:5], 0
	v_mov_b32_e32 v8, 0
	s_waitcnt lgkmcnt(0)
	v_mov_b32_e32 v1, s23
	v_add_co_u32_e32 v4, vcc, s22, v6
	v_addc_co_u32_e32 v5, vcc, v1, v7, vcc
	v_mov_b32_e32 v1, s21
	v_add_co_u32_e32 v6, vcc, s20, v6
	v_addc_co_u32_e32 v7, vcc, v1, v7, vcc
	v_mov_b32_e32 v1, s19
	s_movk_i32 s3, 0x100
.LBB18_7:                               ; =>This Inner Loop Header: Depth=1
	global_load_dword v9, v[6:7], off
	global_load_dword v12, v[4:5], off
	s_waitcnt vmcnt(1)
	v_subrev_u32_e32 v10, s10, v9
	v_ashrrev_i32_e32 v11, 31, v10
	v_lshlrev_b64 v[10:11], 2, v[10:11]
	v_add_co_u32_e32 v10, vcc, s18, v10
	v_addc_co_u32_e32 v11, vcc, v1, v11, vcc
	global_load_dword v9, v[10:11], off
	v_add_co_u32_e32 v2, vcc, s3, v2
	v_addc_co_u32_e32 v3, vcc, 0, v3, vcc
	v_add_co_u32_e32 v4, vcc, 0x400, v4
	v_addc_co_u32_e32 v5, vcc, 0, v5, vcc
	v_add_co_u32_e32 v6, vcc, 0x400, v6
	v_cmp_le_i64_e64 s[0:1], s[14:15], v[2:3]
	s_waitcnt vmcnt(1)
	v_mul_f32_e32 v10, s12, v12
	v_addc_co_u32_e32 v7, vcc, 0, v7, vcc
	s_or_b64 s[4:5], s[0:1], s[4:5]
	s_waitcnt vmcnt(0)
	v_fmac_f32_e32 v8, v10, v9
	s_andn2_b64 exec, exec, s[4:5]
	s_cbranch_execnz .LBB18_7
; %bb.8:
	s_or_b64 exec, exec, s[4:5]
.LBB18_9:
	s_or_b64 exec, exec, s[16:17]
	s_movk_i32 s0, 0x80
	v_lshlrev_b32_e32 v1, 2, v0
	v_cmp_gt_u32_e32 vcc, s0, v0
	ds_write_b32 v1, v8
	s_waitcnt lgkmcnt(0)
	s_barrier
	s_and_saveexec_b64 s[0:1], vcc
	s_cbranch_execz .LBB18_11
; %bb.10:
	ds_read2st64_b32 v[2:3], v1 offset1:2
	s_waitcnt lgkmcnt(0)
	v_add_f32_e32 v2, v2, v3
	ds_write_b32 v1, v2
.LBB18_11:
	s_or_b64 exec, exec, s[0:1]
	v_cmp_gt_u32_e32 vcc, 64, v0
	s_waitcnt lgkmcnt(0)
	s_barrier
	s_and_saveexec_b64 s[0:1], vcc
	s_cbranch_execz .LBB18_13
; %bb.12:
	ds_read2st64_b32 v[2:3], v1 offset1:1
	s_waitcnt lgkmcnt(0)
	v_add_f32_e32 v2, v2, v3
	ds_write_b32 v1, v2
.LBB18_13:
	s_or_b64 exec, exec, s[0:1]
	v_cmp_gt_u32_e32 vcc, 32, v0
	s_waitcnt lgkmcnt(0)
	s_barrier
	s_and_saveexec_b64 s[0:1], vcc
	s_cbranch_execz .LBB18_15
; %bb.14:
	ds_read2_b32 v[2:3], v1 offset1:32
	s_waitcnt lgkmcnt(0)
	v_add_f32_e32 v2, v2, v3
	ds_write_b32 v1, v2
.LBB18_15:
	s_or_b64 exec, exec, s[0:1]
	v_cmp_gt_u32_e32 vcc, 16, v0
	s_waitcnt lgkmcnt(0)
	s_barrier
	s_and_saveexec_b64 s[0:1], vcc
	s_cbranch_execz .LBB18_17
; %bb.16:
	ds_read2_b32 v[2:3], v1 offset1:16
	s_waitcnt lgkmcnt(0)
	v_add_f32_e32 v2, v2, v3
	ds_write_b32 v1, v2
.LBB18_17:
	;; [unrolled: 12-line block ×5, first 2 shown]
	s_or_b64 exec, exec, s[0:1]
	v_cmp_eq_u32_e32 vcc, 0, v0
	s_waitcnt lgkmcnt(0)
	s_barrier
	s_and_saveexec_b64 s[0:1], vcc
	s_cbranch_execz .LBB18_25
; %bb.24:
	v_mov_b32_e32 v2, 0
	ds_read_b64 v[0:1], v2
	s_waitcnt lgkmcnt(0)
	v_add_f32_e32 v0, v0, v1
	ds_write_b32 v2, v0
.LBB18_25:
	s_or_b64 exec, exec, s[0:1]
	s_waitcnt lgkmcnt(0)
	s_barrier
	s_and_saveexec_b64 s[0:1], vcc
	s_cbranch_execz .LBB18_29
; %bb.26:
	v_mov_b32_e32 v0, 0
	ds_read_b32 v1, v0
	v_cmp_eq_f32_e64 s[0:1], s2, 0
	s_and_b64 vcc, exec, s[0:1]
	s_cbranch_vccnz .LBB18_28
; %bb.27:
	s_lshl_b64 s[0:1], s[8:9], 2
	s_add_u32 s0, s6, s0
	s_addc_u32 s1, s7, s1
	s_load_dword s0, s[0:1], 0x0
	s_waitcnt lgkmcnt(0)
	v_mov_b32_e32 v2, s0
	v_fmac_f32_e32 v1, s2, v2
.LBB18_28:
	s_lshl_b64 s[0:1], s[8:9], 2
	s_add_u32 s0, s6, s0
	s_addc_u32 s1, s7, s1
	s_waitcnt lgkmcnt(0)
	global_store_dword v0, v1, s[0:1]
.LBB18_29:
	s_endpgm
	.section	.rodata,"a",@progbits
	.p2align	6, 0x0
	.amdhsa_kernel _ZN9rocsparseL29csrmvn_lrb_medium_rows_kernelILj256EliffffEEvbT0_PT1_S3_jNS_24const_host_device_scalarIT5_EEPKS1_PKS2_PKT2_PKT3_S6_PT4_21rocsparse_index_base_b
		.amdhsa_group_segment_fixed_size 1024
		.amdhsa_private_segment_fixed_size 0
		.amdhsa_kernarg_size 104
		.amdhsa_user_sgpr_count 6
		.amdhsa_user_sgpr_private_segment_buffer 1
		.amdhsa_user_sgpr_dispatch_ptr 0
		.amdhsa_user_sgpr_queue_ptr 0
		.amdhsa_user_sgpr_kernarg_segment_ptr 1
		.amdhsa_user_sgpr_dispatch_id 0
		.amdhsa_user_sgpr_flat_scratch_init 0
		.amdhsa_user_sgpr_kernarg_preload_length 0
		.amdhsa_user_sgpr_kernarg_preload_offset 0
		.amdhsa_user_sgpr_private_segment_size 0
		.amdhsa_uses_dynamic_stack 0
		.amdhsa_system_sgpr_private_segment_wavefront_offset 0
		.amdhsa_system_sgpr_workgroup_id_x 1
		.amdhsa_system_sgpr_workgroup_id_y 0
		.amdhsa_system_sgpr_workgroup_id_z 0
		.amdhsa_system_sgpr_workgroup_info 0
		.amdhsa_system_vgpr_workitem_id 0
		.amdhsa_next_free_vgpr 13
		.amdhsa_next_free_sgpr 24
		.amdhsa_accum_offset 16
		.amdhsa_reserve_vcc 1
		.amdhsa_reserve_flat_scratch 0
		.amdhsa_float_round_mode_32 0
		.amdhsa_float_round_mode_16_64 0
		.amdhsa_float_denorm_mode_32 3
		.amdhsa_float_denorm_mode_16_64 3
		.amdhsa_dx10_clamp 1
		.amdhsa_ieee_mode 1
		.amdhsa_fp16_overflow 0
		.amdhsa_tg_split 0
		.amdhsa_exception_fp_ieee_invalid_op 0
		.amdhsa_exception_fp_denorm_src 0
		.amdhsa_exception_fp_ieee_div_zero 0
		.amdhsa_exception_fp_ieee_overflow 0
		.amdhsa_exception_fp_ieee_underflow 0
		.amdhsa_exception_fp_ieee_inexact 0
		.amdhsa_exception_int_div_zero 0
	.end_amdhsa_kernel
	.section	.text._ZN9rocsparseL29csrmvn_lrb_medium_rows_kernelILj256EliffffEEvbT0_PT1_S3_jNS_24const_host_device_scalarIT5_EEPKS1_PKS2_PKT2_PKT3_S6_PT4_21rocsparse_index_base_b,"axG",@progbits,_ZN9rocsparseL29csrmvn_lrb_medium_rows_kernelILj256EliffffEEvbT0_PT1_S3_jNS_24const_host_device_scalarIT5_EEPKS1_PKS2_PKT2_PKT3_S6_PT4_21rocsparse_index_base_b,comdat
.Lfunc_end18:
	.size	_ZN9rocsparseL29csrmvn_lrb_medium_rows_kernelILj256EliffffEEvbT0_PT1_S3_jNS_24const_host_device_scalarIT5_EEPKS1_PKS2_PKT2_PKT3_S6_PT4_21rocsparse_index_base_b, .Lfunc_end18-_ZN9rocsparseL29csrmvn_lrb_medium_rows_kernelILj256EliffffEEvbT0_PT1_S3_jNS_24const_host_device_scalarIT5_EEPKS1_PKS2_PKT2_PKT3_S6_PT4_21rocsparse_index_base_b
                                        ; -- End function
	.section	.AMDGPU.csdata,"",@progbits
; Kernel info:
; codeLenInByte = 980
; NumSgprs: 28
; NumVgprs: 13
; NumAgprs: 0
; TotalNumVgprs: 13
; ScratchSize: 0
; MemoryBound: 0
; FloatMode: 240
; IeeeMode: 1
; LDSByteSize: 1024 bytes/workgroup (compile time only)
; SGPRBlocks: 3
; VGPRBlocks: 1
; NumSGPRsForWavesPerEU: 28
; NumVGPRsForWavesPerEU: 13
; AccumOffset: 16
; Occupancy: 8
; WaveLimiterHint : 1
; COMPUTE_PGM_RSRC2:SCRATCH_EN: 0
; COMPUTE_PGM_RSRC2:USER_SGPR: 6
; COMPUTE_PGM_RSRC2:TRAP_HANDLER: 0
; COMPUTE_PGM_RSRC2:TGID_X_EN: 1
; COMPUTE_PGM_RSRC2:TGID_Y_EN: 0
; COMPUTE_PGM_RSRC2:TGID_Z_EN: 0
; COMPUTE_PGM_RSRC2:TIDIG_COMP_CNT: 0
; COMPUTE_PGM_RSRC3_GFX90A:ACCUM_OFFSET: 3
; COMPUTE_PGM_RSRC3_GFX90A:TG_SPLIT: 0
	.section	.text._ZN9rocsparseL27csrmvn_lrb_long_rows_kernelIliffffEEvbT_PjPT0_S4_jNS_24const_host_device_scalarIT4_EEPKS1_PKS3_PKT1_PKT2_S7_PT3_21rocsparse_index_base_b,"axG",@progbits,_ZN9rocsparseL27csrmvn_lrb_long_rows_kernelIliffffEEvbT_PjPT0_S4_jNS_24const_host_device_scalarIT4_EEPKS1_PKS3_PKT1_PKT2_S7_PT3_21rocsparse_index_base_b,comdat
	.globl	_ZN9rocsparseL27csrmvn_lrb_long_rows_kernelIliffffEEvbT_PjPT0_S4_jNS_24const_host_device_scalarIT4_EEPKS1_PKS3_PKT1_PKT2_S7_PT3_21rocsparse_index_base_b ; -- Begin function _ZN9rocsparseL27csrmvn_lrb_long_rows_kernelIliffffEEvbT_PjPT0_S4_jNS_24const_host_device_scalarIT4_EEPKS1_PKS3_PKT1_PKT2_S7_PT3_21rocsparse_index_base_b
	.p2align	8
	.type	_ZN9rocsparseL27csrmvn_lrb_long_rows_kernelIliffffEEvbT_PjPT0_S4_jNS_24const_host_device_scalarIT4_EEPKS1_PKS3_PKT1_PKT2_S7_PT3_21rocsparse_index_base_b,@function
_ZN9rocsparseL27csrmvn_lrb_long_rows_kernelIliffffEEvbT_PjPT0_S4_jNS_24const_host_device_scalarIT4_EEPKS1_PKS3_PKT1_PKT2_S7_PT3_21rocsparse_index_base_b: ; @_ZN9rocsparseL27csrmvn_lrb_long_rows_kernelIliffffEEvbT_PjPT0_S4_jNS_24const_host_device_scalarIT4_EEPKS1_PKS3_PKT1_PKT2_S7_PT3_21rocsparse_index_base_b
; %bb.0:
	s_load_dwordx2 s[16:17], s[4:5], 0x68
	s_load_dwordx2 s[18:19], s[4:5], 0x30
	;; [unrolled: 1-line block ×3, first 2 shown]
	s_waitcnt lgkmcnt(0)
	s_bitcmp1_b32 s17, 0
	s_cselect_b64 s[2:3], -1, 0
	s_xor_b64 s[0:1], s[2:3], -1
	s_and_b64 vcc, exec, s[2:3]
	s_cbranch_vccnz .LBB19_2
; %bb.1:
	s_load_dword s18, s[18:19], 0x0
.LBB19_2:
	s_andn2_b64 vcc, exec, s[0:1]
	s_cbranch_vccnz .LBB19_4
; %bb.3:
	s_load_dword s20, s[20:21], 0x0
.LBB19_4:
	s_waitcnt lgkmcnt(0)
	v_cmp_neq_f32_e64 s[0:1], s18, 0
	v_cmp_neq_f32_e64 s[2:3], s20, 1.0
	s_or_b64 s[0:1], s[0:1], s[2:3]
	s_andn2_b64 vcc, exec, s[0:1]
	s_mov_b32 s1, 0
	s_cbranch_vccnz .LBB19_39
; %bb.5:
	s_load_dword s0, s[4:5], 0x28
	s_load_dwordx2 s[2:3], s[4:5], 0x20
	s_waitcnt lgkmcnt(0)
	s_lshl_b64 s[8:9], s[0:1], 2
	s_add_u32 s2, s2, s8
	s_addc_u32 s3, s3, s9
	s_lshl_b32 s0, -1, s0
	s_not_b32 s0, s0
	s_mul_hi_u32 s0, s0, 0x2aaaaaab
	s_lshr_b32 s0, s0, 7
	s_add_i32 s1, s0, 1
	v_cvt_f32_u32_e32 v1, s1
	s_load_dwordx4 s[8:11], s[4:5], 0x10
	s_load_dword s7, s[2:3], 0x0
	s_not_b32 s0, s0
	v_rcp_iflag_f32_e32 v1, v1
	v_mul_f32_e32 v1, 0x4f7ffffe, v1
	v_cvt_u32_f32_e32 v1, v1
	v_readfirstlane_b32 s2, v1
	s_mul_i32 s0, s0, s2
	s_mul_hi_u32 s0, s2, s0
	s_add_i32 s2, s2, s0
	s_mul_hi_u32 s0, s6, s2
	s_mul_i32 s2, s0, s1
	s_sub_i32 s2, s6, s2
	s_add_i32 s3, s0, 1
	s_sub_i32 s12, s2, s1
	s_cmp_ge_u32 s2, s1
	s_cselect_b32 s0, s3, s0
	s_cselect_b32 s2, s12, s2
	s_add_i32 s3, s0, 1
	s_cmp_ge_u32 s2, s1
	s_cselect_b32 s0, s3, s0
	s_mul_i32 s14, s0, s1
	s_waitcnt lgkmcnt(0)
	s_add_i32 s0, s0, s7
	s_ashr_i32 s1, s0, 31
	s_sub_i32 s19, s6, s14
	s_lshl_b64 s[0:1], s[0:1], 2
	s_add_u32 s0, s10, s0
	s_addc_u32 s1, s11, s1
	s_load_dword s12, s[0:1], 0x0
	s_load_dwordx2 s[2:3], s[4:5], 0x38
	s_load_dwordx2 s[10:11], s[4:5], 0x60
	v_or_b32_e32 v1, s19, v0
	v_cmp_eq_u32_e32 vcc, 0, v1
	s_waitcnt lgkmcnt(0)
	s_ashr_i32 s13, s12, 31
	s_lshl_b64 s[0:1], s[12:13], 3
	s_add_u32 s0, s2, s0
	s_addc_u32 s1, s3, s1
	s_ashr_i32 s7, s6, 31
	s_lshl_b64 s[6:7], s[6:7], 2
	s_add_u32 s6, s8, s6
	s_addc_u32 s7, s9, s7
	s_load_dwordx4 s[0:3], s[0:1], 0x0
	v_mov_b32_e32 v1, 0
	s_load_dword s17, s[6:7], 0x0
	s_and_saveexec_b64 s[22:23], vcc
	s_cbranch_execz .LBB19_9
; %bb.6:
	s_lshl_b64 s[26:27], s[12:13], 2
	s_add_u32 s26, s10, s26
	s_addc_u32 s27, s11, s27
	s_load_dword s26, s[26:27], 0x0
	s_mov_b64 s[24:25], exec
	v_mbcnt_lo_u32_b32 v2, s24, 0
	v_mbcnt_hi_u32_b32 v2, s25, v2
	v_add_f32_e64 v1, s20, -1.0
	v_cmp_eq_u32_e32 vcc, 0, v2
	s_waitcnt vmcnt(0) expcnt(0) lgkmcnt(0)
	s_and_saveexec_b64 s[20:21], vcc
	s_cbranch_execz .LBB19_8
; %bb.7:
	s_ashr_i32 s15, s14, 31
	s_lshl_b64 s[28:29], s[14:15], 2
	s_add_u32 s28, s8, s28
	s_addc_u32 s29, s9, s29
	s_bcnt1_i32_b64 s15, s[24:25]
	s_and_b32 s15, s15, 1
	v_mov_b32_e32 v2, 0
	v_mov_b32_e32 v3, s15
	global_atomic_xor v2, v3, s[28:29]
.LBB19_8:
	s_or_b64 exec, exec, s[20:21]
	v_mul_f32_e32 v1, s26, v1
.LBB19_9:
	s_or_b64 exec, exec, s[22:23]
	s_mul_i32 s20, s19, 3
	s_mov_b32 s21, 0
	s_lshl_b64 s[20:21], s[20:21], 8
	s_waitcnt lgkmcnt(0)
	s_sub_u32 s0, s0, s16
	s_subb_u32 s1, s1, 0
	s_add_u32 s15, s0, s20
	s_addc_u32 s22, s1, s21
	s_sub_u32 s0, s2, s16
	s_subb_u32 s1, s3, 0
	s_add_u32 s2, s15, 0x300
	s_addc_u32 s3, s22, 0
	v_pk_mov_b32 v[2:3], s[0:1], s[0:1] op_sel:[0,1]
	v_cmp_lt_i64_e32 vcc, s[2:3], v[2:3]
	s_and_b64 s[20:21], vcc, exec
	v_mov_b32_e32 v3, s22
	v_add_co_u32_e32 v2, vcc, s15, v0
	s_cselect_b32 s3, s3, s1
	s_cselect_b32 s2, s2, s0
	v_addc_co_u32_e32 v3, vcc, 0, v3, vcc
	v_cmp_gt_i64_e32 vcc, s[2:3], v[2:3]
	s_and_saveexec_b64 s[20:21], vcc
	s_cbranch_execz .LBB19_13
; %bb.10:
	s_load_dwordx4 s[24:27], s[4:5], 0x40
	s_load_dwordx2 s[22:23], s[4:5], 0x50
	v_lshlrev_b64 v[6:7], 2, v[2:3]
	s_mov_b64 s[4:5], 0
	s_movk_i32 s15, 0x100
	s_waitcnt lgkmcnt(0)
	v_mov_b32_e32 v5, s27
	v_add_co_u32_e32 v4, vcc, s26, v6
	v_addc_co_u32_e32 v5, vcc, v5, v7, vcc
	v_mov_b32_e32 v8, s25
	v_add_co_u32_e32 v6, vcc, s24, v6
	v_addc_co_u32_e32 v7, vcc, v8, v7, vcc
	v_mov_b32_e32 v8, s23
.LBB19_11:                              ; =>This Inner Loop Header: Depth=1
	global_load_dword v9, v[6:7], off
	global_load_dword v12, v[4:5], off
	s_waitcnt vmcnt(1)
	v_subrev_u32_e32 v10, s16, v9
	v_ashrrev_i32_e32 v11, 31, v10
	v_lshlrev_b64 v[10:11], 2, v[10:11]
	v_add_co_u32_e32 v10, vcc, s22, v10
	v_addc_co_u32_e32 v11, vcc, v8, v11, vcc
	global_load_dword v9, v[10:11], off
	v_add_co_u32_e32 v2, vcc, s15, v2
	v_addc_co_u32_e32 v3, vcc, 0, v3, vcc
	v_add_co_u32_e32 v4, vcc, 0x400, v4
	v_addc_co_u32_e32 v5, vcc, 0, v5, vcc
	v_add_co_u32_e32 v6, vcc, 0x400, v6
	v_cmp_le_i64_e64 s[0:1], s[2:3], v[2:3]
	s_waitcnt vmcnt(1)
	v_mul_f32_e32 v10, s18, v12
	v_addc_co_u32_e32 v7, vcc, 0, v7, vcc
	s_or_b64 s[4:5], s[0:1], s[4:5]
	s_waitcnt vmcnt(0)
	v_fmac_f32_e32 v1, v10, v9
	s_andn2_b64 exec, exec, s[4:5]
	s_cbranch_execnz .LBB19_11
; %bb.12:
	s_or_b64 exec, exec, s[4:5]
.LBB19_13:
	s_or_b64 exec, exec, s[20:21]
	s_movk_i32 s0, 0x80
	v_lshlrev_b32_e32 v2, 2, v0
	v_cmp_gt_u32_e32 vcc, s0, v0
	ds_write_b32 v2, v1
	s_waitcnt lgkmcnt(0)
	s_barrier
	s_and_saveexec_b64 s[0:1], vcc
	s_cbranch_execz .LBB19_15
; %bb.14:
	ds_read2st64_b32 v[4:5], v2 offset1:2
	s_waitcnt lgkmcnt(0)
	v_add_f32_e32 v1, v4, v5
	ds_write_b32 v2, v1
.LBB19_15:
	s_or_b64 exec, exec, s[0:1]
	v_cmp_gt_u32_e32 vcc, 64, v0
	s_waitcnt lgkmcnt(0)
	s_barrier
	s_and_saveexec_b64 s[0:1], vcc
	s_cbranch_execz .LBB19_17
; %bb.16:
	ds_read2st64_b32 v[4:5], v2 offset1:1
	s_waitcnt lgkmcnt(0)
	v_add_f32_e32 v1, v4, v5
	ds_write_b32 v2, v1
.LBB19_17:
	s_or_b64 exec, exec, s[0:1]
	v_cmp_gt_u32_e32 vcc, 32, v0
	s_waitcnt lgkmcnt(0)
	s_barrier
	s_and_saveexec_b64 s[0:1], vcc
	s_cbranch_execz .LBB19_19
; %bb.18:
	ds_read2_b32 v[4:5], v2 offset1:32
	s_waitcnt lgkmcnt(0)
	v_add_f32_e32 v1, v4, v5
	ds_write_b32 v2, v1
.LBB19_19:
	s_or_b64 exec, exec, s[0:1]
	v_cmp_gt_u32_e32 vcc, 16, v0
	s_waitcnt lgkmcnt(0)
	s_barrier
	s_and_saveexec_b64 s[0:1], vcc
	s_cbranch_execz .LBB19_21
; %bb.20:
	ds_read2_b32 v[4:5], v2 offset1:16
	s_waitcnt lgkmcnt(0)
	v_add_f32_e32 v1, v4, v5
	ds_write_b32 v2, v1
.LBB19_21:
	;; [unrolled: 12-line block ×5, first 2 shown]
	s_or_b64 exec, exec, s[0:1]
	v_cmp_eq_u32_e32 vcc, 0, v0
	s_waitcnt lgkmcnt(0)
	s_barrier
	s_and_saveexec_b64 s[0:1], vcc
	s_cbranch_execz .LBB19_29
; %bb.28:
	v_mov_b32_e32 v2, 0
	ds_read_b64 v[0:1], v2
	s_waitcnt lgkmcnt(0)
	v_add_f32_e32 v0, v0, v1
	ds_write_b32 v2, v0
.LBB19_29:
	s_or_b64 exec, exec, s[0:1]
	s_waitcnt lgkmcnt(0)
	s_barrier
	s_and_saveexec_b64 s[0:1], vcc
	s_cbranch_execz .LBB19_39
; %bb.30:
	s_cmp_eq_u32 s19, 0
	s_cbranch_scc1 .LBB19_36
; %bb.31:
	s_ashr_i32 s15, s14, 31
	s_lshl_b64 s[0:1], s[14:15], 2
	s_add_u32 s0, s8, s0
	s_addc_u32 s1, s9, s1
	v_mov_b32_e32 v0, 0
	s_branch .LBB19_33
.LBB19_32:                              ;   in Loop: Header=BB19_33 Depth=1
	s_or_b64 exec, exec, s[2:3]
	s_waitcnt vmcnt(0)
	v_readfirstlane_b32 s2, v1
	s_cmp_eq_u32 s2, s17
	s_cbranch_scc0 .LBB19_35
.LBB19_33:                              ; =>This Inner Loop Header: Depth=1
	v_mbcnt_lo_u32_b32 v1, exec_lo, 0
	v_mbcnt_hi_u32_b32 v1, exec_hi, v1
	v_cmp_eq_u32_e32 vcc, 0, v1
                                        ; implicit-def: $vgpr1
	s_and_saveexec_b64 s[2:3], vcc
	s_cbranch_execz .LBB19_32
; %bb.34:                               ;   in Loop: Header=BB19_33 Depth=1
	global_load_dword v1, v0, s[0:1] glc
	s_branch .LBB19_32
.LBB19_35:
	v_mov_b32_e32 v0, 0
	global_load_dword v1, v0, s[6:7]
	s_waitcnt vmcnt(0)
	v_xor_b32_e32 v1, 1, v1
	global_store_dword v0, v1, s[6:7]
.LBB19_36:
	s_mov_b64 s[2:3], exec
	v_mbcnt_lo_u32_b32 v0, s2, 0
	v_mbcnt_hi_u32_b32 v0, s3, v0
	v_cmp_eq_u32_e32 vcc, 0, v0
	s_and_b64 s[0:1], exec, vcc
	s_mov_b64 exec, s[0:1]
	s_cbranch_execz .LBB19_39
; %bb.37:
	s_lshl_b64 s[0:1], s[12:13], 2
	s_add_u32 s0, s10, s0
	s_addc_u32 s1, s11, s1
	v_mov_b32_e32 v2, 0
	global_load_dword v1, v2, s[0:1]
	ds_read_b32 v0, v2
	s_bcnt1_i32_b64 s2, s[2:3]
	v_cvt_f32_ubyte0_e32 v3, s2
	s_mov_b64 s[2:3], 0
	s_waitcnt lgkmcnt(0)
	v_mul_f32_e32 v3, v0, v3
.LBB19_38:                              ; =>This Inner Loop Header: Depth=1
	s_waitcnt vmcnt(0)
	v_add_f32_e32 v0, v1, v3
	global_atomic_cmpswap v0, v2, v[0:1], s[0:1] glc
	s_waitcnt vmcnt(0)
	v_cmp_eq_u32_e32 vcc, v0, v1
	s_or_b64 s[2:3], vcc, s[2:3]
	v_mov_b32_e32 v1, v0
	s_andn2_b64 exec, exec, s[2:3]
	s_cbranch_execnz .LBB19_38
.LBB19_39:
	s_endpgm
	.section	.rodata,"a",@progbits
	.p2align	6, 0x0
	.amdhsa_kernel _ZN9rocsparseL27csrmvn_lrb_long_rows_kernelIliffffEEvbT_PjPT0_S4_jNS_24const_host_device_scalarIT4_EEPKS1_PKS3_PKT1_PKT2_S7_PT3_21rocsparse_index_base_b
		.amdhsa_group_segment_fixed_size 1024
		.amdhsa_private_segment_fixed_size 0
		.amdhsa_kernarg_size 112
		.amdhsa_user_sgpr_count 6
		.amdhsa_user_sgpr_private_segment_buffer 1
		.amdhsa_user_sgpr_dispatch_ptr 0
		.amdhsa_user_sgpr_queue_ptr 0
		.amdhsa_user_sgpr_kernarg_segment_ptr 1
		.amdhsa_user_sgpr_dispatch_id 0
		.amdhsa_user_sgpr_flat_scratch_init 0
		.amdhsa_user_sgpr_kernarg_preload_length 0
		.amdhsa_user_sgpr_kernarg_preload_offset 0
		.amdhsa_user_sgpr_private_segment_size 0
		.amdhsa_uses_dynamic_stack 0
		.amdhsa_system_sgpr_private_segment_wavefront_offset 0
		.amdhsa_system_sgpr_workgroup_id_x 1
		.amdhsa_system_sgpr_workgroup_id_y 0
		.amdhsa_system_sgpr_workgroup_id_z 0
		.amdhsa_system_sgpr_workgroup_info 0
		.amdhsa_system_vgpr_workitem_id 0
		.amdhsa_next_free_vgpr 13
		.amdhsa_next_free_sgpr 30
		.amdhsa_accum_offset 16
		.amdhsa_reserve_vcc 1
		.amdhsa_reserve_flat_scratch 0
		.amdhsa_float_round_mode_32 0
		.amdhsa_float_round_mode_16_64 0
		.amdhsa_float_denorm_mode_32 3
		.amdhsa_float_denorm_mode_16_64 3
		.amdhsa_dx10_clamp 1
		.amdhsa_ieee_mode 1
		.amdhsa_fp16_overflow 0
		.amdhsa_tg_split 0
		.amdhsa_exception_fp_ieee_invalid_op 0
		.amdhsa_exception_fp_denorm_src 0
		.amdhsa_exception_fp_ieee_div_zero 0
		.amdhsa_exception_fp_ieee_overflow 0
		.amdhsa_exception_fp_ieee_underflow 0
		.amdhsa_exception_fp_ieee_inexact 0
		.amdhsa_exception_int_div_zero 0
	.end_amdhsa_kernel
	.section	.text._ZN9rocsparseL27csrmvn_lrb_long_rows_kernelIliffffEEvbT_PjPT0_S4_jNS_24const_host_device_scalarIT4_EEPKS1_PKS3_PKT1_PKT2_S7_PT3_21rocsparse_index_base_b,"axG",@progbits,_ZN9rocsparseL27csrmvn_lrb_long_rows_kernelIliffffEEvbT_PjPT0_S4_jNS_24const_host_device_scalarIT4_EEPKS1_PKS3_PKT1_PKT2_S7_PT3_21rocsparse_index_base_b,comdat
.Lfunc_end19:
	.size	_ZN9rocsparseL27csrmvn_lrb_long_rows_kernelIliffffEEvbT_PjPT0_S4_jNS_24const_host_device_scalarIT4_EEPKS1_PKS3_PKT1_PKT2_S7_PT3_21rocsparse_index_base_b, .Lfunc_end19-_ZN9rocsparseL27csrmvn_lrb_long_rows_kernelIliffffEEvbT_PjPT0_S4_jNS_24const_host_device_scalarIT4_EEPKS1_PKS3_PKT1_PKT2_S7_PT3_21rocsparse_index_base_b
                                        ; -- End function
	.section	.AMDGPU.csdata,"",@progbits
; Kernel info:
; codeLenInByte = 1472
; NumSgprs: 34
; NumVgprs: 13
; NumAgprs: 0
; TotalNumVgprs: 13
; ScratchSize: 0
; MemoryBound: 0
; FloatMode: 240
; IeeeMode: 1
; LDSByteSize: 1024 bytes/workgroup (compile time only)
; SGPRBlocks: 4
; VGPRBlocks: 1
; NumSGPRsForWavesPerEU: 34
; NumVGPRsForWavesPerEU: 13
; AccumOffset: 16
; Occupancy: 8
; WaveLimiterHint : 1
; COMPUTE_PGM_RSRC2:SCRATCH_EN: 0
; COMPUTE_PGM_RSRC2:USER_SGPR: 6
; COMPUTE_PGM_RSRC2:TRAP_HANDLER: 0
; COMPUTE_PGM_RSRC2:TGID_X_EN: 1
; COMPUTE_PGM_RSRC2:TGID_Y_EN: 0
; COMPUTE_PGM_RSRC2:TGID_Z_EN: 0
; COMPUTE_PGM_RSRC2:TIDIG_COMP_CNT: 0
; COMPUTE_PGM_RSRC3_GFX90A:ACCUM_OFFSET: 3
; COMPUTE_PGM_RSRC3_GFX90A:TG_SPLIT: 0
	.section	.text._ZN9rocsparseL28csrmvn_lrb_short_rows_kernelIllffffEEvbT_PT0_S3_jNS_24const_host_device_scalarIT4_EEPKS1_PKS2_PKT1_PKT2_S6_PT3_21rocsparse_index_base_b,"axG",@progbits,_ZN9rocsparseL28csrmvn_lrb_short_rows_kernelIllffffEEvbT_PT0_S3_jNS_24const_host_device_scalarIT4_EEPKS1_PKS2_PKT1_PKT2_S6_PT3_21rocsparse_index_base_b,comdat
	.globl	_ZN9rocsparseL28csrmvn_lrb_short_rows_kernelIllffffEEvbT_PT0_S3_jNS_24const_host_device_scalarIT4_EEPKS1_PKS2_PKT1_PKT2_S6_PT3_21rocsparse_index_base_b ; -- Begin function _ZN9rocsparseL28csrmvn_lrb_short_rows_kernelIllffffEEvbT_PT0_S3_jNS_24const_host_device_scalarIT4_EEPKS1_PKS2_PKT1_PKT2_S6_PT3_21rocsparse_index_base_b
	.p2align	8
	.type	_ZN9rocsparseL28csrmvn_lrb_short_rows_kernelIllffffEEvbT_PT0_S3_jNS_24const_host_device_scalarIT4_EEPKS1_PKS2_PKT1_PKT2_S6_PT3_21rocsparse_index_base_b,@function
_ZN9rocsparseL28csrmvn_lrb_short_rows_kernelIllffffEEvbT_PT0_S3_jNS_24const_host_device_scalarIT4_EEPKS1_PKS2_PKT1_PKT2_S6_PT3_21rocsparse_index_base_b: ; @_ZN9rocsparseL28csrmvn_lrb_short_rows_kernelIllffffEEvbT_PT0_S3_jNS_24const_host_device_scalarIT4_EEPKS1_PKS2_PKT1_PKT2_S6_PT3_21rocsparse_index_base_b
; %bb.0:
	s_load_dwordx2 s[20:21], s[4:5], 0x60
	s_load_dwordx2 s[22:23], s[4:5], 0x28
	;; [unrolled: 1-line block ×3, first 2 shown]
	s_waitcnt lgkmcnt(0)
	s_bitcmp1_b32 s21, 0
	s_cselect_b64 s[2:3], -1, 0
	s_xor_b64 s[0:1], s[2:3], -1
	s_and_b64 vcc, exec, s[2:3]
	s_cbranch_vccnz .LBB20_2
; %bb.1:
	s_load_dword s22, s[22:23], 0x0
.LBB20_2:
	s_andn2_b64 vcc, exec, s[0:1]
	s_cbranch_vccnz .LBB20_4
; %bb.3:
	s_load_dword s16, s[16:17], 0x0
.LBB20_4:
	s_waitcnt lgkmcnt(0)
	v_cmp_neq_f32_e64 s[0:1], s22, 0
	v_cmp_neq_f32_e64 s[2:3], s16, 1.0
	s_or_b64 s[0:1], s[0:1], s[2:3]
	s_andn2_b64 vcc, exec, s[0:1]
	s_mov_b32 s19, 0
	s_cbranch_vccnz .LBB20_18
; %bb.5:
	s_load_dword s18, s[4:5], 0x20
	s_load_dwordx4 s[0:3], s[4:5], 0x10
	s_mov_b32 s9, s19
	s_waitcnt lgkmcnt(0)
	s_lshl_b64 s[10:11], s[18:19], 3
	s_add_u32 s10, s2, s10
	s_addc_u32 s11, s3, s11
	s_add_i32 s8, s18, 1
	s_lshl_b64 s[8:9], s[8:9], 3
	s_add_u32 s8, s2, s8
	s_addc_u32 s9, s3, s9
	s_load_dwordx2 s[2:3], s[10:11], 0x0
	s_load_dword s7, s[8:9], 0x0
	s_lshl_b32 s6, s6, 8
	s_add_i32 s8, s6, 0x100
	s_waitcnt lgkmcnt(0)
	s_sub_i32 s7, s7, s2
	s_min_u32 s7, s7, s8
	s_cmp_gt_u32 s18, 23
	s_cbranch_scc1 .LBB20_12
; %bb.6:
	s_load_dwordx8 s[8:15], s[4:5], 0x30
	s_lshl_b32 s17, 0x100, s18
	s_lshl_b64 s[24:25], s[2:3], 3
	s_add_u32 s19, s0, s24
	s_mov_b32 s23, 0
	v_mov_b32_e32 v9, 0
	s_addc_u32 s21, s1, s25
	v_bfe_u32 v6, v0, 0, s18
	v_mov_b32_e32 v7, v9
	v_lshl_add_u32 v1, v0, 2, 0
	s_mov_b32 s28, s23
	s_branch .LBB20_9
.LBB20_7:                               ;   in Loop: Header=BB20_9 Depth=1
	s_or_b64 exec, exec, s[26:27]
	ds_write_b32 v1, v4
.LBB20_8:                               ;   in Loop: Header=BB20_9 Depth=1
	s_or_b64 exec, exec, s[24:25]
	s_addk_i32 s28, 0x100
	s_cmp_ge_u32 s28, s17
	v_add_u32_e32 v1, 0x400, v1
	s_cbranch_scc1 .LBB20_12
.LBB20_9:                               ; =>This Inner Loop Header: Depth=1
	v_add_u32_e32 v2, s28, v0
	v_lshrrev_b32_e32 v2, s18, v2
	v_add_u32_e32 v8, s6, v2
	v_cmp_gt_u32_e32 vcc, s7, v8
	s_and_saveexec_b64 s[24:25], vcc
	s_cbranch_execz .LBB20_8
; %bb.10:                               ;   in Loop: Header=BB20_9 Depth=1
	v_lshlrev_b64 v[2:3], 3, v[8:9]
	v_mov_b32_e32 v4, s21
	v_add_co_u32_e32 v2, vcc, s19, v2
	v_addc_co_u32_e32 v3, vcc, v4, v3, vcc
	global_load_dwordx2 v[2:3], v[2:3], off
	s_waitcnt lgkmcnt(0)
	v_mov_b32_e32 v4, s9
	s_waitcnt vmcnt(0)
	v_lshlrev_b64 v[2:3], 3, v[2:3]
	v_add_co_u32_e32 v2, vcc, s8, v2
	v_addc_co_u32_e32 v3, vcc, v4, v3, vcc
	global_load_dwordx4 v[2:5], v[2:3], off
	s_waitcnt vmcnt(0)
	v_sub_co_u32_e32 v4, vcc, v4, v2
	v_subb_co_u32_e32 v5, vcc, v5, v3, vcc
	v_cmp_gt_i64_e32 vcc, v[4:5], v[6:7]
	v_mov_b32_e32 v4, 0
	s_and_saveexec_b64 s[26:27], vcc
	s_cbranch_execz .LBB20_7
; %bb.11:                               ;   in Loop: Header=BB20_9 Depth=1
	v_mov_b32_e32 v8, s23
	v_subrev_co_u32_e32 v2, vcc, s20, v2
	v_subb_co_u32_e32 v3, vcc, v3, v8, vcc
	v_add_co_u32_e32 v2, vcc, v2, v6
	v_addc_co_u32_e32 v3, vcc, 0, v3, vcc
	v_lshlrev_b64 v[4:5], 3, v[2:3]
	v_mov_b32_e32 v10, s11
	v_add_co_u32_e32 v4, vcc, s10, v4
	v_addc_co_u32_e32 v5, vcc, v10, v5, vcc
	global_load_dwordx2 v[4:5], v[4:5], off
	v_lshlrev_b64 v[2:3], 2, v[2:3]
	v_mov_b32_e32 v10, s13
	v_add_co_u32_e32 v2, vcc, s12, v2
	v_addc_co_u32_e32 v3, vcc, v10, v3, vcc
	global_load_dword v10, v[2:3], off
	v_mov_b32_e32 v11, s15
	s_waitcnt vmcnt(1)
	v_subrev_co_u32_e32 v2, vcc, s20, v4
	v_subb_co_u32_e32 v3, vcc, v5, v8, vcc
	v_lshlrev_b64 v[2:3], 2, v[2:3]
	v_add_co_u32_e32 v2, vcc, s14, v2
	v_addc_co_u32_e32 v3, vcc, v11, v3, vcc
	global_load_dword v2, v[2:3], off
	s_waitcnt vmcnt(1)
	v_mul_f32_e32 v3, s22, v10
	s_waitcnt vmcnt(0)
	v_mul_f32_e32 v4, v3, v2
	s_branch .LBB20_7
.LBB20_12:
	s_sub_i32 s7, s7, s6
	v_cmp_gt_u32_e32 vcc, s7, v0
	s_waitcnt lgkmcnt(0)
	s_barrier
	s_and_saveexec_b64 s[8:9], vcc
	s_cbranch_execz .LBB20_18
; %bb.13:
	s_lshl_b64 s[2:3], s[2:3], 3
	s_mov_b32 s7, 0
	s_add_u32 s2, s0, s2
	s_addc_u32 s3, s1, s3
	s_lshl_b64 s[0:1], s[6:7], 3
	s_add_u32 s0, s2, s0
	s_addc_u32 s1, s3, s1
	v_lshlrev_b32_e32 v1, 3, v0
	global_load_dwordx2 v[2:3], v1, s[0:1]
	s_load_dwordx2 s[0:1], s[4:5], 0x58
	v_lshlrev_b32_e32 v0, s18, v0
	v_lshl_add_u32 v0, v0, 2, 0
	s_mov_b32 s2, 1
	v_mov_b32_e32 v4, 0
.LBB20_14:                              ; =>This Inner Loop Header: Depth=1
	ds_read_b32 v1, v0
	s_lshr_b32 s3, s2, s18
	s_add_i32 s2, s2, 1
	v_add_u32_e32 v0, 4, v0
	s_cmp_lg_u32 s3, 0
	s_waitcnt lgkmcnt(0)
	v_add_f32_e32 v4, v4, v1
	s_cbranch_scc0 .LBB20_14
; %bb.15:
	v_cmp_neq_f32_e64 s[2:3], s16, 0
	s_and_b64 vcc, exec, s[2:3]
	s_waitcnt vmcnt(0)
	v_lshlrev_b64 v[0:1], 2, v[2:3]
	s_cbranch_vccz .LBB20_17
; %bb.16:
	v_mov_b32_e32 v3, s1
	v_add_co_u32_e32 v2, vcc, s0, v0
	v_addc_co_u32_e32 v3, vcc, v3, v1, vcc
	global_load_dword v2, v[2:3], off
	s_waitcnt vmcnt(0)
	v_fmac_f32_e32 v4, s16, v2
.LBB20_17:
	v_mov_b32_e32 v2, s1
	v_add_co_u32_e32 v0, vcc, s0, v0
	v_addc_co_u32_e32 v1, vcc, v2, v1, vcc
	global_store_dword v[0:1], v4, off
.LBB20_18:
	s_endpgm
	.section	.rodata,"a",@progbits
	.p2align	6, 0x0
	.amdhsa_kernel _ZN9rocsparseL28csrmvn_lrb_short_rows_kernelIllffffEEvbT_PT0_S3_jNS_24const_host_device_scalarIT4_EEPKS1_PKS2_PKT1_PKT2_S6_PT3_21rocsparse_index_base_b
		.amdhsa_group_segment_fixed_size 0
		.amdhsa_private_segment_fixed_size 0
		.amdhsa_kernarg_size 104
		.amdhsa_user_sgpr_count 6
		.amdhsa_user_sgpr_private_segment_buffer 1
		.amdhsa_user_sgpr_dispatch_ptr 0
		.amdhsa_user_sgpr_queue_ptr 0
		.amdhsa_user_sgpr_kernarg_segment_ptr 1
		.amdhsa_user_sgpr_dispatch_id 0
		.amdhsa_user_sgpr_flat_scratch_init 0
		.amdhsa_user_sgpr_kernarg_preload_length 0
		.amdhsa_user_sgpr_kernarg_preload_offset 0
		.amdhsa_user_sgpr_private_segment_size 0
		.amdhsa_uses_dynamic_stack 0
		.amdhsa_system_sgpr_private_segment_wavefront_offset 0
		.amdhsa_system_sgpr_workgroup_id_x 1
		.amdhsa_system_sgpr_workgroup_id_y 0
		.amdhsa_system_sgpr_workgroup_id_z 0
		.amdhsa_system_sgpr_workgroup_info 0
		.amdhsa_system_vgpr_workitem_id 0
		.amdhsa_next_free_vgpr 12
		.amdhsa_next_free_sgpr 29
		.amdhsa_accum_offset 12
		.amdhsa_reserve_vcc 1
		.amdhsa_reserve_flat_scratch 0
		.amdhsa_float_round_mode_32 0
		.amdhsa_float_round_mode_16_64 0
		.amdhsa_float_denorm_mode_32 3
		.amdhsa_float_denorm_mode_16_64 3
		.amdhsa_dx10_clamp 1
		.amdhsa_ieee_mode 1
		.amdhsa_fp16_overflow 0
		.amdhsa_tg_split 0
		.amdhsa_exception_fp_ieee_invalid_op 0
		.amdhsa_exception_fp_denorm_src 0
		.amdhsa_exception_fp_ieee_div_zero 0
		.amdhsa_exception_fp_ieee_overflow 0
		.amdhsa_exception_fp_ieee_underflow 0
		.amdhsa_exception_fp_ieee_inexact 0
		.amdhsa_exception_int_div_zero 0
	.end_amdhsa_kernel
	.section	.text._ZN9rocsparseL28csrmvn_lrb_short_rows_kernelIllffffEEvbT_PT0_S3_jNS_24const_host_device_scalarIT4_EEPKS1_PKS2_PKT1_PKT2_S6_PT3_21rocsparse_index_base_b,"axG",@progbits,_ZN9rocsparseL28csrmvn_lrb_short_rows_kernelIllffffEEvbT_PT0_S3_jNS_24const_host_device_scalarIT4_EEPKS1_PKS2_PKT1_PKT2_S6_PT3_21rocsparse_index_base_b,comdat
.Lfunc_end20:
	.size	_ZN9rocsparseL28csrmvn_lrb_short_rows_kernelIllffffEEvbT_PT0_S3_jNS_24const_host_device_scalarIT4_EEPKS1_PKS2_PKT1_PKT2_S6_PT3_21rocsparse_index_base_b, .Lfunc_end20-_ZN9rocsparseL28csrmvn_lrb_short_rows_kernelIllffffEEvbT_PT0_S3_jNS_24const_host_device_scalarIT4_EEPKS1_PKS2_PKT1_PKT2_S6_PT3_21rocsparse_index_base_b
                                        ; -- End function
	.section	.AMDGPU.csdata,"",@progbits
; Kernel info:
; codeLenInByte = 768
; NumSgprs: 33
; NumVgprs: 12
; NumAgprs: 0
; TotalNumVgprs: 12
; ScratchSize: 0
; MemoryBound: 0
; FloatMode: 240
; IeeeMode: 1
; LDSByteSize: 0 bytes/workgroup (compile time only)
; SGPRBlocks: 4
; VGPRBlocks: 1
; NumSGPRsForWavesPerEU: 33
; NumVGPRsForWavesPerEU: 12
; AccumOffset: 12
; Occupancy: 8
; WaveLimiterHint : 1
; COMPUTE_PGM_RSRC2:SCRATCH_EN: 0
; COMPUTE_PGM_RSRC2:USER_SGPR: 6
; COMPUTE_PGM_RSRC2:TRAP_HANDLER: 0
; COMPUTE_PGM_RSRC2:TGID_X_EN: 1
; COMPUTE_PGM_RSRC2:TGID_Y_EN: 0
; COMPUTE_PGM_RSRC2:TGID_Z_EN: 0
; COMPUTE_PGM_RSRC2:TIDIG_COMP_CNT: 0
; COMPUTE_PGM_RSRC3_GFX90A:ACCUM_OFFSET: 2
; COMPUTE_PGM_RSRC3_GFX90A:TG_SPLIT: 0
	.section	.text._ZN9rocsparseL30csrmvn_lrb_short_rows_2_kernelIllffffEEvbT_PT0_S3_jNS_24const_host_device_scalarIT4_EEPKS1_PKS2_PKT1_PKT2_S6_PT3_21rocsparse_index_base_b,"axG",@progbits,_ZN9rocsparseL30csrmvn_lrb_short_rows_2_kernelIllffffEEvbT_PT0_S3_jNS_24const_host_device_scalarIT4_EEPKS1_PKS2_PKT1_PKT2_S6_PT3_21rocsparse_index_base_b,comdat
	.globl	_ZN9rocsparseL30csrmvn_lrb_short_rows_2_kernelIllffffEEvbT_PT0_S3_jNS_24const_host_device_scalarIT4_EEPKS1_PKS2_PKT1_PKT2_S6_PT3_21rocsparse_index_base_b ; -- Begin function _ZN9rocsparseL30csrmvn_lrb_short_rows_2_kernelIllffffEEvbT_PT0_S3_jNS_24const_host_device_scalarIT4_EEPKS1_PKS2_PKT1_PKT2_S6_PT3_21rocsparse_index_base_b
	.p2align	8
	.type	_ZN9rocsparseL30csrmvn_lrb_short_rows_2_kernelIllffffEEvbT_PT0_S3_jNS_24const_host_device_scalarIT4_EEPKS1_PKS2_PKT1_PKT2_S6_PT3_21rocsparse_index_base_b,@function
_ZN9rocsparseL30csrmvn_lrb_short_rows_2_kernelIllffffEEvbT_PT0_S3_jNS_24const_host_device_scalarIT4_EEPKS1_PKS2_PKT1_PKT2_S6_PT3_21rocsparse_index_base_b: ; @_ZN9rocsparseL30csrmvn_lrb_short_rows_2_kernelIllffffEEvbT_PT0_S3_jNS_24const_host_device_scalarIT4_EEPKS1_PKS2_PKT1_PKT2_S6_PT3_21rocsparse_index_base_b
; %bb.0:
	s_load_dwordx2 s[20:21], s[4:5], 0x60
	s_load_dwordx2 s[18:19], s[4:5], 0x28
	;; [unrolled: 1-line block ×3, first 2 shown]
	s_waitcnt lgkmcnt(0)
	s_bitcmp1_b32 s21, 0
	s_cselect_b64 s[8:9], -1, 0
	s_xor_b64 s[2:3], s[8:9], -1
	s_and_b64 vcc, exec, s[8:9]
	s_cbranch_vccnz .LBB21_2
; %bb.1:
	s_load_dword s18, s[18:19], 0x0
.LBB21_2:
	s_andn2_b64 vcc, exec, s[2:3]
	s_cbranch_vccnz .LBB21_4
; %bb.3:
	s_load_dword s0, s[0:1], 0x0
.LBB21_4:
	s_waitcnt lgkmcnt(0)
	v_cmp_neq_f32_e64 s[2:3], s18, 0
	v_cmp_neq_f32_e64 s[8:9], s0, 1.0
	s_or_b64 s[2:3], s[2:3], s[8:9]
	s_andn2_b64 vcc, exec, s[2:3]
	s_mov_b32 s3, 0
	s_cbranch_vccnz .LBB21_30
; %bb.5:
	s_load_dword s2, s[4:5], 0x20
	s_load_dwordx4 s[24:27], s[4:5], 0x10
	s_mov_b32 s9, s3
	v_mov_b32_e32 v7, 0
	s_waitcnt lgkmcnt(0)
	s_lshl_b64 s[10:11], s[2:3], 3
	s_add_u32 s22, s26, s10
	s_addc_u32 s23, s27, s11
	s_add_i32 s8, s2, 1
	s_lshl_b64 s[8:9], s[8:9], 3
	s_add_u32 s26, s26, s8
	s_addc_u32 s27, s27, s9
	s_load_dwordx2 s[28:29], s[22:23], 0x0
	s_load_dword s3, s[26:27], 0x0
	s_load_dwordx2 s[16:17], s[4:5], 0x58
	s_load_dwordx8 s[8:15], s[4:5], 0x30
	s_lshr_b32 s1, 0x400, s2
	s_mul_i32 s4, s1, s6
	s_waitcnt lgkmcnt(0)
	s_sub_i32 s3, s3, s28
	s_add_i32 s5, s4, s1
	s_min_u32 s5, s3, s5
	s_lshl_b64 s[6:7], s[28:29], 3
	v_lshrrev_b32_e32 v1, s2, v0
	s_add_u32 s3, s24, s6
	v_add_u32_e32 v2, s4, v1
	s_addc_u32 s19, s25, s7
	v_bfe_u32 v6, v0, 0, s2
	v_cmp_gt_u32_e32 vcc, s5, v2
	s_and_saveexec_b64 s[6:7], vcc
	s_cbranch_execz .LBB21_9
; %bb.6:
	v_mov_b32_e32 v3, v7
	v_lshlrev_b64 v[2:3], 3, v[2:3]
	v_mov_b32_e32 v1, s19
	v_add_co_u32_e32 v2, vcc, s3, v2
	v_addc_co_u32_e32 v3, vcc, v1, v3, vcc
	global_load_dwordx2 v[2:3], v[2:3], off
	v_mov_b32_e32 v1, s9
	s_waitcnt vmcnt(0)
	v_lshlrev_b64 v[2:3], 3, v[2:3]
	v_add_co_u32_e32 v2, vcc, s8, v2
	v_addc_co_u32_e32 v3, vcc, v1, v3, vcc
	global_load_dwordx4 v[2:5], v[2:3], off
	v_mov_b32_e32 v1, v7
	s_waitcnt vmcnt(0)
	v_sub_co_u32_e32 v4, vcc, v4, v2
	v_subb_co_u32_e32 v5, vcc, v5, v3, vcc
	v_cmp_gt_i64_e32 vcc, v[4:5], v[6:7]
	s_and_saveexec_b64 s[22:23], vcc
	s_cbranch_execz .LBB21_8
; %bb.7:
	v_subrev_co_u32_e32 v1, vcc, s20, v2
	v_subbrev_co_u32_e32 v3, vcc, 0, v3, vcc
	v_add_co_u32_e32 v2, vcc, v1, v6
	v_addc_co_u32_e32 v3, vcc, 0, v3, vcc
	v_lshlrev_b64 v[4:5], 3, v[2:3]
	v_mov_b32_e32 v1, s11
	v_add_co_u32_e32 v4, vcc, s10, v4
	v_addc_co_u32_e32 v5, vcc, v1, v5, vcc
	global_load_dwordx2 v[4:5], v[4:5], off
	v_lshlrev_b64 v[2:3], 2, v[2:3]
	v_mov_b32_e32 v1, s13
	v_add_co_u32_e32 v2, vcc, s12, v2
	v_addc_co_u32_e32 v3, vcc, v1, v3, vcc
	global_load_dword v1, v[2:3], off
	v_mov_b32_e32 v8, s15
	s_waitcnt vmcnt(1)
	v_subrev_co_u32_e32 v2, vcc, s20, v4
	v_subbrev_co_u32_e32 v3, vcc, 0, v5, vcc
	v_lshlrev_b64 v[2:3], 2, v[2:3]
	v_add_co_u32_e32 v2, vcc, s14, v2
	v_addc_co_u32_e32 v3, vcc, v8, v3, vcc
	global_load_dword v2, v[2:3], off
	s_waitcnt vmcnt(1)
	v_mul_f32_e32 v1, s18, v1
	s_waitcnt vmcnt(0)
	v_mul_f32_e32 v1, v1, v2
.LBB21_8:
	s_or_b64 exec, exec, s[22:23]
	v_lshlrev_b32_e32 v2, 2, v0
	ds_write_b32 v2, v1
.LBB21_9:
	s_or_b64 exec, exec, s[6:7]
	v_or_b32_e32 v1, 0x100, v0
	v_lshrrev_b32_e32 v1, s2, v1
	v_add_u32_e32 v8, s4, v1
	v_cmp_gt_u32_e32 vcc, s5, v8
	s_and_saveexec_b64 s[6:7], vcc
	s_cbranch_execz .LBB21_13
; %bb.10:
	v_mov_b32_e32 v9, 0
	v_lshlrev_b64 v[2:3], 3, v[8:9]
	v_mov_b32_e32 v1, s19
	v_add_co_u32_e32 v2, vcc, s3, v2
	v_addc_co_u32_e32 v3, vcc, v1, v3, vcc
	global_load_dwordx2 v[2:3], v[2:3], off
	v_mov_b32_e32 v1, s9
	s_waitcnt vmcnt(0)
	v_lshlrev_b64 v[2:3], 3, v[2:3]
	v_add_co_u32_e32 v2, vcc, s8, v2
	v_addc_co_u32_e32 v3, vcc, v1, v3, vcc
	global_load_dwordx4 v[2:5], v[2:3], off
	s_waitcnt vmcnt(0)
	v_sub_co_u32_e32 v4, vcc, v4, v2
	v_subb_co_u32_e32 v5, vcc, v5, v3, vcc
	v_cmp_gt_i64_e32 vcc, v[4:5], v[6:7]
	s_and_saveexec_b64 s[22:23], vcc
	s_cbranch_execz .LBB21_12
; %bb.11:
	v_subrev_co_u32_e32 v1, vcc, s20, v2
	v_subbrev_co_u32_e32 v3, vcc, 0, v3, vcc
	v_add_co_u32_e32 v2, vcc, v1, v6
	v_addc_co_u32_e32 v3, vcc, 0, v3, vcc
	v_lshlrev_b64 v[4:5], 3, v[2:3]
	v_mov_b32_e32 v1, s11
	v_add_co_u32_e32 v4, vcc, s10, v4
	v_addc_co_u32_e32 v5, vcc, v1, v5, vcc
	global_load_dwordx2 v[4:5], v[4:5], off
	v_lshlrev_b64 v[2:3], 2, v[2:3]
	v_mov_b32_e32 v1, s13
	v_add_co_u32_e32 v2, vcc, s12, v2
	v_addc_co_u32_e32 v3, vcc, v1, v3, vcc
	global_load_dword v1, v[2:3], off
	v_mov_b32_e32 v8, s15
	s_waitcnt vmcnt(1)
	v_subrev_co_u32_e32 v2, vcc, s20, v4
	v_subbrev_co_u32_e32 v3, vcc, 0, v5, vcc
	v_lshlrev_b64 v[2:3], 2, v[2:3]
	v_add_co_u32_e32 v2, vcc, s14, v2
	v_addc_co_u32_e32 v3, vcc, v8, v3, vcc
	global_load_dword v2, v[2:3], off
	s_waitcnt vmcnt(1)
	v_mul_f32_e32 v1, s18, v1
	s_waitcnt vmcnt(0)
	v_mul_f32_e32 v9, v1, v2
.LBB21_12:
	s_or_b64 exec, exec, s[22:23]
	v_lshlrev_b32_e32 v1, 2, v0
	ds_write_b32 v1, v9 offset:1024
.LBB21_13:
	s_or_b64 exec, exec, s[6:7]
	v_or_b32_e32 v1, 0x200, v0
	v_lshrrev_b32_e32 v1, s2, v1
	v_add_u32_e32 v8, s4, v1
	v_cmp_gt_u32_e32 vcc, s5, v8
	s_and_saveexec_b64 s[6:7], vcc
	s_cbranch_execz .LBB21_17
; %bb.14:
	v_mov_b32_e32 v9, 0
	v_lshlrev_b64 v[2:3], 3, v[8:9]
	v_mov_b32_e32 v1, s19
	v_add_co_u32_e32 v2, vcc, s3, v2
	v_addc_co_u32_e32 v3, vcc, v1, v3, vcc
	global_load_dwordx2 v[2:3], v[2:3], off
	v_mov_b32_e32 v1, s9
	s_waitcnt vmcnt(0)
	v_lshlrev_b64 v[2:3], 3, v[2:3]
	v_add_co_u32_e32 v2, vcc, s8, v2
	v_addc_co_u32_e32 v3, vcc, v1, v3, vcc
	global_load_dwordx4 v[2:5], v[2:3], off
	s_waitcnt vmcnt(0)
	v_sub_co_u32_e32 v4, vcc, v4, v2
	v_subb_co_u32_e32 v5, vcc, v5, v3, vcc
	v_cmp_gt_i64_e32 vcc, v[4:5], v[6:7]
	s_and_saveexec_b64 s[22:23], vcc
	s_cbranch_execz .LBB21_16
; %bb.15:
	v_subrev_co_u32_e32 v1, vcc, s20, v2
	v_subbrev_co_u32_e32 v3, vcc, 0, v3, vcc
	v_add_co_u32_e32 v2, vcc, v1, v6
	v_addc_co_u32_e32 v3, vcc, 0, v3, vcc
	v_lshlrev_b64 v[4:5], 3, v[2:3]
	v_mov_b32_e32 v1, s11
	v_add_co_u32_e32 v4, vcc, s10, v4
	v_addc_co_u32_e32 v5, vcc, v1, v5, vcc
	global_load_dwordx2 v[4:5], v[4:5], off
	v_lshlrev_b64 v[2:3], 2, v[2:3]
	v_mov_b32_e32 v1, s13
	v_add_co_u32_e32 v2, vcc, s12, v2
	v_addc_co_u32_e32 v3, vcc, v1, v3, vcc
	global_load_dword v1, v[2:3], off
	v_mov_b32_e32 v8, s15
	s_waitcnt vmcnt(1)
	v_subrev_co_u32_e32 v2, vcc, s20, v4
	v_subbrev_co_u32_e32 v3, vcc, 0, v5, vcc
	v_lshlrev_b64 v[2:3], 2, v[2:3]
	v_add_co_u32_e32 v2, vcc, s14, v2
	v_addc_co_u32_e32 v3, vcc, v8, v3, vcc
	global_load_dword v2, v[2:3], off
	s_waitcnt vmcnt(1)
	v_mul_f32_e32 v1, s18, v1
	s_waitcnt vmcnt(0)
	v_mul_f32_e32 v9, v1, v2
.LBB21_16:
	s_or_b64 exec, exec, s[22:23]
	v_lshlrev_b32_e32 v1, 2, v0
	ds_write_b32 v1, v9 offset:2048
.LBB21_17:
	s_or_b64 exec, exec, s[6:7]
	v_or_b32_e32 v1, 0x300, v0
	v_lshrrev_b32_e32 v1, s2, v1
	v_add_u32_e32 v8, s4, v1
	v_cmp_gt_u32_e32 vcc, s5, v8
	s_and_saveexec_b64 s[6:7], vcc
	s_cbranch_execz .LBB21_21
; %bb.18:
	v_mov_b32_e32 v9, 0
	v_lshlrev_b64 v[2:3], 3, v[8:9]
	v_mov_b32_e32 v1, s19
	v_add_co_u32_e32 v2, vcc, s3, v2
	v_addc_co_u32_e32 v3, vcc, v1, v3, vcc
	global_load_dwordx2 v[2:3], v[2:3], off
	v_mov_b32_e32 v1, s9
	s_waitcnt vmcnt(0)
	v_lshlrev_b64 v[2:3], 3, v[2:3]
	v_add_co_u32_e32 v2, vcc, s8, v2
	v_addc_co_u32_e32 v3, vcc, v1, v3, vcc
	global_load_dwordx4 v[2:5], v[2:3], off
	s_waitcnt vmcnt(0)
	v_sub_co_u32_e32 v4, vcc, v4, v2
	v_subb_co_u32_e32 v5, vcc, v5, v3, vcc
	v_cmp_gt_i64_e32 vcc, v[4:5], v[6:7]
	s_and_saveexec_b64 s[8:9], vcc
	s_cbranch_execz .LBB21_20
; %bb.19:
	v_subrev_co_u32_e32 v1, vcc, s20, v2
	v_subbrev_co_u32_e32 v3, vcc, 0, v3, vcc
	v_add_co_u32_e32 v2, vcc, v1, v6
	v_addc_co_u32_e32 v3, vcc, 0, v3, vcc
	v_lshlrev_b64 v[4:5], 3, v[2:3]
	v_mov_b32_e32 v1, s11
	v_add_co_u32_e32 v4, vcc, s10, v4
	v_addc_co_u32_e32 v5, vcc, v1, v5, vcc
	global_load_dwordx2 v[4:5], v[4:5], off
	v_lshlrev_b64 v[2:3], 2, v[2:3]
	v_mov_b32_e32 v1, s13
	v_add_co_u32_e32 v2, vcc, s12, v2
	v_addc_co_u32_e32 v3, vcc, v1, v3, vcc
	global_load_dword v1, v[2:3], off
	v_mov_b32_e32 v6, s15
	s_waitcnt vmcnt(1)
	v_subrev_co_u32_e32 v2, vcc, s20, v4
	v_subbrev_co_u32_e32 v3, vcc, 0, v5, vcc
	v_lshlrev_b64 v[2:3], 2, v[2:3]
	v_add_co_u32_e32 v2, vcc, s14, v2
	v_addc_co_u32_e32 v3, vcc, v6, v3, vcc
	global_load_dword v2, v[2:3], off
	s_waitcnt vmcnt(1)
	v_mul_f32_e32 v1, s18, v1
	s_waitcnt vmcnt(0)
	v_mul_f32_e32 v9, v1, v2
.LBB21_20:
	s_or_b64 exec, exec, s[8:9]
	v_lshlrev_b32_e32 v1, 2, v0
	ds_write_b32 v1, v9 offset:3072
.LBB21_21:
	s_or_b64 exec, exec, s[6:7]
	s_cmp_lt_u32 s2, 11
	s_waitcnt lgkmcnt(0)
	s_barrier
	s_cbranch_scc0 .LBB21_30
; %bb.22:
	s_sub_i32 s10, s5, s4
	s_mov_b32 s5, 0
	s_lshl_b64 s[6:7], s[4:5], 3
	s_add_u32 s3, s3, s6
	s_addc_u32 s4, s19, s7
	v_cmp_neq_f32_e64 s[6:7], s0, 0
	v_mov_b32_e32 v3, 0
	s_branch .LBB21_25
.LBB21_23:                              ;   in Loop: Header=BB21_25 Depth=1
	v_mov_b32_e32 v2, s17
	v_add_co_u32_e32 v4, vcc, s16, v4
	v_addc_co_u32_e32 v5, vcc, v2, v5, vcc
	global_store_dword v[4:5], v1, off
.LBB21_24:                              ;   in Loop: Header=BB21_25 Depth=1
	s_or_b64 exec, exec, s[8:9]
	s_addk_i32 s5, 0x100
	s_cmp_lt_u32 s5, s1
	s_cbranch_scc0 .LBB21_30
.LBB21_25:                              ; =>This Loop Header: Depth=1
                                        ;     Child Loop BB21_27 Depth 2
	v_add_u32_e32 v2, s5, v0
	v_cmp_gt_u32_e32 vcc, s10, v2
	s_and_saveexec_b64 s[8:9], vcc
	s_cbranch_execz .LBB21_24
; %bb.26:                               ;   in Loop: Header=BB21_25 Depth=1
	v_lshlrev_b64 v[4:5], 3, v[2:3]
	v_mov_b32_e32 v1, s4
	v_add_co_u32_e32 v4, vcc, s3, v4
	v_addc_co_u32_e32 v5, vcc, v1, v5, vcc
	global_load_dwordx2 v[4:5], v[4:5], off
	v_lshlrev_b32_e32 v1, s2, v2
	v_lshlrev_b32_e32 v2, 2, v1
	s_mov_b32 s11, 1
	v_mov_b32_e32 v1, 0
.LBB21_27:                              ;   Parent Loop BB21_25 Depth=1
                                        ; =>  This Inner Loop Header: Depth=2
	ds_read_b32 v6, v2
	s_lshr_b32 s12, s11, s2
	s_add_i32 s11, s11, 1
	v_add_u32_e32 v2, 4, v2
	s_cmp_lg_u32 s12, 0
	s_waitcnt lgkmcnt(0)
	v_add_f32_e32 v1, v1, v6
	s_cbranch_scc0 .LBB21_27
; %bb.28:                               ;   in Loop: Header=BB21_25 Depth=1
	s_and_b64 vcc, exec, s[6:7]
	s_waitcnt vmcnt(0)
	v_lshlrev_b64 v[4:5], 2, v[4:5]
	s_cbranch_vccz .LBB21_23
; %bb.29:                               ;   in Loop: Header=BB21_25 Depth=1
	v_mov_b32_e32 v2, s17
	v_add_co_u32_e32 v6, vcc, s16, v4
	v_addc_co_u32_e32 v7, vcc, v2, v5, vcc
	global_load_dword v2, v[6:7], off
	s_waitcnt vmcnt(0)
	v_fmac_f32_e32 v1, s0, v2
	s_branch .LBB21_23
.LBB21_30:
	s_endpgm
	.section	.rodata,"a",@progbits
	.p2align	6, 0x0
	.amdhsa_kernel _ZN9rocsparseL30csrmvn_lrb_short_rows_2_kernelIllffffEEvbT_PT0_S3_jNS_24const_host_device_scalarIT4_EEPKS1_PKS2_PKT1_PKT2_S6_PT3_21rocsparse_index_base_b
		.amdhsa_group_segment_fixed_size 4096
		.amdhsa_private_segment_fixed_size 0
		.amdhsa_kernarg_size 104
		.amdhsa_user_sgpr_count 6
		.amdhsa_user_sgpr_private_segment_buffer 1
		.amdhsa_user_sgpr_dispatch_ptr 0
		.amdhsa_user_sgpr_queue_ptr 0
		.amdhsa_user_sgpr_kernarg_segment_ptr 1
		.amdhsa_user_sgpr_dispatch_id 0
		.amdhsa_user_sgpr_flat_scratch_init 0
		.amdhsa_user_sgpr_kernarg_preload_length 0
		.amdhsa_user_sgpr_kernarg_preload_offset 0
		.amdhsa_user_sgpr_private_segment_size 0
		.amdhsa_uses_dynamic_stack 0
		.amdhsa_system_sgpr_private_segment_wavefront_offset 0
		.amdhsa_system_sgpr_workgroup_id_x 1
		.amdhsa_system_sgpr_workgroup_id_y 0
		.amdhsa_system_sgpr_workgroup_id_z 0
		.amdhsa_system_sgpr_workgroup_info 0
		.amdhsa_system_vgpr_workitem_id 0
		.amdhsa_next_free_vgpr 10
		.amdhsa_next_free_sgpr 30
		.amdhsa_accum_offset 12
		.amdhsa_reserve_vcc 1
		.amdhsa_reserve_flat_scratch 0
		.amdhsa_float_round_mode_32 0
		.amdhsa_float_round_mode_16_64 0
		.amdhsa_float_denorm_mode_32 3
		.amdhsa_float_denorm_mode_16_64 3
		.amdhsa_dx10_clamp 1
		.amdhsa_ieee_mode 1
		.amdhsa_fp16_overflow 0
		.amdhsa_tg_split 0
		.amdhsa_exception_fp_ieee_invalid_op 0
		.amdhsa_exception_fp_denorm_src 0
		.amdhsa_exception_fp_ieee_div_zero 0
		.amdhsa_exception_fp_ieee_overflow 0
		.amdhsa_exception_fp_ieee_underflow 0
		.amdhsa_exception_fp_ieee_inexact 0
		.amdhsa_exception_int_div_zero 0
	.end_amdhsa_kernel
	.section	.text._ZN9rocsparseL30csrmvn_lrb_short_rows_2_kernelIllffffEEvbT_PT0_S3_jNS_24const_host_device_scalarIT4_EEPKS1_PKS2_PKT1_PKT2_S6_PT3_21rocsparse_index_base_b,"axG",@progbits,_ZN9rocsparseL30csrmvn_lrb_short_rows_2_kernelIllffffEEvbT_PT0_S3_jNS_24const_host_device_scalarIT4_EEPKS1_PKS2_PKT1_PKT2_S6_PT3_21rocsparse_index_base_b,comdat
.Lfunc_end21:
	.size	_ZN9rocsparseL30csrmvn_lrb_short_rows_2_kernelIllffffEEvbT_PT0_S3_jNS_24const_host_device_scalarIT4_EEPKS1_PKS2_PKT1_PKT2_S6_PT3_21rocsparse_index_base_b, .Lfunc_end21-_ZN9rocsparseL30csrmvn_lrb_short_rows_2_kernelIllffffEEvbT_PT0_S3_jNS_24const_host_device_scalarIT4_EEPKS1_PKS2_PKT1_PKT2_S6_PT3_21rocsparse_index_base_b
                                        ; -- End function
	.section	.AMDGPU.csdata,"",@progbits
; Kernel info:
; codeLenInByte = 1536
; NumSgprs: 34
; NumVgprs: 10
; NumAgprs: 0
; TotalNumVgprs: 10
; ScratchSize: 0
; MemoryBound: 0
; FloatMode: 240
; IeeeMode: 1
; LDSByteSize: 4096 bytes/workgroup (compile time only)
; SGPRBlocks: 4
; VGPRBlocks: 1
; NumSGPRsForWavesPerEU: 34
; NumVGPRsForWavesPerEU: 10
; AccumOffset: 12
; Occupancy: 8
; WaveLimiterHint : 1
; COMPUTE_PGM_RSRC2:SCRATCH_EN: 0
; COMPUTE_PGM_RSRC2:USER_SGPR: 6
; COMPUTE_PGM_RSRC2:TRAP_HANDLER: 0
; COMPUTE_PGM_RSRC2:TGID_X_EN: 1
; COMPUTE_PGM_RSRC2:TGID_Y_EN: 0
; COMPUTE_PGM_RSRC2:TGID_Z_EN: 0
; COMPUTE_PGM_RSRC2:TIDIG_COMP_CNT: 0
; COMPUTE_PGM_RSRC3_GFX90A:ACCUM_OFFSET: 2
; COMPUTE_PGM_RSRC3_GFX90A:TG_SPLIT: 0
	.section	.text._ZN9rocsparseL41csrmvn_lrb_medium_rows_warp_reduce_kernelILj256ELj32EllffffEEvbT1_lPT2_S3_jNS_24const_host_device_scalarIT6_EEPKS1_PKS2_PKT3_PKT4_S6_PT5_21rocsparse_index_base_b,"axG",@progbits,_ZN9rocsparseL41csrmvn_lrb_medium_rows_warp_reduce_kernelILj256ELj32EllffffEEvbT1_lPT2_S3_jNS_24const_host_device_scalarIT6_EEPKS1_PKS2_PKT3_PKT4_S6_PT5_21rocsparse_index_base_b,comdat
	.globl	_ZN9rocsparseL41csrmvn_lrb_medium_rows_warp_reduce_kernelILj256ELj32EllffffEEvbT1_lPT2_S3_jNS_24const_host_device_scalarIT6_EEPKS1_PKS2_PKT3_PKT4_S6_PT5_21rocsparse_index_base_b ; -- Begin function _ZN9rocsparseL41csrmvn_lrb_medium_rows_warp_reduce_kernelILj256ELj32EllffffEEvbT1_lPT2_S3_jNS_24const_host_device_scalarIT6_EEPKS1_PKS2_PKT3_PKT4_S6_PT5_21rocsparse_index_base_b
	.p2align	8
	.type	_ZN9rocsparseL41csrmvn_lrb_medium_rows_warp_reduce_kernelILj256ELj32EllffffEEvbT1_lPT2_S3_jNS_24const_host_device_scalarIT6_EEPKS1_PKS2_PKT3_PKT4_S6_PT5_21rocsparse_index_base_b,@function
_ZN9rocsparseL41csrmvn_lrb_medium_rows_warp_reduce_kernelILj256ELj32EllffffEEvbT1_lPT2_S3_jNS_24const_host_device_scalarIT6_EEPKS1_PKS2_PKT3_PKT4_S6_PT5_21rocsparse_index_base_b: ; @_ZN9rocsparseL41csrmvn_lrb_medium_rows_warp_reduce_kernelILj256ELj32EllffffEEvbT1_lPT2_S3_jNS_24const_host_device_scalarIT6_EEPKS1_PKS2_PKT3_PKT4_S6_PT5_21rocsparse_index_base_b
; %bb.0:
	s_load_dwordx2 s[8:9], s[4:5], 0x68
	s_load_dwordx2 s[10:11], s[4:5], 0x30
	;; [unrolled: 1-line block ×3, first 2 shown]
	s_waitcnt lgkmcnt(0)
	s_bitcmp1_b32 s9, 0
	s_cselect_b64 s[12:13], -1, 0
	s_xor_b64 s[0:1], s[12:13], -1
	s_and_b64 vcc, exec, s[12:13]
	s_cbranch_vccnz .LBB22_2
; %bb.1:
	s_load_dword s10, s[10:11], 0x0
.LBB22_2:
	s_andn2_b64 vcc, exec, s[0:1]
	s_cbranch_vccnz .LBB22_4
; %bb.3:
	s_load_dword s2, s[2:3], 0x0
.LBB22_4:
	s_waitcnt lgkmcnt(0)
	v_cmp_neq_f32_e64 s[0:1], s10, 0
	v_cmp_neq_f32_e64 s[12:13], s2, 1.0
	s_or_b64 s[0:1], s[0:1], s[12:13]
	s_andn2_b64 vcc, exec, s[0:1]
	s_cbranch_vccnz .LBB22_14
; %bb.5:
	s_load_dwordx2 s[0:1], s[4:5], 0x10
	v_lshrrev_b32_e32 v1, 5, v0
	v_lshl_or_b32 v2, s6, 3, v1
	v_ashrrev_i32_e32 v3, 31, v2
	s_waitcnt lgkmcnt(0)
	v_cmp_gt_i64_e32 vcc, s[0:1], v[2:3]
	s_and_saveexec_b64 s[0:1], vcc
	s_cbranch_execz .LBB22_14
; %bb.6:
	s_load_dword s0, s[4:5], 0x28
	s_load_dwordx4 s[12:15], s[4:5], 0x18
	s_mov_b32 s1, 0
	v_lshlrev_b64 v[2:3], 3, v[2:3]
	v_and_b32_e32 v10, 31, v0
	s_waitcnt lgkmcnt(0)
	s_lshl_b64 s[6:7], s[0:1], 3
	s_add_u32 s6, s14, s6
	s_addc_u32 s7, s15, s7
	s_load_dwordx2 s[6:7], s[6:7], 0x0
	v_mov_b32_e32 v11, 0
	s_waitcnt lgkmcnt(0)
	s_lshl_b64 s[6:7], s[6:7], 3
	s_add_u32 s0, s12, s6
	s_addc_u32 s3, s13, s7
	v_mov_b32_e32 v1, s3
	v_add_co_u32_e32 v2, vcc, s0, v2
	v_addc_co_u32_e32 v3, vcc, v1, v3, vcc
	global_load_dwordx2 v[2:3], v[2:3], off
	s_load_dwordx2 s[6:7], s[4:5], 0x38
	s_waitcnt lgkmcnt(0)
	v_mov_b32_e32 v1, s7
	s_waitcnt vmcnt(0)
	v_lshlrev_b64 v[4:5], 3, v[2:3]
	v_add_co_u32_e32 v4, vcc, s6, v4
	v_addc_co_u32_e32 v5, vcc, v1, v5, vcc
	global_load_dwordx4 v[4:7], v[4:5], off
	v_subrev_co_u32_e32 v8, vcc, s8, v10
	s_load_dwordx2 s[6:7], s[4:5], 0x60
	v_subb_co_u32_e64 v9, s[12:13], 0, 0, vcc
	s_waitcnt vmcnt(0)
	v_subrev_co_u32_e32 v0, vcc, s8, v6
	v_subbrev_co_u32_e32 v1, vcc, 0, v7, vcc
	v_add_co_u32_e32 v4, vcc, v4, v8
	v_addc_co_u32_e32 v5, vcc, v5, v9, vcc
	v_cmp_lt_i64_e32 vcc, v[4:5], v[0:1]
	s_and_saveexec_b64 s[12:13], vcc
	s_cbranch_execz .LBB22_10
; %bb.7:
	s_load_dwordx4 s[16:19], s[4:5], 0x40
	s_load_dwordx2 s[14:15], s[4:5], 0x50
	v_lshlrev_b64 v[6:7], 2, v[4:5]
	s_mov_b64 s[4:5], 0
	v_mov_b32_e32 v12, s1
	s_waitcnt lgkmcnt(0)
	v_mov_b32_e32 v8, s19
	v_add_co_u32_e32 v6, vcc, s18, v6
	v_addc_co_u32_e32 v7, vcc, v8, v7, vcc
	v_lshlrev_b64 v[8:9], 3, v[4:5]
	v_mov_b32_e32 v11, s17
	v_add_co_u32_e32 v8, vcc, s16, v8
	v_addc_co_u32_e32 v9, vcc, v11, v9, vcc
	v_mov_b32_e32 v11, 0
	v_mov_b32_e32 v13, s15
.LBB22_8:                               ; =>This Inner Loop Header: Depth=1
	global_load_dwordx2 v[14:15], v[8:9], off
	global_load_dword v16, v[6:7], off
	s_waitcnt vmcnt(1)
	v_subrev_co_u32_e32 v14, vcc, s8, v14
	v_subb_co_u32_e32 v15, vcc, v15, v12, vcc
	v_lshlrev_b64 v[14:15], 2, v[14:15]
	v_add_co_u32_e32 v14, vcc, s14, v14
	v_addc_co_u32_e32 v15, vcc, v13, v15, vcc
	global_load_dword v14, v[14:15], off
	v_add_co_u32_e32 v4, vcc, 32, v4
	v_addc_co_u32_e32 v5, vcc, 0, v5, vcc
	v_add_co_u32_e32 v6, vcc, 0x80, v6
	v_addc_co_u32_e32 v7, vcc, 0, v7, vcc
	v_add_co_u32_e32 v8, vcc, 0x100, v8
	v_cmp_ge_i64_e64 s[0:1], v[4:5], v[0:1]
	s_waitcnt vmcnt(1)
	v_mul_f32_e32 v15, s10, v16
	v_addc_co_u32_e32 v9, vcc, 0, v9, vcc
	s_or_b64 s[4:5], s[0:1], s[4:5]
	s_waitcnt vmcnt(0)
	v_fmac_f32_e32 v11, v15, v14
	s_andn2_b64 exec, exec, s[4:5]
	s_cbranch_execnz .LBB22_8
; %bb.9:
	s_or_b64 exec, exec, s[4:5]
.LBB22_10:
	s_or_b64 exec, exec, s[12:13]
	v_mov_b32_dpp v0, v11 row_shr:1 row_mask:0xf bank_mask:0xf
	v_add_f32_e32 v0, v11, v0
	v_cmp_eq_u32_e32 vcc, 31, v10
	s_nop 0
	v_mov_b32_dpp v1, v0 row_shr:2 row_mask:0xf bank_mask:0xf
	v_add_f32_e32 v0, v0, v1
	s_nop 1
	v_mov_b32_dpp v1, v0 row_shr:4 row_mask:0xf bank_mask:0xe
	v_add_f32_e32 v0, v0, v1
	;; [unrolled: 3-line block ×3, first 2 shown]
	s_nop 1
	v_mov_b32_dpp v1, v0 row_bcast:15 row_mask:0xa bank_mask:0xf
	s_and_b64 exec, exec, vcc
	s_cbranch_execz .LBB22_14
; %bb.11:
	v_cmp_eq_f32_e64 s[0:1], s2, 0
	v_add_f32_e32 v4, v0, v1
	s_and_b64 vcc, exec, s[0:1]
	v_lshlrev_b64 v[0:1], 2, v[2:3]
	s_cbranch_vccnz .LBB22_13
; %bb.12:
	s_waitcnt lgkmcnt(0)
	v_mov_b32_e32 v3, s7
	v_add_co_u32_e32 v2, vcc, s6, v0
	v_addc_co_u32_e32 v3, vcc, v3, v1, vcc
	global_load_dword v2, v[2:3], off
	s_waitcnt vmcnt(0)
	v_fmac_f32_e32 v4, s2, v2
.LBB22_13:
	s_waitcnt lgkmcnt(0)
	v_mov_b32_e32 v2, s7
	v_add_co_u32_e32 v0, vcc, s6, v0
	v_addc_co_u32_e32 v1, vcc, v2, v1, vcc
	global_store_dword v[0:1], v4, off
.LBB22_14:
	s_endpgm
	.section	.rodata,"a",@progbits
	.p2align	6, 0x0
	.amdhsa_kernel _ZN9rocsparseL41csrmvn_lrb_medium_rows_warp_reduce_kernelILj256ELj32EllffffEEvbT1_lPT2_S3_jNS_24const_host_device_scalarIT6_EEPKS1_PKS2_PKT3_PKT4_S6_PT5_21rocsparse_index_base_b
		.amdhsa_group_segment_fixed_size 0
		.amdhsa_private_segment_fixed_size 0
		.amdhsa_kernarg_size 112
		.amdhsa_user_sgpr_count 6
		.amdhsa_user_sgpr_private_segment_buffer 1
		.amdhsa_user_sgpr_dispatch_ptr 0
		.amdhsa_user_sgpr_queue_ptr 0
		.amdhsa_user_sgpr_kernarg_segment_ptr 1
		.amdhsa_user_sgpr_dispatch_id 0
		.amdhsa_user_sgpr_flat_scratch_init 0
		.amdhsa_user_sgpr_kernarg_preload_length 0
		.amdhsa_user_sgpr_kernarg_preload_offset 0
		.amdhsa_user_sgpr_private_segment_size 0
		.amdhsa_uses_dynamic_stack 0
		.amdhsa_system_sgpr_private_segment_wavefront_offset 0
		.amdhsa_system_sgpr_workgroup_id_x 1
		.amdhsa_system_sgpr_workgroup_id_y 0
		.amdhsa_system_sgpr_workgroup_id_z 0
		.amdhsa_system_sgpr_workgroup_info 0
		.amdhsa_system_vgpr_workitem_id 0
		.amdhsa_next_free_vgpr 17
		.amdhsa_next_free_sgpr 20
		.amdhsa_accum_offset 20
		.amdhsa_reserve_vcc 1
		.amdhsa_reserve_flat_scratch 0
		.amdhsa_float_round_mode_32 0
		.amdhsa_float_round_mode_16_64 0
		.amdhsa_float_denorm_mode_32 3
		.amdhsa_float_denorm_mode_16_64 3
		.amdhsa_dx10_clamp 1
		.amdhsa_ieee_mode 1
		.amdhsa_fp16_overflow 0
		.amdhsa_tg_split 0
		.amdhsa_exception_fp_ieee_invalid_op 0
		.amdhsa_exception_fp_denorm_src 0
		.amdhsa_exception_fp_ieee_div_zero 0
		.amdhsa_exception_fp_ieee_overflow 0
		.amdhsa_exception_fp_ieee_underflow 0
		.amdhsa_exception_fp_ieee_inexact 0
		.amdhsa_exception_int_div_zero 0
	.end_amdhsa_kernel
	.section	.text._ZN9rocsparseL41csrmvn_lrb_medium_rows_warp_reduce_kernelILj256ELj32EllffffEEvbT1_lPT2_S3_jNS_24const_host_device_scalarIT6_EEPKS1_PKS2_PKT3_PKT4_S6_PT5_21rocsparse_index_base_b,"axG",@progbits,_ZN9rocsparseL41csrmvn_lrb_medium_rows_warp_reduce_kernelILj256ELj32EllffffEEvbT1_lPT2_S3_jNS_24const_host_device_scalarIT6_EEPKS1_PKS2_PKT3_PKT4_S6_PT5_21rocsparse_index_base_b,comdat
.Lfunc_end22:
	.size	_ZN9rocsparseL41csrmvn_lrb_medium_rows_warp_reduce_kernelILj256ELj32EllffffEEvbT1_lPT2_S3_jNS_24const_host_device_scalarIT6_EEPKS1_PKS2_PKT3_PKT4_S6_PT5_21rocsparse_index_base_b, .Lfunc_end22-_ZN9rocsparseL41csrmvn_lrb_medium_rows_warp_reduce_kernelILj256ELj32EllffffEEvbT1_lPT2_S3_jNS_24const_host_device_scalarIT6_EEPKS1_PKS2_PKT3_PKT4_S6_PT5_21rocsparse_index_base_b
                                        ; -- End function
	.section	.AMDGPU.csdata,"",@progbits
; Kernel info:
; codeLenInByte = 712
; NumSgprs: 24
; NumVgprs: 17
; NumAgprs: 0
; TotalNumVgprs: 17
; ScratchSize: 0
; MemoryBound: 0
; FloatMode: 240
; IeeeMode: 1
; LDSByteSize: 0 bytes/workgroup (compile time only)
; SGPRBlocks: 2
; VGPRBlocks: 2
; NumSGPRsForWavesPerEU: 24
; NumVGPRsForWavesPerEU: 17
; AccumOffset: 20
; Occupancy: 8
; WaveLimiterHint : 1
; COMPUTE_PGM_RSRC2:SCRATCH_EN: 0
; COMPUTE_PGM_RSRC2:USER_SGPR: 6
; COMPUTE_PGM_RSRC2:TRAP_HANDLER: 0
; COMPUTE_PGM_RSRC2:TGID_X_EN: 1
; COMPUTE_PGM_RSRC2:TGID_Y_EN: 0
; COMPUTE_PGM_RSRC2:TGID_Z_EN: 0
; COMPUTE_PGM_RSRC2:TIDIG_COMP_CNT: 0
; COMPUTE_PGM_RSRC3_GFX90A:ACCUM_OFFSET: 4
; COMPUTE_PGM_RSRC3_GFX90A:TG_SPLIT: 0
	.section	.text._ZN9rocsparseL41csrmvn_lrb_medium_rows_warp_reduce_kernelILj256ELj64EllffffEEvbT1_lPT2_S3_jNS_24const_host_device_scalarIT6_EEPKS1_PKS2_PKT3_PKT4_S6_PT5_21rocsparse_index_base_b,"axG",@progbits,_ZN9rocsparseL41csrmvn_lrb_medium_rows_warp_reduce_kernelILj256ELj64EllffffEEvbT1_lPT2_S3_jNS_24const_host_device_scalarIT6_EEPKS1_PKS2_PKT3_PKT4_S6_PT5_21rocsparse_index_base_b,comdat
	.globl	_ZN9rocsparseL41csrmvn_lrb_medium_rows_warp_reduce_kernelILj256ELj64EllffffEEvbT1_lPT2_S3_jNS_24const_host_device_scalarIT6_EEPKS1_PKS2_PKT3_PKT4_S6_PT5_21rocsparse_index_base_b ; -- Begin function _ZN9rocsparseL41csrmvn_lrb_medium_rows_warp_reduce_kernelILj256ELj64EllffffEEvbT1_lPT2_S3_jNS_24const_host_device_scalarIT6_EEPKS1_PKS2_PKT3_PKT4_S6_PT5_21rocsparse_index_base_b
	.p2align	8
	.type	_ZN9rocsparseL41csrmvn_lrb_medium_rows_warp_reduce_kernelILj256ELj64EllffffEEvbT1_lPT2_S3_jNS_24const_host_device_scalarIT6_EEPKS1_PKS2_PKT3_PKT4_S6_PT5_21rocsparse_index_base_b,@function
_ZN9rocsparseL41csrmvn_lrb_medium_rows_warp_reduce_kernelILj256ELj64EllffffEEvbT1_lPT2_S3_jNS_24const_host_device_scalarIT6_EEPKS1_PKS2_PKT3_PKT4_S6_PT5_21rocsparse_index_base_b: ; @_ZN9rocsparseL41csrmvn_lrb_medium_rows_warp_reduce_kernelILj256ELj64EllffffEEvbT1_lPT2_S3_jNS_24const_host_device_scalarIT6_EEPKS1_PKS2_PKT3_PKT4_S6_PT5_21rocsparse_index_base_b
; %bb.0:
	s_load_dwordx2 s[8:9], s[4:5], 0x68
	s_load_dwordx2 s[10:11], s[4:5], 0x30
	;; [unrolled: 1-line block ×3, first 2 shown]
	s_waitcnt lgkmcnt(0)
	s_bitcmp1_b32 s9, 0
	s_cselect_b64 s[12:13], -1, 0
	s_xor_b64 s[0:1], s[12:13], -1
	s_and_b64 vcc, exec, s[12:13]
	s_cbranch_vccnz .LBB23_2
; %bb.1:
	s_load_dword s10, s[10:11], 0x0
.LBB23_2:
	s_andn2_b64 vcc, exec, s[0:1]
	s_cbranch_vccnz .LBB23_4
; %bb.3:
	s_load_dword s2, s[2:3], 0x0
.LBB23_4:
	s_waitcnt lgkmcnt(0)
	v_cmp_neq_f32_e64 s[0:1], s10, 0
	v_cmp_neq_f32_e64 s[12:13], s2, 1.0
	s_or_b64 s[0:1], s[0:1], s[12:13]
	s_andn2_b64 vcc, exec, s[0:1]
	s_cbranch_vccnz .LBB23_14
; %bb.5:
	s_load_dwordx2 s[0:1], s[4:5], 0x10
	v_lshrrev_b32_e32 v1, 6, v0
	v_lshl_or_b32 v2, s6, 2, v1
	v_ashrrev_i32_e32 v3, 31, v2
	s_waitcnt lgkmcnt(0)
	v_cmp_gt_i64_e32 vcc, s[0:1], v[2:3]
	s_and_saveexec_b64 s[0:1], vcc
	s_cbranch_execz .LBB23_14
; %bb.6:
	s_load_dword s0, s[4:5], 0x28
	s_load_dwordx4 s[12:15], s[4:5], 0x18
	s_mov_b32 s1, 0
	v_lshlrev_b64 v[2:3], 3, v[2:3]
	v_and_b32_e32 v10, 63, v0
	s_waitcnt lgkmcnt(0)
	s_lshl_b64 s[6:7], s[0:1], 3
	s_add_u32 s6, s14, s6
	s_addc_u32 s7, s15, s7
	s_load_dwordx2 s[6:7], s[6:7], 0x0
	v_mov_b32_e32 v11, 0
	s_waitcnt lgkmcnt(0)
	s_lshl_b64 s[6:7], s[6:7], 3
	s_add_u32 s0, s12, s6
	s_addc_u32 s3, s13, s7
	v_mov_b32_e32 v1, s3
	v_add_co_u32_e32 v2, vcc, s0, v2
	v_addc_co_u32_e32 v3, vcc, v1, v3, vcc
	global_load_dwordx2 v[2:3], v[2:3], off
	s_load_dwordx2 s[6:7], s[4:5], 0x38
	s_waitcnt lgkmcnt(0)
	v_mov_b32_e32 v1, s7
	s_waitcnt vmcnt(0)
	v_lshlrev_b64 v[4:5], 3, v[2:3]
	v_add_co_u32_e32 v4, vcc, s6, v4
	v_addc_co_u32_e32 v5, vcc, v1, v5, vcc
	global_load_dwordx4 v[4:7], v[4:5], off
	v_subrev_co_u32_e32 v8, vcc, s8, v10
	s_load_dwordx2 s[6:7], s[4:5], 0x60
	v_subb_co_u32_e64 v9, s[12:13], 0, 0, vcc
	s_waitcnt vmcnt(0)
	v_subrev_co_u32_e32 v0, vcc, s8, v6
	v_subbrev_co_u32_e32 v1, vcc, 0, v7, vcc
	v_add_co_u32_e32 v4, vcc, v4, v8
	v_addc_co_u32_e32 v5, vcc, v5, v9, vcc
	v_cmp_lt_i64_e32 vcc, v[4:5], v[0:1]
	s_and_saveexec_b64 s[12:13], vcc
	s_cbranch_execz .LBB23_10
; %bb.7:
	s_load_dwordx4 s[16:19], s[4:5], 0x40
	s_load_dwordx2 s[14:15], s[4:5], 0x50
	v_lshlrev_b64 v[6:7], 2, v[4:5]
	s_mov_b64 s[4:5], 0
	v_mov_b32_e32 v12, s1
	s_waitcnt lgkmcnt(0)
	v_mov_b32_e32 v8, s19
	v_add_co_u32_e32 v6, vcc, s18, v6
	v_addc_co_u32_e32 v7, vcc, v8, v7, vcc
	v_lshlrev_b64 v[8:9], 3, v[4:5]
	v_mov_b32_e32 v11, s17
	v_add_co_u32_e32 v8, vcc, s16, v8
	v_addc_co_u32_e32 v9, vcc, v11, v9, vcc
	v_mov_b32_e32 v11, 0
	v_mov_b32_e32 v13, s15
.LBB23_8:                               ; =>This Inner Loop Header: Depth=1
	global_load_dwordx2 v[14:15], v[8:9], off
	global_load_dword v16, v[6:7], off
	s_waitcnt vmcnt(1)
	v_subrev_co_u32_e32 v14, vcc, s8, v14
	v_subb_co_u32_e32 v15, vcc, v15, v12, vcc
	v_lshlrev_b64 v[14:15], 2, v[14:15]
	v_add_co_u32_e32 v14, vcc, s14, v14
	v_addc_co_u32_e32 v15, vcc, v13, v15, vcc
	global_load_dword v14, v[14:15], off
	v_add_co_u32_e32 v4, vcc, 64, v4
	v_addc_co_u32_e32 v5, vcc, 0, v5, vcc
	v_add_co_u32_e32 v6, vcc, 0x100, v6
	v_addc_co_u32_e32 v7, vcc, 0, v7, vcc
	v_add_co_u32_e32 v8, vcc, 0x200, v8
	v_cmp_ge_i64_e64 s[0:1], v[4:5], v[0:1]
	s_waitcnt vmcnt(1)
	v_mul_f32_e32 v15, s10, v16
	v_addc_co_u32_e32 v9, vcc, 0, v9, vcc
	s_or_b64 s[4:5], s[0:1], s[4:5]
	s_waitcnt vmcnt(0)
	v_fmac_f32_e32 v11, v15, v14
	s_andn2_b64 exec, exec, s[4:5]
	s_cbranch_execnz .LBB23_8
; %bb.9:
	s_or_b64 exec, exec, s[4:5]
.LBB23_10:
	s_or_b64 exec, exec, s[12:13]
	v_mov_b32_dpp v0, v11 row_shr:1 row_mask:0xf bank_mask:0xf
	v_add_f32_e32 v0, v11, v0
	v_cmp_eq_u32_e32 vcc, 63, v10
	s_nop 0
	v_mov_b32_dpp v1, v0 row_shr:2 row_mask:0xf bank_mask:0xf
	v_add_f32_e32 v0, v0, v1
	s_nop 1
	v_mov_b32_dpp v1, v0 row_shr:4 row_mask:0xf bank_mask:0xe
	v_add_f32_e32 v0, v0, v1
	;; [unrolled: 3-line block ×3, first 2 shown]
	s_nop 1
	v_mov_b32_dpp v1, v0 row_bcast:15 row_mask:0xa bank_mask:0xf
	v_add_f32_e32 v0, v0, v1
	s_nop 1
	v_mov_b32_dpp v1, v0 row_bcast:31 row_mask:0xc bank_mask:0xf
	s_and_b64 exec, exec, vcc
	s_cbranch_execz .LBB23_14
; %bb.11:
	v_cmp_eq_f32_e64 s[0:1], s2, 0
	v_add_f32_e32 v4, v0, v1
	s_and_b64 vcc, exec, s[0:1]
	v_lshlrev_b64 v[0:1], 2, v[2:3]
	s_cbranch_vccnz .LBB23_13
; %bb.12:
	s_waitcnt lgkmcnt(0)
	v_mov_b32_e32 v3, s7
	v_add_co_u32_e32 v2, vcc, s6, v0
	v_addc_co_u32_e32 v3, vcc, v3, v1, vcc
	global_load_dword v2, v[2:3], off
	s_waitcnt vmcnt(0)
	v_fmac_f32_e32 v4, s2, v2
.LBB23_13:
	s_waitcnt lgkmcnt(0)
	v_mov_b32_e32 v2, s7
	v_add_co_u32_e32 v0, vcc, s6, v0
	v_addc_co_u32_e32 v1, vcc, v2, v1, vcc
	global_store_dword v[0:1], v4, off
.LBB23_14:
	s_endpgm
	.section	.rodata,"a",@progbits
	.p2align	6, 0x0
	.amdhsa_kernel _ZN9rocsparseL41csrmvn_lrb_medium_rows_warp_reduce_kernelILj256ELj64EllffffEEvbT1_lPT2_S3_jNS_24const_host_device_scalarIT6_EEPKS1_PKS2_PKT3_PKT4_S6_PT5_21rocsparse_index_base_b
		.amdhsa_group_segment_fixed_size 0
		.amdhsa_private_segment_fixed_size 0
		.amdhsa_kernarg_size 112
		.amdhsa_user_sgpr_count 6
		.amdhsa_user_sgpr_private_segment_buffer 1
		.amdhsa_user_sgpr_dispatch_ptr 0
		.amdhsa_user_sgpr_queue_ptr 0
		.amdhsa_user_sgpr_kernarg_segment_ptr 1
		.amdhsa_user_sgpr_dispatch_id 0
		.amdhsa_user_sgpr_flat_scratch_init 0
		.amdhsa_user_sgpr_kernarg_preload_length 0
		.amdhsa_user_sgpr_kernarg_preload_offset 0
		.amdhsa_user_sgpr_private_segment_size 0
		.amdhsa_uses_dynamic_stack 0
		.amdhsa_system_sgpr_private_segment_wavefront_offset 0
		.amdhsa_system_sgpr_workgroup_id_x 1
		.amdhsa_system_sgpr_workgroup_id_y 0
		.amdhsa_system_sgpr_workgroup_id_z 0
		.amdhsa_system_sgpr_workgroup_info 0
		.amdhsa_system_vgpr_workitem_id 0
		.amdhsa_next_free_vgpr 17
		.amdhsa_next_free_sgpr 20
		.amdhsa_accum_offset 20
		.amdhsa_reserve_vcc 1
		.amdhsa_reserve_flat_scratch 0
		.amdhsa_float_round_mode_32 0
		.amdhsa_float_round_mode_16_64 0
		.amdhsa_float_denorm_mode_32 3
		.amdhsa_float_denorm_mode_16_64 3
		.amdhsa_dx10_clamp 1
		.amdhsa_ieee_mode 1
		.amdhsa_fp16_overflow 0
		.amdhsa_tg_split 0
		.amdhsa_exception_fp_ieee_invalid_op 0
		.amdhsa_exception_fp_denorm_src 0
		.amdhsa_exception_fp_ieee_div_zero 0
		.amdhsa_exception_fp_ieee_overflow 0
		.amdhsa_exception_fp_ieee_underflow 0
		.amdhsa_exception_fp_ieee_inexact 0
		.amdhsa_exception_int_div_zero 0
	.end_amdhsa_kernel
	.section	.text._ZN9rocsparseL41csrmvn_lrb_medium_rows_warp_reduce_kernelILj256ELj64EllffffEEvbT1_lPT2_S3_jNS_24const_host_device_scalarIT6_EEPKS1_PKS2_PKT3_PKT4_S6_PT5_21rocsparse_index_base_b,"axG",@progbits,_ZN9rocsparseL41csrmvn_lrb_medium_rows_warp_reduce_kernelILj256ELj64EllffffEEvbT1_lPT2_S3_jNS_24const_host_device_scalarIT6_EEPKS1_PKS2_PKT3_PKT4_S6_PT5_21rocsparse_index_base_b,comdat
.Lfunc_end23:
	.size	_ZN9rocsparseL41csrmvn_lrb_medium_rows_warp_reduce_kernelILj256ELj64EllffffEEvbT1_lPT2_S3_jNS_24const_host_device_scalarIT6_EEPKS1_PKS2_PKT3_PKT4_S6_PT5_21rocsparse_index_base_b, .Lfunc_end23-_ZN9rocsparseL41csrmvn_lrb_medium_rows_warp_reduce_kernelILj256ELj64EllffffEEvbT1_lPT2_S3_jNS_24const_host_device_scalarIT6_EEPKS1_PKS2_PKT3_PKT4_S6_PT5_21rocsparse_index_base_b
                                        ; -- End function
	.section	.AMDGPU.csdata,"",@progbits
; Kernel info:
; codeLenInByte = 728
; NumSgprs: 24
; NumVgprs: 17
; NumAgprs: 0
; TotalNumVgprs: 17
; ScratchSize: 0
; MemoryBound: 0
; FloatMode: 240
; IeeeMode: 1
; LDSByteSize: 0 bytes/workgroup (compile time only)
; SGPRBlocks: 2
; VGPRBlocks: 2
; NumSGPRsForWavesPerEU: 24
; NumVGPRsForWavesPerEU: 17
; AccumOffset: 20
; Occupancy: 8
; WaveLimiterHint : 1
; COMPUTE_PGM_RSRC2:SCRATCH_EN: 0
; COMPUTE_PGM_RSRC2:USER_SGPR: 6
; COMPUTE_PGM_RSRC2:TRAP_HANDLER: 0
; COMPUTE_PGM_RSRC2:TGID_X_EN: 1
; COMPUTE_PGM_RSRC2:TGID_Y_EN: 0
; COMPUTE_PGM_RSRC2:TGID_Z_EN: 0
; COMPUTE_PGM_RSRC2:TIDIG_COMP_CNT: 0
; COMPUTE_PGM_RSRC3_GFX90A:ACCUM_OFFSET: 4
; COMPUTE_PGM_RSRC3_GFX90A:TG_SPLIT: 0
	.section	.text._ZN9rocsparseL29csrmvn_lrb_medium_rows_kernelILj256EllffffEEvbT0_PT1_S3_jNS_24const_host_device_scalarIT5_EEPKS1_PKS2_PKT2_PKT3_S6_PT4_21rocsparse_index_base_b,"axG",@progbits,_ZN9rocsparseL29csrmvn_lrb_medium_rows_kernelILj256EllffffEEvbT0_PT1_S3_jNS_24const_host_device_scalarIT5_EEPKS1_PKS2_PKT2_PKT3_S6_PT4_21rocsparse_index_base_b,comdat
	.globl	_ZN9rocsparseL29csrmvn_lrb_medium_rows_kernelILj256EllffffEEvbT0_PT1_S3_jNS_24const_host_device_scalarIT5_EEPKS1_PKS2_PKT2_PKT3_S6_PT4_21rocsparse_index_base_b ; -- Begin function _ZN9rocsparseL29csrmvn_lrb_medium_rows_kernelILj256EllffffEEvbT0_PT1_S3_jNS_24const_host_device_scalarIT5_EEPKS1_PKS2_PKT2_PKT3_S6_PT4_21rocsparse_index_base_b
	.p2align	8
	.type	_ZN9rocsparseL29csrmvn_lrb_medium_rows_kernelILj256EllffffEEvbT0_PT1_S3_jNS_24const_host_device_scalarIT5_EEPKS1_PKS2_PKT2_PKT3_S6_PT4_21rocsparse_index_base_b,@function
_ZN9rocsparseL29csrmvn_lrb_medium_rows_kernelILj256EllffffEEvbT0_PT1_S3_jNS_24const_host_device_scalarIT5_EEPKS1_PKS2_PKT2_PKT3_S6_PT4_21rocsparse_index_base_b: ; @_ZN9rocsparseL29csrmvn_lrb_medium_rows_kernelILj256EllffffEEvbT0_PT1_S3_jNS_24const_host_device_scalarIT5_EEPKS1_PKS2_PKT2_PKT3_S6_PT4_21rocsparse_index_base_b
; %bb.0:
	s_load_dwordx2 s[10:11], s[4:5], 0x60
	s_load_dwordx2 s[12:13], s[4:5], 0x28
	;; [unrolled: 1-line block ×3, first 2 shown]
	s_waitcnt lgkmcnt(0)
	s_bitcmp1_b32 s11, 0
	s_cselect_b64 s[8:9], -1, 0
	s_xor_b64 s[0:1], s[8:9], -1
	s_and_b64 vcc, exec, s[8:9]
	s_cbranch_vccnz .LBB24_2
; %bb.1:
	s_load_dword s12, s[12:13], 0x0
.LBB24_2:
	s_andn2_b64 vcc, exec, s[0:1]
	s_cbranch_vccnz .LBB24_4
; %bb.3:
	s_load_dword s2, s[2:3], 0x0
.LBB24_4:
	s_waitcnt lgkmcnt(0)
	v_cmp_neq_f32_e64 s[0:1], s12, 0
	v_cmp_neq_f32_e64 s[8:9], s2, 1.0
	s_or_b64 s[0:1], s[0:1], s[8:9]
	s_andn2_b64 vcc, exec, s[0:1]
	s_mov_b32 s0, 0
	s_cbranch_vccnz .LBB24_29
; %bb.5:
	s_load_dword s8, s[4:5], 0x20
	s_load_dwordx4 s[16:19], s[4:5], 0x10
	s_mov_b32 s9, s0
	v_subrev_co_u32_e32 v1, vcc, s10, v0
	s_waitcnt lgkmcnt(0)
	s_lshl_b64 s[8:9], s[8:9], 3
	s_add_u32 s8, s18, s8
	s_addc_u32 s9, s19, s9
	s_load_dwordx2 s[8:9], s[8:9], 0x0
	s_ashr_i32 s7, s6, 31
	v_mov_b32_e32 v8, 0
	s_waitcnt lgkmcnt(0)
	s_lshl_b64 s[8:9], s[8:9], 3
	s_add_u32 s1, s16, s8
	s_addc_u32 s3, s17, s9
	s_lshl_b64 s[6:7], s[6:7], 3
	s_add_u32 s14, s1, s6
	s_addc_u32 s15, s3, s7
	s_load_dwordx2 s[8:9], s[14:15], 0x0
	s_load_dwordx2 s[16:17], s[4:5], 0x30
	;; [unrolled: 1-line block ×3, first 2 shown]
	s_waitcnt lgkmcnt(0)
	s_lshl_b64 s[14:15], s[8:9], 3
	s_add_u32 s14, s16, s14
	s_addc_u32 s15, s17, s15
	s_load_dwordx4 s[16:19], s[14:15], 0x0
	v_subb_co_u32_e64 v3, s[14:15], 0, 0, vcc
	s_waitcnt lgkmcnt(0)
	s_sub_u32 s14, s18, s10
	v_mov_b32_e32 v4, s17
	v_add_co_u32_e32 v2, vcc, s16, v1
	s_subb_u32 s15, s19, 0
	v_addc_co_u32_e32 v3, vcc, v4, v3, vcc
	v_cmp_gt_i64_e32 vcc, s[14:15], v[2:3]
	s_and_saveexec_b64 s[16:17], vcc
	s_cbranch_execz .LBB24_9
; %bb.6:
	s_load_dwordx4 s[20:23], s[4:5], 0x38
	s_load_dwordx2 s[18:19], s[4:5], 0x48
	v_lshlrev_b64 v[4:5], 2, v[2:3]
	v_lshlrev_b64 v[6:7], 3, v[2:3]
	s_mov_b64 s[4:5], 0
	s_waitcnt lgkmcnt(0)
	v_mov_b32_e32 v1, s23
	v_add_co_u32_e32 v4, vcc, s22, v4
	v_addc_co_u32_e32 v5, vcc, v1, v5, vcc
	v_mov_b32_e32 v1, s21
	v_add_co_u32_e32 v6, vcc, s20, v6
	v_addc_co_u32_e32 v7, vcc, v1, v7, vcc
	v_mov_b32_e32 v8, 0
	v_mov_b32_e32 v1, s0
	;; [unrolled: 1-line block ×3, first 2 shown]
	s_movk_i32 s3, 0x100
.LBB24_7:                               ; =>This Inner Loop Header: Depth=1
	global_load_dwordx2 v[10:11], v[6:7], off
	global_load_dword v12, v[4:5], off
	s_waitcnt vmcnt(1)
	v_subrev_co_u32_e32 v10, vcc, s10, v10
	v_subb_co_u32_e32 v11, vcc, v11, v1, vcc
	v_lshlrev_b64 v[10:11], 2, v[10:11]
	v_add_co_u32_e32 v10, vcc, s18, v10
	v_addc_co_u32_e32 v11, vcc, v9, v11, vcc
	global_load_dword v10, v[10:11], off
	v_add_co_u32_e32 v2, vcc, s3, v2
	v_addc_co_u32_e32 v3, vcc, 0, v3, vcc
	v_add_co_u32_e32 v4, vcc, 0x400, v4
	v_addc_co_u32_e32 v5, vcc, 0, v5, vcc
	v_add_co_u32_e32 v6, vcc, 0x800, v6
	v_cmp_le_i64_e64 s[0:1], s[14:15], v[2:3]
	s_waitcnt vmcnt(1)
	v_mul_f32_e32 v11, s12, v12
	v_addc_co_u32_e32 v7, vcc, 0, v7, vcc
	s_or_b64 s[4:5], s[0:1], s[4:5]
	s_waitcnt vmcnt(0)
	v_fmac_f32_e32 v8, v11, v10
	s_andn2_b64 exec, exec, s[4:5]
	s_cbranch_execnz .LBB24_7
; %bb.8:
	s_or_b64 exec, exec, s[4:5]
.LBB24_9:
	s_or_b64 exec, exec, s[16:17]
	s_movk_i32 s0, 0x80
	v_lshlrev_b32_e32 v1, 2, v0
	v_cmp_gt_u32_e32 vcc, s0, v0
	ds_write_b32 v1, v8
	s_waitcnt lgkmcnt(0)
	s_barrier
	s_and_saveexec_b64 s[0:1], vcc
	s_cbranch_execz .LBB24_11
; %bb.10:
	ds_read2st64_b32 v[2:3], v1 offset1:2
	s_waitcnt lgkmcnt(0)
	v_add_f32_e32 v2, v2, v3
	ds_write_b32 v1, v2
.LBB24_11:
	s_or_b64 exec, exec, s[0:1]
	v_cmp_gt_u32_e32 vcc, 64, v0
	s_waitcnt lgkmcnt(0)
	s_barrier
	s_and_saveexec_b64 s[0:1], vcc
	s_cbranch_execz .LBB24_13
; %bb.12:
	ds_read2st64_b32 v[2:3], v1 offset1:1
	s_waitcnt lgkmcnt(0)
	v_add_f32_e32 v2, v2, v3
	ds_write_b32 v1, v2
.LBB24_13:
	s_or_b64 exec, exec, s[0:1]
	v_cmp_gt_u32_e32 vcc, 32, v0
	s_waitcnt lgkmcnt(0)
	s_barrier
	s_and_saveexec_b64 s[0:1], vcc
	s_cbranch_execz .LBB24_15
; %bb.14:
	ds_read2_b32 v[2:3], v1 offset1:32
	s_waitcnt lgkmcnt(0)
	v_add_f32_e32 v2, v2, v3
	ds_write_b32 v1, v2
.LBB24_15:
	s_or_b64 exec, exec, s[0:1]
	v_cmp_gt_u32_e32 vcc, 16, v0
	s_waitcnt lgkmcnt(0)
	s_barrier
	s_and_saveexec_b64 s[0:1], vcc
	s_cbranch_execz .LBB24_17
; %bb.16:
	ds_read2_b32 v[2:3], v1 offset1:16
	s_waitcnt lgkmcnt(0)
	v_add_f32_e32 v2, v2, v3
	ds_write_b32 v1, v2
.LBB24_17:
	;; [unrolled: 12-line block ×5, first 2 shown]
	s_or_b64 exec, exec, s[0:1]
	v_cmp_eq_u32_e32 vcc, 0, v0
	s_waitcnt lgkmcnt(0)
	s_barrier
	s_and_saveexec_b64 s[0:1], vcc
	s_cbranch_execz .LBB24_25
; %bb.24:
	v_mov_b32_e32 v2, 0
	ds_read_b64 v[0:1], v2
	s_waitcnt lgkmcnt(0)
	v_add_f32_e32 v0, v0, v1
	ds_write_b32 v2, v0
.LBB24_25:
	s_or_b64 exec, exec, s[0:1]
	s_waitcnt lgkmcnt(0)
	s_barrier
	s_and_saveexec_b64 s[0:1], vcc
	s_cbranch_execz .LBB24_29
; %bb.26:
	v_mov_b32_e32 v0, 0
	ds_read_b32 v1, v0
	v_cmp_eq_f32_e64 s[0:1], s2, 0
	s_and_b64 vcc, exec, s[0:1]
	s_cbranch_vccnz .LBB24_28
; %bb.27:
	s_lshl_b64 s[0:1], s[8:9], 2
	s_add_u32 s0, s6, s0
	s_addc_u32 s1, s7, s1
	s_load_dword s0, s[0:1], 0x0
	s_waitcnt lgkmcnt(0)
	v_mov_b32_e32 v2, s0
	v_fmac_f32_e32 v1, s2, v2
.LBB24_28:
	s_lshl_b64 s[0:1], s[8:9], 2
	s_add_u32 s0, s6, s0
	s_addc_u32 s1, s7, s1
	s_waitcnt lgkmcnt(0)
	global_store_dword v0, v1, s[0:1]
.LBB24_29:
	s_endpgm
	.section	.rodata,"a",@progbits
	.p2align	6, 0x0
	.amdhsa_kernel _ZN9rocsparseL29csrmvn_lrb_medium_rows_kernelILj256EllffffEEvbT0_PT1_S3_jNS_24const_host_device_scalarIT5_EEPKS1_PKS2_PKT2_PKT3_S6_PT4_21rocsparse_index_base_b
		.amdhsa_group_segment_fixed_size 1024
		.amdhsa_private_segment_fixed_size 0
		.amdhsa_kernarg_size 104
		.amdhsa_user_sgpr_count 6
		.amdhsa_user_sgpr_private_segment_buffer 1
		.amdhsa_user_sgpr_dispatch_ptr 0
		.amdhsa_user_sgpr_queue_ptr 0
		.amdhsa_user_sgpr_kernarg_segment_ptr 1
		.amdhsa_user_sgpr_dispatch_id 0
		.amdhsa_user_sgpr_flat_scratch_init 0
		.amdhsa_user_sgpr_kernarg_preload_length 0
		.amdhsa_user_sgpr_kernarg_preload_offset 0
		.amdhsa_user_sgpr_private_segment_size 0
		.amdhsa_uses_dynamic_stack 0
		.amdhsa_system_sgpr_private_segment_wavefront_offset 0
		.amdhsa_system_sgpr_workgroup_id_x 1
		.amdhsa_system_sgpr_workgroup_id_y 0
		.amdhsa_system_sgpr_workgroup_id_z 0
		.amdhsa_system_sgpr_workgroup_info 0
		.amdhsa_system_vgpr_workitem_id 0
		.amdhsa_next_free_vgpr 13
		.amdhsa_next_free_sgpr 24
		.amdhsa_accum_offset 16
		.amdhsa_reserve_vcc 1
		.amdhsa_reserve_flat_scratch 0
		.amdhsa_float_round_mode_32 0
		.amdhsa_float_round_mode_16_64 0
		.amdhsa_float_denorm_mode_32 3
		.amdhsa_float_denorm_mode_16_64 3
		.amdhsa_dx10_clamp 1
		.amdhsa_ieee_mode 1
		.amdhsa_fp16_overflow 0
		.amdhsa_tg_split 0
		.amdhsa_exception_fp_ieee_invalid_op 0
		.amdhsa_exception_fp_denorm_src 0
		.amdhsa_exception_fp_ieee_div_zero 0
		.amdhsa_exception_fp_ieee_overflow 0
		.amdhsa_exception_fp_ieee_underflow 0
		.amdhsa_exception_fp_ieee_inexact 0
		.amdhsa_exception_int_div_zero 0
	.end_amdhsa_kernel
	.section	.text._ZN9rocsparseL29csrmvn_lrb_medium_rows_kernelILj256EllffffEEvbT0_PT1_S3_jNS_24const_host_device_scalarIT5_EEPKS1_PKS2_PKT2_PKT3_S6_PT4_21rocsparse_index_base_b,"axG",@progbits,_ZN9rocsparseL29csrmvn_lrb_medium_rows_kernelILj256EllffffEEvbT0_PT1_S3_jNS_24const_host_device_scalarIT5_EEPKS1_PKS2_PKT2_PKT3_S6_PT4_21rocsparse_index_base_b,comdat
.Lfunc_end24:
	.size	_ZN9rocsparseL29csrmvn_lrb_medium_rows_kernelILj256EllffffEEvbT0_PT1_S3_jNS_24const_host_device_scalarIT5_EEPKS1_PKS2_PKT2_PKT3_S6_PT4_21rocsparse_index_base_b, .Lfunc_end24-_ZN9rocsparseL29csrmvn_lrb_medium_rows_kernelILj256EllffffEEvbT0_PT1_S3_jNS_24const_host_device_scalarIT5_EEPKS1_PKS2_PKT2_PKT3_S6_PT4_21rocsparse_index_base_b
                                        ; -- End function
	.section	.AMDGPU.csdata,"",@progbits
; Kernel info:
; codeLenInByte = 1000
; NumSgprs: 28
; NumVgprs: 13
; NumAgprs: 0
; TotalNumVgprs: 13
; ScratchSize: 0
; MemoryBound: 0
; FloatMode: 240
; IeeeMode: 1
; LDSByteSize: 1024 bytes/workgroup (compile time only)
; SGPRBlocks: 3
; VGPRBlocks: 1
; NumSGPRsForWavesPerEU: 28
; NumVGPRsForWavesPerEU: 13
; AccumOffset: 16
; Occupancy: 8
; WaveLimiterHint : 1
; COMPUTE_PGM_RSRC2:SCRATCH_EN: 0
; COMPUTE_PGM_RSRC2:USER_SGPR: 6
; COMPUTE_PGM_RSRC2:TRAP_HANDLER: 0
; COMPUTE_PGM_RSRC2:TGID_X_EN: 1
; COMPUTE_PGM_RSRC2:TGID_Y_EN: 0
; COMPUTE_PGM_RSRC2:TGID_Z_EN: 0
; COMPUTE_PGM_RSRC2:TIDIG_COMP_CNT: 0
; COMPUTE_PGM_RSRC3_GFX90A:ACCUM_OFFSET: 3
; COMPUTE_PGM_RSRC3_GFX90A:TG_SPLIT: 0
	.section	.text._ZN9rocsparseL27csrmvn_lrb_long_rows_kernelIllffffEEvbT_PjPT0_S4_jNS_24const_host_device_scalarIT4_EEPKS1_PKS3_PKT1_PKT2_S7_PT3_21rocsparse_index_base_b,"axG",@progbits,_ZN9rocsparseL27csrmvn_lrb_long_rows_kernelIllffffEEvbT_PjPT0_S4_jNS_24const_host_device_scalarIT4_EEPKS1_PKS3_PKT1_PKT2_S7_PT3_21rocsparse_index_base_b,comdat
	.globl	_ZN9rocsparseL27csrmvn_lrb_long_rows_kernelIllffffEEvbT_PjPT0_S4_jNS_24const_host_device_scalarIT4_EEPKS1_PKS3_PKT1_PKT2_S7_PT3_21rocsparse_index_base_b ; -- Begin function _ZN9rocsparseL27csrmvn_lrb_long_rows_kernelIllffffEEvbT_PjPT0_S4_jNS_24const_host_device_scalarIT4_EEPKS1_PKS3_PKT1_PKT2_S7_PT3_21rocsparse_index_base_b
	.p2align	8
	.type	_ZN9rocsparseL27csrmvn_lrb_long_rows_kernelIllffffEEvbT_PjPT0_S4_jNS_24const_host_device_scalarIT4_EEPKS1_PKS3_PKT1_PKT2_S7_PT3_21rocsparse_index_base_b,@function
_ZN9rocsparseL27csrmvn_lrb_long_rows_kernelIllffffEEvbT_PjPT0_S4_jNS_24const_host_device_scalarIT4_EEPKS1_PKS3_PKT1_PKT2_S7_PT3_21rocsparse_index_base_b: ; @_ZN9rocsparseL27csrmvn_lrb_long_rows_kernelIllffffEEvbT_PjPT0_S4_jNS_24const_host_device_scalarIT4_EEPKS1_PKS3_PKT1_PKT2_S7_PT3_21rocsparse_index_base_b
; %bb.0:
	s_load_dwordx2 s[16:17], s[4:5], 0x68
	s_load_dwordx2 s[18:19], s[4:5], 0x30
	;; [unrolled: 1-line block ×3, first 2 shown]
	s_waitcnt lgkmcnt(0)
	s_bitcmp1_b32 s17, 0
	s_cselect_b64 s[2:3], -1, 0
	s_xor_b64 s[0:1], s[2:3], -1
	s_and_b64 vcc, exec, s[2:3]
	s_cbranch_vccnz .LBB25_2
; %bb.1:
	s_load_dword s18, s[18:19], 0x0
.LBB25_2:
	s_andn2_b64 vcc, exec, s[0:1]
	s_cbranch_vccnz .LBB25_4
; %bb.3:
	s_load_dword s20, s[20:21], 0x0
.LBB25_4:
	s_waitcnt lgkmcnt(0)
	v_cmp_neq_f32_e64 s[0:1], s18, 0
	v_cmp_neq_f32_e64 s[2:3], s20, 1.0
	s_or_b64 s[0:1], s[0:1], s[2:3]
	s_andn2_b64 vcc, exec, s[0:1]
	s_mov_b32 s1, 0
	s_cbranch_vccnz .LBB25_39
; %bb.5:
	s_load_dword s0, s[4:5], 0x28
	s_load_dwordx2 s[2:3], s[4:5], 0x20
	s_waitcnt lgkmcnt(0)
	s_lshl_b64 s[8:9], s[0:1], 3
	s_add_u32 s2, s2, s8
	s_addc_u32 s3, s3, s9
	s_lshl_b32 s0, -1, s0
	s_not_b32 s0, s0
	s_mul_hi_u32 s0, s0, 0x2aaaaaab
	s_lshr_b32 s0, s0, 7
	s_add_i32 s7, s0, 1
	v_cvt_f32_u32_e32 v1, s7
	s_load_dwordx4 s[8:11], s[4:5], 0x10
	s_load_dwordx2 s[12:13], s[2:3], 0x0
	s_not_b32 s0, s0
	v_rcp_iflag_f32_e32 v1, v1
	v_mul_f32_e32 v1, 0x4f7ffffe, v1
	v_cvt_u32_f32_e32 v1, v1
	v_readfirstlane_b32 s2, v1
	s_mul_i32 s0, s0, s2
	s_mul_hi_u32 s0, s2, s0
	s_add_i32 s2, s2, s0
	s_mul_hi_u32 s0, s6, s2
	s_mul_i32 s2, s0, s7
	s_sub_i32 s2, s6, s2
	s_add_i32 s3, s0, 1
	s_sub_i32 s14, s2, s7
	s_cmp_ge_u32 s2, s7
	s_cselect_b32 s0, s3, s0
	s_cselect_b32 s2, s14, s2
	s_add_i32 s3, s0, 1
	s_cmp_ge_u32 s2, s7
	s_cselect_b32 s0, s3, s0
	s_mul_i32 s7, s0, s7
	s_waitcnt lgkmcnt(0)
	s_lshl_b64 s[2:3], s[12:13], 3
	s_sub_i32 s17, s6, s7
	s_add_u32 s2, s10, s2
	s_addc_u32 s3, s11, s3
	s_lshl_b64 s[0:1], s[0:1], 3
	s_add_u32 s0, s2, s0
	s_addc_u32 s1, s3, s1
	s_load_dwordx2 s[12:13], s[0:1], 0x0
	s_load_dwordx2 s[2:3], s[4:5], 0x38
	;; [unrolled: 1-line block ×3, first 2 shown]
	v_or_b32_e32 v1, s17, v0
	v_cmp_eq_u32_e32 vcc, 0, v1
	s_waitcnt lgkmcnt(0)
	s_lshl_b64 s[0:1], s[12:13], 3
	s_add_u32 s0, s2, s0
	s_addc_u32 s1, s3, s1
	s_ashr_i32 s7, s6, 31
	s_sub_u32 s14, s6, s17
	s_subb_u32 s15, s7, 0
	s_lshl_b64 s[6:7], s[6:7], 2
	s_add_u32 s6, s8, s6
	s_addc_u32 s7, s9, s7
	s_load_dwordx4 s[0:3], s[0:1], 0x0
	v_mov_b32_e32 v1, 0
	s_load_dword s19, s[6:7], 0x0
	s_and_saveexec_b64 s[22:23], vcc
	s_cbranch_execz .LBB25_9
; %bb.6:
	s_lshl_b64 s[26:27], s[12:13], 2
	s_add_u32 s26, s10, s26
	s_addc_u32 s27, s11, s27
	s_load_dword s26, s[26:27], 0x0
	s_mov_b64 s[24:25], exec
	v_mbcnt_lo_u32_b32 v2, s24, 0
	v_mbcnt_hi_u32_b32 v2, s25, v2
	v_add_f32_e64 v1, s20, -1.0
	v_cmp_eq_u32_e32 vcc, 0, v2
	s_waitcnt vmcnt(0) expcnt(0) lgkmcnt(0)
	s_and_saveexec_b64 s[20:21], vcc
	s_cbranch_execz .LBB25_8
; %bb.7:
	s_lshl_b64 s[28:29], s[14:15], 2
	s_add_u32 s28, s8, s28
	s_addc_u32 s29, s9, s29
	s_bcnt1_i32_b64 s24, s[24:25]
	s_and_b32 s24, s24, 1
	v_mov_b32_e32 v2, 0
	v_mov_b32_e32 v3, s24
	global_atomic_xor v2, v3, s[28:29]
.LBB25_8:
	s_or_b64 exec, exec, s[20:21]
	v_mul_f32_e32 v1, s26, v1
.LBB25_9:
	s_or_b64 exec, exec, s[22:23]
	s_waitcnt lgkmcnt(0)
	s_sub_u32 s0, s0, s16
	s_mul_i32 s21, s17, 0x300
	s_subb_u32 s1, s1, 0
	s_mul_hi_u32 s20, s17, 0x300
	s_add_u32 s22, s0, s21
	s_addc_u32 s23, s1, s20
	s_sub_u32 s0, s2, s16
	s_subb_u32 s1, s3, 0
	s_add_u32 s2, s22, 0x300
	s_addc_u32 s3, s23, 0
	v_pk_mov_b32 v[2:3], s[0:1], s[0:1] op_sel:[0,1]
	v_cmp_lt_i64_e32 vcc, s[2:3], v[2:3]
	s_and_b64 s[20:21], vcc, exec
	v_mov_b32_e32 v3, s23
	v_add_co_u32_e32 v2, vcc, s22, v0
	s_cselect_b32 s3, s3, s1
	s_cselect_b32 s2, s2, s0
	v_addc_co_u32_e32 v3, vcc, 0, v3, vcc
	s_mov_b32 s24, 0
	v_cmp_gt_i64_e32 vcc, s[2:3], v[2:3]
	s_and_saveexec_b64 s[20:21], vcc
	s_cbranch_execz .LBB25_13
; %bb.10:
	s_load_dwordx4 s[28:31], s[4:5], 0x40
	s_load_dwordx2 s[22:23], s[4:5], 0x50
	v_lshlrev_b64 v[4:5], 2, v[2:3]
	s_mov_b64 s[4:5], 0
	s_waitcnt lgkmcnt(0)
	v_mov_b32_e32 v6, s31
	v_add_co_u32_e32 v4, vcc, s30, v4
	v_addc_co_u32_e32 v5, vcc, v6, v5, vcc
	v_lshlrev_b64 v[6:7], 3, v[2:3]
	v_mov_b32_e32 v8, s29
	v_add_co_u32_e32 v6, vcc, s28, v6
	v_addc_co_u32_e32 v7, vcc, v8, v7, vcc
	v_mov_b32_e32 v8, s24
	v_mov_b32_e32 v9, s23
	s_movk_i32 s23, 0x100
.LBB25_11:                              ; =>This Inner Loop Header: Depth=1
	global_load_dwordx2 v[10:11], v[6:7], off
	global_load_dword v12, v[4:5], off
	s_waitcnt vmcnt(1)
	v_subrev_co_u32_e32 v10, vcc, s16, v10
	v_subb_co_u32_e32 v11, vcc, v11, v8, vcc
	v_lshlrev_b64 v[10:11], 2, v[10:11]
	v_add_co_u32_e32 v10, vcc, s22, v10
	v_addc_co_u32_e32 v11, vcc, v9, v11, vcc
	global_load_dword v10, v[10:11], off
	v_add_co_u32_e32 v2, vcc, s23, v2
	v_addc_co_u32_e32 v3, vcc, 0, v3, vcc
	v_add_co_u32_e32 v4, vcc, 0x400, v4
	v_addc_co_u32_e32 v5, vcc, 0, v5, vcc
	v_add_co_u32_e32 v6, vcc, 0x800, v6
	v_cmp_le_i64_e64 s[0:1], s[2:3], v[2:3]
	s_waitcnt vmcnt(1)
	v_mul_f32_e32 v11, s18, v12
	v_addc_co_u32_e32 v7, vcc, 0, v7, vcc
	s_or_b64 s[4:5], s[0:1], s[4:5]
	s_waitcnt vmcnt(0)
	v_fmac_f32_e32 v1, v11, v10
	s_andn2_b64 exec, exec, s[4:5]
	s_cbranch_execnz .LBB25_11
; %bb.12:
	s_or_b64 exec, exec, s[4:5]
.LBB25_13:
	s_or_b64 exec, exec, s[20:21]
	s_movk_i32 s0, 0x80
	v_lshlrev_b32_e32 v2, 2, v0
	v_cmp_gt_u32_e32 vcc, s0, v0
	ds_write_b32 v2, v1
	s_waitcnt lgkmcnt(0)
	s_barrier
	s_and_saveexec_b64 s[0:1], vcc
	s_cbranch_execz .LBB25_15
; %bb.14:
	ds_read2st64_b32 v[4:5], v2 offset1:2
	s_waitcnt lgkmcnt(0)
	v_add_f32_e32 v1, v4, v5
	ds_write_b32 v2, v1
.LBB25_15:
	s_or_b64 exec, exec, s[0:1]
	v_cmp_gt_u32_e32 vcc, 64, v0
	s_waitcnt lgkmcnt(0)
	s_barrier
	s_and_saveexec_b64 s[0:1], vcc
	s_cbranch_execz .LBB25_17
; %bb.16:
	ds_read2st64_b32 v[4:5], v2 offset1:1
	s_waitcnt lgkmcnt(0)
	v_add_f32_e32 v1, v4, v5
	ds_write_b32 v2, v1
.LBB25_17:
	s_or_b64 exec, exec, s[0:1]
	v_cmp_gt_u32_e32 vcc, 32, v0
	s_waitcnt lgkmcnt(0)
	s_barrier
	s_and_saveexec_b64 s[0:1], vcc
	s_cbranch_execz .LBB25_19
; %bb.18:
	ds_read2_b32 v[4:5], v2 offset1:32
	s_waitcnt lgkmcnt(0)
	v_add_f32_e32 v1, v4, v5
	ds_write_b32 v2, v1
.LBB25_19:
	s_or_b64 exec, exec, s[0:1]
	v_cmp_gt_u32_e32 vcc, 16, v0
	s_waitcnt lgkmcnt(0)
	s_barrier
	s_and_saveexec_b64 s[0:1], vcc
	s_cbranch_execz .LBB25_21
; %bb.20:
	ds_read2_b32 v[4:5], v2 offset1:16
	s_waitcnt lgkmcnt(0)
	v_add_f32_e32 v1, v4, v5
	ds_write_b32 v2, v1
.LBB25_21:
	;; [unrolled: 12-line block ×5, first 2 shown]
	s_or_b64 exec, exec, s[0:1]
	v_cmp_eq_u32_e32 vcc, 0, v0
	s_waitcnt lgkmcnt(0)
	s_barrier
	s_and_saveexec_b64 s[0:1], vcc
	s_cbranch_execz .LBB25_29
; %bb.28:
	v_mov_b32_e32 v2, 0
	ds_read_b64 v[0:1], v2
	s_waitcnt lgkmcnt(0)
	v_add_f32_e32 v0, v0, v1
	ds_write_b32 v2, v0
.LBB25_29:
	s_or_b64 exec, exec, s[0:1]
	s_waitcnt lgkmcnt(0)
	s_barrier
	s_and_saveexec_b64 s[0:1], vcc
	s_cbranch_execz .LBB25_39
; %bb.30:
	s_cmp_eq_u32 s17, 0
	s_cbranch_scc1 .LBB25_36
; %bb.31:
	s_lshl_b64 s[0:1], s[14:15], 2
	s_add_u32 s0, s8, s0
	s_addc_u32 s1, s9, s1
	v_mov_b32_e32 v0, 0
	s_branch .LBB25_33
.LBB25_32:                              ;   in Loop: Header=BB25_33 Depth=1
	s_or_b64 exec, exec, s[2:3]
	s_waitcnt vmcnt(0)
	v_readfirstlane_b32 s2, v1
	s_cmp_eq_u32 s2, s19
	s_cbranch_scc0 .LBB25_35
.LBB25_33:                              ; =>This Inner Loop Header: Depth=1
	v_mbcnt_lo_u32_b32 v1, exec_lo, 0
	v_mbcnt_hi_u32_b32 v1, exec_hi, v1
	v_cmp_eq_u32_e32 vcc, 0, v1
                                        ; implicit-def: $vgpr1
	s_and_saveexec_b64 s[2:3], vcc
	s_cbranch_execz .LBB25_32
; %bb.34:                               ;   in Loop: Header=BB25_33 Depth=1
	global_load_dword v1, v0, s[0:1] glc
	s_branch .LBB25_32
.LBB25_35:
	v_mov_b32_e32 v0, 0
	global_load_dword v1, v0, s[6:7]
	s_waitcnt vmcnt(0)
	v_xor_b32_e32 v1, 1, v1
	global_store_dword v0, v1, s[6:7]
.LBB25_36:
	s_mov_b64 s[2:3], exec
	v_mbcnt_lo_u32_b32 v0, s2, 0
	v_mbcnt_hi_u32_b32 v0, s3, v0
	v_cmp_eq_u32_e32 vcc, 0, v0
	s_and_b64 s[0:1], exec, vcc
	s_mov_b64 exec, s[0:1]
	s_cbranch_execz .LBB25_39
; %bb.37:
	s_lshl_b64 s[0:1], s[12:13], 2
	s_add_u32 s0, s10, s0
	s_addc_u32 s1, s11, s1
	v_mov_b32_e32 v2, 0
	global_load_dword v1, v2, s[0:1]
	ds_read_b32 v0, v2
	s_bcnt1_i32_b64 s2, s[2:3]
	v_cvt_f32_ubyte0_e32 v3, s2
	s_mov_b64 s[2:3], 0
	s_waitcnt lgkmcnt(0)
	v_mul_f32_e32 v3, v0, v3
.LBB25_38:                              ; =>This Inner Loop Header: Depth=1
	s_waitcnt vmcnt(0)
	v_add_f32_e32 v0, v1, v3
	global_atomic_cmpswap v0, v2, v[0:1], s[0:1] glc
	s_waitcnt vmcnt(0)
	v_cmp_eq_u32_e32 vcc, v0, v1
	s_or_b64 s[2:3], vcc, s[2:3]
	v_mov_b32_e32 v1, v0
	s_andn2_b64 exec, exec, s[2:3]
	s_cbranch_execnz .LBB25_38
.LBB25_39:
	s_endpgm
	.section	.rodata,"a",@progbits
	.p2align	6, 0x0
	.amdhsa_kernel _ZN9rocsparseL27csrmvn_lrb_long_rows_kernelIllffffEEvbT_PjPT0_S4_jNS_24const_host_device_scalarIT4_EEPKS1_PKS3_PKT1_PKT2_S7_PT3_21rocsparse_index_base_b
		.amdhsa_group_segment_fixed_size 1024
		.amdhsa_private_segment_fixed_size 0
		.amdhsa_kernarg_size 112
		.amdhsa_user_sgpr_count 6
		.amdhsa_user_sgpr_private_segment_buffer 1
		.amdhsa_user_sgpr_dispatch_ptr 0
		.amdhsa_user_sgpr_queue_ptr 0
		.amdhsa_user_sgpr_kernarg_segment_ptr 1
		.amdhsa_user_sgpr_dispatch_id 0
		.amdhsa_user_sgpr_flat_scratch_init 0
		.amdhsa_user_sgpr_kernarg_preload_length 0
		.amdhsa_user_sgpr_kernarg_preload_offset 0
		.amdhsa_user_sgpr_private_segment_size 0
		.amdhsa_uses_dynamic_stack 0
		.amdhsa_system_sgpr_private_segment_wavefront_offset 0
		.amdhsa_system_sgpr_workgroup_id_x 1
		.amdhsa_system_sgpr_workgroup_id_y 0
		.amdhsa_system_sgpr_workgroup_id_z 0
		.amdhsa_system_sgpr_workgroup_info 0
		.amdhsa_system_vgpr_workitem_id 0
		.amdhsa_next_free_vgpr 13
		.amdhsa_next_free_sgpr 32
		.amdhsa_accum_offset 16
		.amdhsa_reserve_vcc 1
		.amdhsa_reserve_flat_scratch 0
		.amdhsa_float_round_mode_32 0
		.amdhsa_float_round_mode_16_64 0
		.amdhsa_float_denorm_mode_32 3
		.amdhsa_float_denorm_mode_16_64 3
		.amdhsa_dx10_clamp 1
		.amdhsa_ieee_mode 1
		.amdhsa_fp16_overflow 0
		.amdhsa_tg_split 0
		.amdhsa_exception_fp_ieee_invalid_op 0
		.amdhsa_exception_fp_denorm_src 0
		.amdhsa_exception_fp_ieee_div_zero 0
		.amdhsa_exception_fp_ieee_overflow 0
		.amdhsa_exception_fp_ieee_underflow 0
		.amdhsa_exception_fp_ieee_inexact 0
		.amdhsa_exception_int_div_zero 0
	.end_amdhsa_kernel
	.section	.text._ZN9rocsparseL27csrmvn_lrb_long_rows_kernelIllffffEEvbT_PjPT0_S4_jNS_24const_host_device_scalarIT4_EEPKS1_PKS3_PKT1_PKT2_S7_PT3_21rocsparse_index_base_b,"axG",@progbits,_ZN9rocsparseL27csrmvn_lrb_long_rows_kernelIllffffEEvbT_PjPT0_S4_jNS_24const_host_device_scalarIT4_EEPKS1_PKS3_PKT1_PKT2_S7_PT3_21rocsparse_index_base_b,comdat
.Lfunc_end25:
	.size	_ZN9rocsparseL27csrmvn_lrb_long_rows_kernelIllffffEEvbT_PjPT0_S4_jNS_24const_host_device_scalarIT4_EEPKS1_PKS3_PKT1_PKT2_S7_PT3_21rocsparse_index_base_b, .Lfunc_end25-_ZN9rocsparseL27csrmvn_lrb_long_rows_kernelIllffffEEvbT_PjPT0_S4_jNS_24const_host_device_scalarIT4_EEPKS1_PKS3_PKT1_PKT2_S7_PT3_21rocsparse_index_base_b
                                        ; -- End function
	.section	.AMDGPU.csdata,"",@progbits
; Kernel info:
; codeLenInByte = 1492
; NumSgprs: 36
; NumVgprs: 13
; NumAgprs: 0
; TotalNumVgprs: 13
; ScratchSize: 0
; MemoryBound: 0
; FloatMode: 240
; IeeeMode: 1
; LDSByteSize: 1024 bytes/workgroup (compile time only)
; SGPRBlocks: 4
; VGPRBlocks: 1
; NumSGPRsForWavesPerEU: 36
; NumVGPRsForWavesPerEU: 13
; AccumOffset: 16
; Occupancy: 8
; WaveLimiterHint : 1
; COMPUTE_PGM_RSRC2:SCRATCH_EN: 0
; COMPUTE_PGM_RSRC2:USER_SGPR: 6
; COMPUTE_PGM_RSRC2:TRAP_HANDLER: 0
; COMPUTE_PGM_RSRC2:TGID_X_EN: 1
; COMPUTE_PGM_RSRC2:TGID_Y_EN: 0
; COMPUTE_PGM_RSRC2:TGID_Z_EN: 0
; COMPUTE_PGM_RSRC2:TIDIG_COMP_CNT: 0
; COMPUTE_PGM_RSRC3_GFX90A:ACCUM_OFFSET: 3
; COMPUTE_PGM_RSRC3_GFX90A:TG_SPLIT: 0
	.section	.text._ZN9rocsparseL28csrmvn_lrb_short_rows_kernelIiiddddEEvbT_PT0_S3_jNS_24const_host_device_scalarIT4_EEPKS1_PKS2_PKT1_PKT2_S6_PT3_21rocsparse_index_base_b,"axG",@progbits,_ZN9rocsparseL28csrmvn_lrb_short_rows_kernelIiiddddEEvbT_PT0_S3_jNS_24const_host_device_scalarIT4_EEPKS1_PKS2_PKT1_PKT2_S6_PT3_21rocsparse_index_base_b,comdat
	.globl	_ZN9rocsparseL28csrmvn_lrb_short_rows_kernelIiiddddEEvbT_PT0_S3_jNS_24const_host_device_scalarIT4_EEPKS1_PKS2_PKT1_PKT2_S6_PT3_21rocsparse_index_base_b ; -- Begin function _ZN9rocsparseL28csrmvn_lrb_short_rows_kernelIiiddddEEvbT_PT0_S3_jNS_24const_host_device_scalarIT4_EEPKS1_PKS2_PKT1_PKT2_S6_PT3_21rocsparse_index_base_b
	.p2align	8
	.type	_ZN9rocsparseL28csrmvn_lrb_short_rows_kernelIiiddddEEvbT_PT0_S3_jNS_24const_host_device_scalarIT4_EEPKS1_PKS2_PKT1_PKT2_S6_PT3_21rocsparse_index_base_b,@function
_ZN9rocsparseL28csrmvn_lrb_short_rows_kernelIiiddddEEvbT_PT0_S3_jNS_24const_host_device_scalarIT4_EEPKS1_PKS2_PKT1_PKT2_S6_PT3_21rocsparse_index_base_b: ; @_ZN9rocsparseL28csrmvn_lrb_short_rows_kernelIiiddddEEvbT_PT0_S3_jNS_24const_host_device_scalarIT4_EEPKS1_PKS2_PKT1_PKT2_S6_PT3_21rocsparse_index_base_b
; %bb.0:
	s_load_dwordx2 s[18:19], s[4:5], 0x58
	s_load_dwordx2 s[8:9], s[4:5], 0x20
	;; [unrolled: 1-line block ×3, first 2 shown]
	s_waitcnt lgkmcnt(0)
	s_bitcmp1_b32 s19, 0
	s_cselect_b64 s[10:11], -1, 0
	s_xor_b64 s[2:3], s[10:11], -1
	s_and_b64 vcc, exec, s[10:11]
	v_pk_mov_b32 v[4:5], s[8:9], s[8:9] op_sel:[0,1]
	s_cbranch_vccnz .LBB26_2
; %bb.1:
	v_pk_mov_b32 v[2:3], s[8:9], s[8:9] op_sel:[0,1]
	flat_load_dwordx2 v[4:5], v[2:3]
.LBB26_2:
	s_andn2_b64 vcc, exec, s[2:3]
	v_pk_mov_b32 v[2:3], s[0:1], s[0:1] op_sel:[0,1]
	s_cbranch_vccnz .LBB26_4
; %bb.3:
	v_pk_mov_b32 v[2:3], s[0:1], s[0:1] op_sel:[0,1]
	flat_load_dwordx2 v[2:3], v[2:3]
.LBB26_4:
	s_waitcnt vmcnt(0) lgkmcnt(0)
	v_cmp_neq_f64_e32 vcc, 0, v[4:5]
	v_cmp_neq_f64_e64 s[0:1], 1.0, v[2:3]
	s_or_b64 s[0:1], vcc, s[0:1]
	s_and_saveexec_b64 s[2:3], s[0:1]
	s_cbranch_execz .LBB26_18
; %bb.5:
	s_load_dword s16, s[4:5], 0x18
	s_load_dwordx4 s[0:3], s[4:5], 0x8
	s_mov_b32 s17, 0
	s_mov_b32 s9, s17
	s_waitcnt lgkmcnt(0)
	s_lshl_b64 s[10:11], s[16:17], 2
	s_add_u32 s10, s2, s10
	s_addc_u32 s11, s3, s11
	s_add_i32 s8, s16, 1
	s_lshl_b64 s[8:9], s[8:9], 2
	s_add_u32 s2, s2, s8
	s_addc_u32 s3, s3, s9
	s_load_dword s19, s[10:11], 0x0
	s_load_dword s7, s[2:3], 0x0
	s_lshl_b32 s20, s6, 8
	s_add_i32 s3, s20, 0x100
	s_waitcnt lgkmcnt(0)
	s_sub_i32 s2, s7, s19
	s_min_u32 s21, s2, s3
	s_cmp_gt_u32 s16, 23
	s_cbranch_scc1 .LBB26_12
; %bb.6:
	s_load_dwordx8 s[8:15], s[4:5], 0x28
	v_bfe_u32 v1, v0, 0, s16
	s_lshl_b32 s22, 0x100, s16
	v_subrev_u32_e32 v12, s18, v1
	v_lshl_add_u32 v13, v0, 3, 0
	v_mov_b32_e32 v7, 0
	s_branch .LBB26_9
.LBB26_7:                               ;   in Loop: Header=BB26_9 Depth=1
	s_or_b64 exec, exec, s[6:7]
	ds_write_b64 v13, v[8:9]
.LBB26_8:                               ;   in Loop: Header=BB26_9 Depth=1
	s_or_b64 exec, exec, s[2:3]
	s_addk_i32 s17, 0x100
	s_cmp_ge_u32 s17, s22
	v_add_u32_e32 v13, 0x800, v13
	s_cbranch_scc1 .LBB26_12
.LBB26_9:                               ; =>This Inner Loop Header: Depth=1
	v_add_u32_e32 v6, s17, v0
	v_lshrrev_b32_e32 v6, s16, v6
	v_add_u32_e32 v6, s20, v6
	v_cmp_gt_u32_e32 vcc, s21, v6
	s_and_saveexec_b64 s[2:3], vcc
	s_cbranch_execz .LBB26_8
; %bb.10:                               ;   in Loop: Header=BB26_9 Depth=1
	v_add_u32_e32 v6, s19, v6
	v_lshlrev_b64 v[8:9], 2, v[6:7]
	v_mov_b32_e32 v6, s1
	v_add_co_u32_e32 v8, vcc, s0, v8
	v_addc_co_u32_e32 v9, vcc, v6, v9, vcc
	global_load_dword v8, v[8:9], off
	s_waitcnt lgkmcnt(0)
	v_mov_b32_e32 v6, s9
	s_waitcnt vmcnt(0)
	v_ashrrev_i32_e32 v9, 31, v8
	v_lshlrev_b64 v[8:9], 2, v[8:9]
	v_add_co_u32_e32 v8, vcc, s8, v8
	v_addc_co_u32_e32 v9, vcc, v6, v9, vcc
	global_load_dwordx2 v[10:11], v[8:9], off
	v_pk_mov_b32 v[8:9], 0, 0
	s_waitcnt vmcnt(0)
	v_sub_u32_e32 v6, v11, v10
	v_cmp_lt_u32_e32 vcc, v1, v6
	s_and_saveexec_b64 s[6:7], vcc
	s_cbranch_execz .LBB26_7
; %bb.11:                               ;   in Loop: Header=BB26_9 Depth=1
	v_add_u32_e32 v6, v12, v10
	v_lshlrev_b64 v[8:9], 2, v[6:7]
	v_mov_b32_e32 v10, s11
	v_add_co_u32_e32 v8, vcc, s10, v8
	v_addc_co_u32_e32 v9, vcc, v10, v9, vcc
	global_load_dword v10, v[8:9], off
	v_lshlrev_b64 v[8:9], 3, v[6:7]
	v_mov_b32_e32 v11, s13
	v_add_co_u32_e32 v8, vcc, s12, v8
	v_addc_co_u32_e32 v9, vcc, v11, v9, vcc
	v_mov_b32_e32 v14, s15
	global_load_dwordx2 v[8:9], v[8:9], off
	s_waitcnt vmcnt(1)
	v_subrev_u32_e32 v10, s18, v10
	v_ashrrev_i32_e32 v11, 31, v10
	v_lshlrev_b64 v[10:11], 3, v[10:11]
	v_add_co_u32_e32 v10, vcc, s14, v10
	v_addc_co_u32_e32 v11, vcc, v14, v11, vcc
	global_load_dwordx2 v[10:11], v[10:11], off
	s_waitcnt vmcnt(1)
	v_mul_f64 v[8:9], v[4:5], v[8:9]
	s_waitcnt vmcnt(0)
	v_mul_f64 v[8:9], v[8:9], v[10:11]
	s_branch .LBB26_7
.LBB26_12:
	s_sub_i32 s2, s21, s20
	v_cmp_gt_u32_e32 vcc, s2, v0
	s_waitcnt lgkmcnt(0)
	s_barrier
	s_and_b64 exec, exec, vcc
	s_cbranch_execz .LBB26_18
; %bb.13:
	s_add_i32 s19, s19, s20
	v_add_u32_e32 v4, s19, v0
	v_mov_b32_e32 v5, 0
	v_lshlrev_b64 v[4:5], 2, v[4:5]
	v_mov_b32_e32 v1, s1
	v_add_co_u32_e32 v4, vcc, s0, v4
	v_addc_co_u32_e32 v5, vcc, v1, v5, vcc
	global_load_dword v4, v[4:5], off
	s_load_dwordx2 s[0:1], s[4:5], 0x50
	v_lshlrev_b32_e32 v0, s16, v0
	v_lshl_add_u32 v5, v0, 3, 0
	s_mov_b32 s2, 1
	v_pk_mov_b32 v[0:1], 0, 0
.LBB26_14:                              ; =>This Inner Loop Header: Depth=1
	ds_read_b64 v[6:7], v5
	s_lshr_b32 s3, s2, s16
	s_add_i32 s2, s2, 1
	v_add_u32_e32 v5, 8, v5
	s_cmp_lg_u32 s3, 0
	s_waitcnt lgkmcnt(0)
	v_add_f64 v[0:1], v[0:1], v[6:7]
	s_cbranch_scc0 .LBB26_14
; %bb.15:
	s_waitcnt vmcnt(0)
	v_ashrrev_i32_e32 v5, 31, v4
	v_cmp_neq_f64_e32 vcc, 0, v[2:3]
	v_lshlrev_b64 v[4:5], 3, v[4:5]
	s_and_saveexec_b64 s[2:3], vcc
	s_cbranch_execz .LBB26_17
; %bb.16:
	v_mov_b32_e32 v7, s1
	v_add_co_u32_e32 v6, vcc, s0, v4
	v_addc_co_u32_e32 v7, vcc, v7, v5, vcc
	global_load_dwordx2 v[6:7], v[6:7], off
	s_waitcnt vmcnt(0)
	v_fmac_f64_e32 v[0:1], v[2:3], v[6:7]
.LBB26_17:
	s_or_b64 exec, exec, s[2:3]
	v_mov_b32_e32 v3, s1
	v_add_co_u32_e32 v2, vcc, s0, v4
	v_addc_co_u32_e32 v3, vcc, v3, v5, vcc
	global_store_dwordx2 v[2:3], v[0:1], off
.LBB26_18:
	s_endpgm
	.section	.rodata,"a",@progbits
	.p2align	6, 0x0
	.amdhsa_kernel _ZN9rocsparseL28csrmvn_lrb_short_rows_kernelIiiddddEEvbT_PT0_S3_jNS_24const_host_device_scalarIT4_EEPKS1_PKS2_PKT1_PKT2_S6_PT3_21rocsparse_index_base_b
		.amdhsa_group_segment_fixed_size 0
		.amdhsa_private_segment_fixed_size 0
		.amdhsa_kernarg_size 96
		.amdhsa_user_sgpr_count 6
		.amdhsa_user_sgpr_private_segment_buffer 1
		.amdhsa_user_sgpr_dispatch_ptr 0
		.amdhsa_user_sgpr_queue_ptr 0
		.amdhsa_user_sgpr_kernarg_segment_ptr 1
		.amdhsa_user_sgpr_dispatch_id 0
		.amdhsa_user_sgpr_flat_scratch_init 0
		.amdhsa_user_sgpr_kernarg_preload_length 0
		.amdhsa_user_sgpr_kernarg_preload_offset 0
		.amdhsa_user_sgpr_private_segment_size 0
		.amdhsa_uses_dynamic_stack 0
		.amdhsa_system_sgpr_private_segment_wavefront_offset 0
		.amdhsa_system_sgpr_workgroup_id_x 1
		.amdhsa_system_sgpr_workgroup_id_y 0
		.amdhsa_system_sgpr_workgroup_id_z 0
		.amdhsa_system_sgpr_workgroup_info 0
		.amdhsa_system_vgpr_workitem_id 0
		.amdhsa_next_free_vgpr 15
		.amdhsa_next_free_sgpr 23
		.amdhsa_accum_offset 16
		.amdhsa_reserve_vcc 1
		.amdhsa_reserve_flat_scratch 0
		.amdhsa_float_round_mode_32 0
		.amdhsa_float_round_mode_16_64 0
		.amdhsa_float_denorm_mode_32 3
		.amdhsa_float_denorm_mode_16_64 3
		.amdhsa_dx10_clamp 1
		.amdhsa_ieee_mode 1
		.amdhsa_fp16_overflow 0
		.amdhsa_tg_split 0
		.amdhsa_exception_fp_ieee_invalid_op 0
		.amdhsa_exception_fp_denorm_src 0
		.amdhsa_exception_fp_ieee_div_zero 0
		.amdhsa_exception_fp_ieee_overflow 0
		.amdhsa_exception_fp_ieee_underflow 0
		.amdhsa_exception_fp_ieee_inexact 0
		.amdhsa_exception_int_div_zero 0
	.end_amdhsa_kernel
	.section	.text._ZN9rocsparseL28csrmvn_lrb_short_rows_kernelIiiddddEEvbT_PT0_S3_jNS_24const_host_device_scalarIT4_EEPKS1_PKS2_PKT1_PKT2_S6_PT3_21rocsparse_index_base_b,"axG",@progbits,_ZN9rocsparseL28csrmvn_lrb_short_rows_kernelIiiddddEEvbT_PT0_S3_jNS_24const_host_device_scalarIT4_EEPKS1_PKS2_PKT1_PKT2_S6_PT3_21rocsparse_index_base_b,comdat
.Lfunc_end26:
	.size	_ZN9rocsparseL28csrmvn_lrb_short_rows_kernelIiiddddEEvbT_PT0_S3_jNS_24const_host_device_scalarIT4_EEPKS1_PKS2_PKT1_PKT2_S6_PT3_21rocsparse_index_base_b, .Lfunc_end26-_ZN9rocsparseL28csrmvn_lrb_short_rows_kernelIiiddddEEvbT_PT0_S3_jNS_24const_host_device_scalarIT4_EEPKS1_PKS2_PKT1_PKT2_S6_PT3_21rocsparse_index_base_b
                                        ; -- End function
	.section	.AMDGPU.csdata,"",@progbits
; Kernel info:
; codeLenInByte = 788
; NumSgprs: 27
; NumVgprs: 15
; NumAgprs: 0
; TotalNumVgprs: 15
; ScratchSize: 0
; MemoryBound: 0
; FloatMode: 240
; IeeeMode: 1
; LDSByteSize: 0 bytes/workgroup (compile time only)
; SGPRBlocks: 3
; VGPRBlocks: 1
; NumSGPRsForWavesPerEU: 27
; NumVGPRsForWavesPerEU: 15
; AccumOffset: 16
; Occupancy: 8
; WaveLimiterHint : 1
; COMPUTE_PGM_RSRC2:SCRATCH_EN: 0
; COMPUTE_PGM_RSRC2:USER_SGPR: 6
; COMPUTE_PGM_RSRC2:TRAP_HANDLER: 0
; COMPUTE_PGM_RSRC2:TGID_X_EN: 1
; COMPUTE_PGM_RSRC2:TGID_Y_EN: 0
; COMPUTE_PGM_RSRC2:TGID_Z_EN: 0
; COMPUTE_PGM_RSRC2:TIDIG_COMP_CNT: 0
; COMPUTE_PGM_RSRC3_GFX90A:ACCUM_OFFSET: 3
; COMPUTE_PGM_RSRC3_GFX90A:TG_SPLIT: 0
	.section	.text._ZN9rocsparseL30csrmvn_lrb_short_rows_2_kernelIiiddddEEvbT_PT0_S3_jNS_24const_host_device_scalarIT4_EEPKS1_PKS2_PKT1_PKT2_S6_PT3_21rocsparse_index_base_b,"axG",@progbits,_ZN9rocsparseL30csrmvn_lrb_short_rows_2_kernelIiiddddEEvbT_PT0_S3_jNS_24const_host_device_scalarIT4_EEPKS1_PKS2_PKT1_PKT2_S6_PT3_21rocsparse_index_base_b,comdat
	.globl	_ZN9rocsparseL30csrmvn_lrb_short_rows_2_kernelIiiddddEEvbT_PT0_S3_jNS_24const_host_device_scalarIT4_EEPKS1_PKS2_PKT1_PKT2_S6_PT3_21rocsparse_index_base_b ; -- Begin function _ZN9rocsparseL30csrmvn_lrb_short_rows_2_kernelIiiddddEEvbT_PT0_S3_jNS_24const_host_device_scalarIT4_EEPKS1_PKS2_PKT1_PKT2_S6_PT3_21rocsparse_index_base_b
	.p2align	8
	.type	_ZN9rocsparseL30csrmvn_lrb_short_rows_2_kernelIiiddddEEvbT_PT0_S3_jNS_24const_host_device_scalarIT4_EEPKS1_PKS2_PKT1_PKT2_S6_PT3_21rocsparse_index_base_b,@function
_ZN9rocsparseL30csrmvn_lrb_short_rows_2_kernelIiiddddEEvbT_PT0_S3_jNS_24const_host_device_scalarIT4_EEPKS1_PKS2_PKT1_PKT2_S6_PT3_21rocsparse_index_base_b: ; @_ZN9rocsparseL30csrmvn_lrb_short_rows_2_kernelIiiddddEEvbT_PT0_S3_jNS_24const_host_device_scalarIT4_EEPKS1_PKS2_PKT1_PKT2_S6_PT3_21rocsparse_index_base_b
; %bb.0:
	s_load_dwordx2 s[20:21], s[4:5], 0x58
	s_load_dwordx2 s[8:9], s[4:5], 0x20
	s_load_dwordx2 s[0:1], s[4:5], 0x48
	s_waitcnt lgkmcnt(0)
	s_bitcmp1_b32 s21, 0
	s_cselect_b64 s[10:11], -1, 0
	s_xor_b64 s[2:3], s[10:11], -1
	s_and_b64 vcc, exec, s[10:11]
	v_pk_mov_b32 v[4:5], s[8:9], s[8:9] op_sel:[0,1]
	s_cbranch_vccnz .LBB27_2
; %bb.1:
	v_pk_mov_b32 v[2:3], s[8:9], s[8:9] op_sel:[0,1]
	flat_load_dwordx2 v[4:5], v[2:3]
.LBB27_2:
	s_andn2_b64 vcc, exec, s[2:3]
	v_pk_mov_b32 v[2:3], s[0:1], s[0:1] op_sel:[0,1]
	s_cbranch_vccnz .LBB27_4
; %bb.3:
	v_pk_mov_b32 v[2:3], s[0:1], s[0:1] op_sel:[0,1]
	flat_load_dwordx2 v[2:3], v[2:3]
.LBB27_4:
	s_waitcnt vmcnt(0) lgkmcnt(0)
	v_cmp_neq_f64_e32 vcc, 0, v[4:5]
	v_cmp_neq_f64_e64 s[0:1], 1.0, v[2:3]
	s_or_b64 s[0:1], vcc, s[0:1]
	s_and_saveexec_b64 s[2:3], s[0:1]
	s_cbranch_execz .LBB27_30
; %bb.5:
	s_load_dword s2, s[4:5], 0x18
	s_load_dwordx4 s[16:19], s[4:5], 0x8
	s_mov_b32 s3, 0
	s_mov_b32 s1, s3
	s_waitcnt lgkmcnt(0)
	s_lshl_b64 s[8:9], s[2:3], 2
	s_add_u32 s22, s18, s8
	s_addc_u32 s23, s19, s9
	s_add_i32 s0, s2, 1
	s_lshl_b64 s[0:1], s[0:1], 2
	s_add_u32 s0, s18, s0
	s_addc_u32 s1, s19, s1
	s_load_dword s7, s[22:23], 0x0
	s_load_dword s21, s[0:1], 0x0
	s_load_dwordx2 s[18:19], s[4:5], 0x50
	s_load_dwordx8 s[8:15], s[4:5], 0x28
	s_lshr_b32 s3, 0x400, s2
	s_mul_i32 s6, s3, s6
	s_waitcnt lgkmcnt(0)
	s_sub_i32 s0, s21, s7
	s_add_i32 s1, s6, s3
	v_lshrrev_b32_e32 v6, s2, v0
	s_min_u32 s21, s0, s1
	v_bfe_u32 v12, v0, 0, s2
	v_add_u32_e32 v6, s6, v6
	v_subrev_u32_e32 v1, s20, v12
	v_cmp_gt_u32_e32 vcc, s21, v6
	s_and_saveexec_b64 s[0:1], vcc
	s_cbranch_execz .LBB27_9
; %bb.6:
	v_add_u32_e32 v6, s7, v6
	v_mov_b32_e32 v7, 0
	v_lshlrev_b64 v[8:9], 2, v[6:7]
	v_mov_b32_e32 v6, s17
	v_add_co_u32_e32 v8, vcc, s16, v8
	v_addc_co_u32_e32 v9, vcc, v6, v9, vcc
	global_load_dword v8, v[8:9], off
	v_mov_b32_e32 v6, s9
	s_waitcnt vmcnt(0)
	v_ashrrev_i32_e32 v9, 31, v8
	v_lshlrev_b64 v[8:9], 2, v[8:9]
	v_add_co_u32_e32 v8, vcc, s8, v8
	v_addc_co_u32_e32 v9, vcc, v6, v9, vcc
	global_load_dwordx2 v[10:11], v[8:9], off
	v_pk_mov_b32 v[8:9], 0, 0
	s_waitcnt vmcnt(0)
	v_sub_u32_e32 v6, v11, v10
	v_cmp_lt_u32_e32 vcc, v12, v6
	s_and_saveexec_b64 s[4:5], vcc
	s_cbranch_execz .LBB27_8
; %bb.7:
	v_add_u32_e32 v6, v10, v1
	v_lshlrev_b64 v[8:9], 2, v[6:7]
	v_mov_b32_e32 v10, s11
	v_add_co_u32_e32 v8, vcc, s10, v8
	v_addc_co_u32_e32 v9, vcc, v10, v9, vcc
	global_load_dword v8, v[8:9], off
	v_lshlrev_b64 v[6:7], 3, v[6:7]
	v_mov_b32_e32 v9, s13
	v_add_co_u32_e32 v6, vcc, s12, v6
	v_addc_co_u32_e32 v7, vcc, v9, v7, vcc
	v_mov_b32_e32 v10, s15
	global_load_dwordx2 v[6:7], v[6:7], off
	s_waitcnt vmcnt(1)
	v_subrev_u32_e32 v8, s20, v8
	v_ashrrev_i32_e32 v9, 31, v8
	v_lshlrev_b64 v[8:9], 3, v[8:9]
	v_add_co_u32_e32 v8, vcc, s14, v8
	v_addc_co_u32_e32 v9, vcc, v10, v9, vcc
	global_load_dwordx2 v[8:9], v[8:9], off
	s_waitcnt vmcnt(1)
	v_mul_f64 v[6:7], v[4:5], v[6:7]
	s_waitcnt vmcnt(0)
	v_mul_f64 v[8:9], v[6:7], v[8:9]
.LBB27_8:
	s_or_b64 exec, exec, s[4:5]
	v_lshlrev_b32_e32 v6, 3, v0
	ds_write_b64 v6, v[8:9]
.LBB27_9:
	s_or_b64 exec, exec, s[0:1]
	v_or_b32_e32 v6, 0x100, v0
	v_lshrrev_b32_e32 v6, s2, v6
	v_add_u32_e32 v6, s6, v6
	v_cmp_gt_u32_e32 vcc, s21, v6
	s_and_saveexec_b64 s[0:1], vcc
	s_cbranch_execz .LBB27_13
; %bb.10:
	v_add_u32_e32 v6, s7, v6
	v_mov_b32_e32 v7, 0
	v_lshlrev_b64 v[8:9], 2, v[6:7]
	v_mov_b32_e32 v6, s17
	v_add_co_u32_e32 v8, vcc, s16, v8
	v_addc_co_u32_e32 v9, vcc, v6, v9, vcc
	global_load_dword v8, v[8:9], off
	v_mov_b32_e32 v6, s9
	s_waitcnt vmcnt(0)
	v_ashrrev_i32_e32 v9, 31, v8
	v_lshlrev_b64 v[8:9], 2, v[8:9]
	v_add_co_u32_e32 v8, vcc, s8, v8
	v_addc_co_u32_e32 v9, vcc, v6, v9, vcc
	global_load_dwordx2 v[10:11], v[8:9], off
	v_pk_mov_b32 v[8:9], 0, 0
	s_waitcnt vmcnt(0)
	v_sub_u32_e32 v6, v11, v10
	v_cmp_lt_u32_e32 vcc, v12, v6
	s_and_saveexec_b64 s[4:5], vcc
	s_cbranch_execz .LBB27_12
; %bb.11:
	v_add_u32_e32 v6, v10, v1
	v_lshlrev_b64 v[8:9], 2, v[6:7]
	v_mov_b32_e32 v10, s11
	v_add_co_u32_e32 v8, vcc, s10, v8
	v_addc_co_u32_e32 v9, vcc, v10, v9, vcc
	global_load_dword v8, v[8:9], off
	v_lshlrev_b64 v[6:7], 3, v[6:7]
	v_mov_b32_e32 v9, s13
	v_add_co_u32_e32 v6, vcc, s12, v6
	v_addc_co_u32_e32 v7, vcc, v9, v7, vcc
	v_mov_b32_e32 v10, s15
	global_load_dwordx2 v[6:7], v[6:7], off
	s_waitcnt vmcnt(1)
	v_subrev_u32_e32 v8, s20, v8
	v_ashrrev_i32_e32 v9, 31, v8
	v_lshlrev_b64 v[8:9], 3, v[8:9]
	v_add_co_u32_e32 v8, vcc, s14, v8
	v_addc_co_u32_e32 v9, vcc, v10, v9, vcc
	global_load_dwordx2 v[8:9], v[8:9], off
	s_waitcnt vmcnt(1)
	v_mul_f64 v[6:7], v[4:5], v[6:7]
	s_waitcnt vmcnt(0)
	v_mul_f64 v[8:9], v[6:7], v[8:9]
.LBB27_12:
	s_or_b64 exec, exec, s[4:5]
	v_lshlrev_b32_e32 v6, 3, v0
	ds_write_b64 v6, v[8:9] offset:2048
.LBB27_13:
	s_or_b64 exec, exec, s[0:1]
	v_or_b32_e32 v6, 0x200, v0
	v_lshrrev_b32_e32 v6, s2, v6
	v_add_u32_e32 v6, s6, v6
	v_cmp_gt_u32_e32 vcc, s21, v6
	s_and_saveexec_b64 s[0:1], vcc
	s_cbranch_execz .LBB27_17
; %bb.14:
	v_add_u32_e32 v6, s7, v6
	v_mov_b32_e32 v7, 0
	v_lshlrev_b64 v[8:9], 2, v[6:7]
	v_mov_b32_e32 v6, s17
	v_add_co_u32_e32 v8, vcc, s16, v8
	v_addc_co_u32_e32 v9, vcc, v6, v9, vcc
	global_load_dword v8, v[8:9], off
	v_mov_b32_e32 v6, s9
	s_waitcnt vmcnt(0)
	v_ashrrev_i32_e32 v9, 31, v8
	v_lshlrev_b64 v[8:9], 2, v[8:9]
	v_add_co_u32_e32 v8, vcc, s8, v8
	v_addc_co_u32_e32 v9, vcc, v6, v9, vcc
	global_load_dwordx2 v[10:11], v[8:9], off
	v_pk_mov_b32 v[8:9], 0, 0
	s_waitcnt vmcnt(0)
	v_sub_u32_e32 v6, v11, v10
	v_cmp_lt_u32_e32 vcc, v12, v6
	s_and_saveexec_b64 s[4:5], vcc
	s_cbranch_execz .LBB27_16
; %bb.15:
	v_add_u32_e32 v6, v10, v1
	v_lshlrev_b64 v[8:9], 2, v[6:7]
	v_mov_b32_e32 v10, s11
	v_add_co_u32_e32 v8, vcc, s10, v8
	v_addc_co_u32_e32 v9, vcc, v10, v9, vcc
	global_load_dword v8, v[8:9], off
	v_lshlrev_b64 v[6:7], 3, v[6:7]
	v_mov_b32_e32 v9, s13
	v_add_co_u32_e32 v6, vcc, s12, v6
	v_addc_co_u32_e32 v7, vcc, v9, v7, vcc
	v_mov_b32_e32 v10, s15
	global_load_dwordx2 v[6:7], v[6:7], off
	s_waitcnt vmcnt(1)
	v_subrev_u32_e32 v8, s20, v8
	v_ashrrev_i32_e32 v9, 31, v8
	v_lshlrev_b64 v[8:9], 3, v[8:9]
	v_add_co_u32_e32 v8, vcc, s14, v8
	v_addc_co_u32_e32 v9, vcc, v10, v9, vcc
	global_load_dwordx2 v[8:9], v[8:9], off
	s_waitcnt vmcnt(1)
	v_mul_f64 v[6:7], v[4:5], v[6:7]
	s_waitcnt vmcnt(0)
	v_mul_f64 v[8:9], v[6:7], v[8:9]
.LBB27_16:
	s_or_b64 exec, exec, s[4:5]
	v_lshlrev_b32_e32 v6, 3, v0
	ds_write_b64 v6, v[8:9] offset:4096
.LBB27_17:
	;; [unrolled: 57-line block ×3, first 2 shown]
	s_or_b64 exec, exec, s[0:1]
	s_cmp_lt_u32 s2, 11
	s_waitcnt lgkmcnt(0)
	s_barrier
	s_cbranch_scc0 .LBB27_30
; %bb.22:
	s_sub_i32 s8, s21, s6
	s_add_i32 s9, s7, s6
	v_cmp_neq_f64_e32 vcc, 0, v[2:3]
	s_mov_b32 s10, 0
	v_mov_b32_e32 v5, 0
	s_branch .LBB27_25
.LBB27_23:                              ;   in Loop: Header=BB27_25 Depth=1
	s_or_b64 exec, exec, s[6:7]
	v_mov_b32_e32 v1, s19
	v_add_co_u32_e64 v8, s[0:1], s18, v8
	v_addc_co_u32_e64 v9, s[0:1], v1, v9, s[0:1]
	global_store_dwordx2 v[8:9], v[6:7], off
.LBB27_24:                              ;   in Loop: Header=BB27_25 Depth=1
	s_or_b64 exec, exec, s[4:5]
	s_addk_i32 s10, 0x100
	s_cmp_lt_u32 s10, s3
	s_cbranch_scc0 .LBB27_30
.LBB27_25:                              ; =>This Loop Header: Depth=1
                                        ;     Child Loop BB27_27 Depth 2
	v_add_u32_e32 v1, s10, v0
	v_cmp_gt_u32_e64 s[0:1], s8, v1
	s_and_saveexec_b64 s[4:5], s[0:1]
	s_cbranch_execz .LBB27_24
; %bb.26:                               ;   in Loop: Header=BB27_25 Depth=1
	v_add_u32_e32 v4, s9, v1
	v_lshlrev_b64 v[6:7], 2, v[4:5]
	v_mov_b32_e32 v4, s17
	v_add_co_u32_e64 v6, s[0:1], s16, v6
	v_addc_co_u32_e64 v7, s[0:1], v4, v7, s[0:1]
	global_load_dword v8, v[6:7], off
	v_lshlrev_b32_e32 v1, s2, v1
	v_lshlrev_b32_e32 v1, 3, v1
	s_mov_b32 s0, 1
	v_pk_mov_b32 v[6:7], 0, 0
.LBB27_27:                              ;   Parent Loop BB27_25 Depth=1
                                        ; =>  This Inner Loop Header: Depth=2
	ds_read_b64 v[10:11], v1
	s_lshr_b32 s1, s0, s2
	s_add_i32 s0, s0, 1
	v_add_u32_e32 v1, 8, v1
	s_cmp_lg_u32 s1, 0
	s_waitcnt lgkmcnt(0)
	v_add_f64 v[6:7], v[6:7], v[10:11]
	s_cbranch_scc0 .LBB27_27
; %bb.28:                               ;   in Loop: Header=BB27_25 Depth=1
	s_waitcnt vmcnt(0)
	v_ashrrev_i32_e32 v9, 31, v8
	v_lshlrev_b64 v[8:9], 3, v[8:9]
	s_and_saveexec_b64 s[6:7], vcc
	s_cbranch_execz .LBB27_23
; %bb.29:                               ;   in Loop: Header=BB27_25 Depth=1
	v_mov_b32_e32 v1, s19
	v_add_co_u32_e64 v10, s[0:1], s18, v8
	v_addc_co_u32_e64 v11, s[0:1], v1, v9, s[0:1]
	global_load_dwordx2 v[10:11], v[10:11], off
	s_waitcnt vmcnt(0)
	v_fmac_f64_e32 v[6:7], v[2:3], v[10:11]
	s_branch .LBB27_23
.LBB27_30:
	s_endpgm
	.section	.rodata,"a",@progbits
	.p2align	6, 0x0
	.amdhsa_kernel _ZN9rocsparseL30csrmvn_lrb_short_rows_2_kernelIiiddddEEvbT_PT0_S3_jNS_24const_host_device_scalarIT4_EEPKS1_PKS2_PKT1_PKT2_S6_PT3_21rocsparse_index_base_b
		.amdhsa_group_segment_fixed_size 8192
		.amdhsa_private_segment_fixed_size 0
		.amdhsa_kernarg_size 96
		.amdhsa_user_sgpr_count 6
		.amdhsa_user_sgpr_private_segment_buffer 1
		.amdhsa_user_sgpr_dispatch_ptr 0
		.amdhsa_user_sgpr_queue_ptr 0
		.amdhsa_user_sgpr_kernarg_segment_ptr 1
		.amdhsa_user_sgpr_dispatch_id 0
		.amdhsa_user_sgpr_flat_scratch_init 0
		.amdhsa_user_sgpr_kernarg_preload_length 0
		.amdhsa_user_sgpr_kernarg_preload_offset 0
		.amdhsa_user_sgpr_private_segment_size 0
		.amdhsa_uses_dynamic_stack 0
		.amdhsa_system_sgpr_private_segment_wavefront_offset 0
		.amdhsa_system_sgpr_workgroup_id_x 1
		.amdhsa_system_sgpr_workgroup_id_y 0
		.amdhsa_system_sgpr_workgroup_id_z 0
		.amdhsa_system_sgpr_workgroup_info 0
		.amdhsa_system_vgpr_workitem_id 0
		.amdhsa_next_free_vgpr 13
		.amdhsa_next_free_sgpr 24
		.amdhsa_accum_offset 16
		.amdhsa_reserve_vcc 1
		.amdhsa_reserve_flat_scratch 0
		.amdhsa_float_round_mode_32 0
		.amdhsa_float_round_mode_16_64 0
		.amdhsa_float_denorm_mode_32 3
		.amdhsa_float_denorm_mode_16_64 3
		.amdhsa_dx10_clamp 1
		.amdhsa_ieee_mode 1
		.amdhsa_fp16_overflow 0
		.amdhsa_tg_split 0
		.amdhsa_exception_fp_ieee_invalid_op 0
		.amdhsa_exception_fp_denorm_src 0
		.amdhsa_exception_fp_ieee_div_zero 0
		.amdhsa_exception_fp_ieee_overflow 0
		.amdhsa_exception_fp_ieee_underflow 0
		.amdhsa_exception_fp_ieee_inexact 0
		.amdhsa_exception_int_div_zero 0
	.end_amdhsa_kernel
	.section	.text._ZN9rocsparseL30csrmvn_lrb_short_rows_2_kernelIiiddddEEvbT_PT0_S3_jNS_24const_host_device_scalarIT4_EEPKS1_PKS2_PKT1_PKT2_S6_PT3_21rocsparse_index_base_b,"axG",@progbits,_ZN9rocsparseL30csrmvn_lrb_short_rows_2_kernelIiiddddEEvbT_PT0_S3_jNS_24const_host_device_scalarIT4_EEPKS1_PKS2_PKT1_PKT2_S6_PT3_21rocsparse_index_base_b,comdat
.Lfunc_end27:
	.size	_ZN9rocsparseL30csrmvn_lrb_short_rows_2_kernelIiiddddEEvbT_PT0_S3_jNS_24const_host_device_scalarIT4_EEPKS1_PKS2_PKT1_PKT2_S6_PT3_21rocsparse_index_base_b, .Lfunc_end27-_ZN9rocsparseL30csrmvn_lrb_short_rows_2_kernelIiiddddEEvbT_PT0_S3_jNS_24const_host_device_scalarIT4_EEPKS1_PKS2_PKT1_PKT2_S6_PT3_21rocsparse_index_base_b
                                        ; -- End function
	.section	.AMDGPU.csdata,"",@progbits
; Kernel info:
; codeLenInByte = 1616
; NumSgprs: 28
; NumVgprs: 13
; NumAgprs: 0
; TotalNumVgprs: 13
; ScratchSize: 0
; MemoryBound: 0
; FloatMode: 240
; IeeeMode: 1
; LDSByteSize: 8192 bytes/workgroup (compile time only)
; SGPRBlocks: 3
; VGPRBlocks: 1
; NumSGPRsForWavesPerEU: 28
; NumVGPRsForWavesPerEU: 13
; AccumOffset: 16
; Occupancy: 8
; WaveLimiterHint : 1
; COMPUTE_PGM_RSRC2:SCRATCH_EN: 0
; COMPUTE_PGM_RSRC2:USER_SGPR: 6
; COMPUTE_PGM_RSRC2:TRAP_HANDLER: 0
; COMPUTE_PGM_RSRC2:TGID_X_EN: 1
; COMPUTE_PGM_RSRC2:TGID_Y_EN: 0
; COMPUTE_PGM_RSRC2:TGID_Z_EN: 0
; COMPUTE_PGM_RSRC2:TIDIG_COMP_CNT: 0
; COMPUTE_PGM_RSRC3_GFX90A:ACCUM_OFFSET: 3
; COMPUTE_PGM_RSRC3_GFX90A:TG_SPLIT: 0
	.section	.text._ZN9rocsparseL41csrmvn_lrb_medium_rows_warp_reduce_kernelILj256ELj32EiiddddEEvbT1_lPT2_S3_jNS_24const_host_device_scalarIT6_EEPKS1_PKS2_PKT3_PKT4_S6_PT5_21rocsparse_index_base_b,"axG",@progbits,_ZN9rocsparseL41csrmvn_lrb_medium_rows_warp_reduce_kernelILj256ELj32EiiddddEEvbT1_lPT2_S3_jNS_24const_host_device_scalarIT6_EEPKS1_PKS2_PKT3_PKT4_S6_PT5_21rocsparse_index_base_b,comdat
	.globl	_ZN9rocsparseL41csrmvn_lrb_medium_rows_warp_reduce_kernelILj256ELj32EiiddddEEvbT1_lPT2_S3_jNS_24const_host_device_scalarIT6_EEPKS1_PKS2_PKT3_PKT4_S6_PT5_21rocsparse_index_base_b ; -- Begin function _ZN9rocsparseL41csrmvn_lrb_medium_rows_warp_reduce_kernelILj256ELj32EiiddddEEvbT1_lPT2_S3_jNS_24const_host_device_scalarIT6_EEPKS1_PKS2_PKT3_PKT4_S6_PT5_21rocsparse_index_base_b
	.p2align	8
	.type	_ZN9rocsparseL41csrmvn_lrb_medium_rows_warp_reduce_kernelILj256ELj32EiiddddEEvbT1_lPT2_S3_jNS_24const_host_device_scalarIT6_EEPKS1_PKS2_PKT3_PKT4_S6_PT5_21rocsparse_index_base_b,@function
_ZN9rocsparseL41csrmvn_lrb_medium_rows_warp_reduce_kernelILj256ELj32EiiddddEEvbT1_lPT2_S3_jNS_24const_host_device_scalarIT6_EEPKS1_PKS2_PKT3_PKT4_S6_PT5_21rocsparse_index_base_b: ; @_ZN9rocsparseL41csrmvn_lrb_medium_rows_warp_reduce_kernelILj256ELj32EiiddddEEvbT1_lPT2_S3_jNS_24const_host_device_scalarIT6_EEPKS1_PKS2_PKT3_PKT4_S6_PT5_21rocsparse_index_base_b
; %bb.0:
	s_load_dwordx2 s[8:9], s[4:5], 0x60
	s_load_dwordx2 s[10:11], s[4:5], 0x28
	;; [unrolled: 1-line block ×3, first 2 shown]
	s_waitcnt lgkmcnt(0)
	s_bitcmp1_b32 s9, 0
	s_cselect_b64 s[12:13], -1, 0
	s_xor_b64 s[2:3], s[12:13], -1
	s_and_b64 vcc, exec, s[12:13]
	v_pk_mov_b32 v[4:5], s[10:11], s[10:11] op_sel:[0,1]
	s_cbranch_vccnz .LBB28_2
; %bb.1:
	v_pk_mov_b32 v[2:3], s[10:11], s[10:11] op_sel:[0,1]
	flat_load_dwordx2 v[4:5], v[2:3]
.LBB28_2:
	s_andn2_b64 vcc, exec, s[2:3]
	v_pk_mov_b32 v[2:3], s[0:1], s[0:1] op_sel:[0,1]
	s_cbranch_vccnz .LBB28_4
; %bb.3:
	v_pk_mov_b32 v[2:3], s[0:1], s[0:1] op_sel:[0,1]
	flat_load_dwordx2 v[2:3], v[2:3]
.LBB28_4:
	s_waitcnt vmcnt(0) lgkmcnt(0)
	v_cmp_neq_f64_e32 vcc, 0, v[4:5]
	v_cmp_neq_f64_e64 s[0:1], 1.0, v[2:3]
	s_or_b64 s[0:1], vcc, s[0:1]
	s_and_saveexec_b64 s[2:3], s[0:1]
	s_cbranch_execz .LBB28_14
; %bb.5:
	s_load_dwordx2 s[0:1], s[4:5], 0x8
	v_lshrrev_b32_e32 v1, 5, v0
	v_lshl_or_b32 v6, s6, 3, v1
	v_ashrrev_i32_e32 v7, 31, v6
	s_waitcnt lgkmcnt(0)
	v_cmp_gt_i64_e32 vcc, s[0:1], v[6:7]
	s_and_b64 exec, exec, vcc
	s_cbranch_execz .LBB28_14
; %bb.6:
	s_load_dword s6, s[4:5], 0x20
	s_load_dwordx4 s[0:3], s[4:5], 0x10
	s_mov_b32 s7, 0
	v_and_b32_e32 v10, 31, v0
	v_subrev_u32_e32 v0, s8, v10
	s_waitcnt lgkmcnt(0)
	s_lshl_b64 s[6:7], s[6:7], 2
	s_add_u32 s2, s2, s6
	s_addc_u32 s3, s3, s7
	s_load_dword s2, s[2:3], 0x0
	v_mov_b32_e32 v1, s1
	s_load_dwordx2 s[6:7], s[4:5], 0x58
	s_waitcnt lgkmcnt(0)
	v_add_u32_e32 v6, s2, v6
	v_ashrrev_i32_e32 v7, 31, v6
	v_lshlrev_b64 v[6:7], 2, v[6:7]
	v_add_co_u32_e32 v6, vcc, s0, v6
	v_addc_co_u32_e32 v7, vcc, v1, v7, vcc
	global_load_dword v6, v[6:7], off
	s_load_dwordx2 s[0:1], s[4:5], 0x30
	s_waitcnt lgkmcnt(0)
	v_mov_b32_e32 v1, s1
	s_waitcnt vmcnt(0)
	v_ashrrev_i32_e32 v7, 31, v6
	v_lshlrev_b64 v[8:9], 2, v[6:7]
	v_add_co_u32_e32 v8, vcc, s0, v8
	v_addc_co_u32_e32 v9, vcc, v1, v9, vcc
	global_load_dwordx2 v[8:9], v[8:9], off
	s_waitcnt vmcnt(0)
	v_subrev_u32_e32 v11, s8, v9
	v_add_u32_e32 v8, v8, v0
	v_cmp_lt_i32_e32 vcc, v8, v11
	v_pk_mov_b32 v[0:1], 0, 0
	s_and_saveexec_b64 s[10:11], vcc
	s_cbranch_execz .LBB28_10
; %bb.7:
	s_load_dwordx4 s[0:3], s[4:5], 0x38
	s_load_dwordx2 s[12:13], s[4:5], 0x48
	s_mov_b64 s[4:5], 0
	v_pk_mov_b32 v[0:1], 0, 0
	s_waitcnt lgkmcnt(0)
	v_mov_b32_e32 v12, s3
	v_mov_b32_e32 v13, s1
	v_mov_b32_e32 v14, s13
.LBB28_8:                               ; =>This Inner Loop Header: Depth=1
	v_ashrrev_i32_e32 v9, 31, v8
	v_lshlrev_b64 v[16:17], 2, v[8:9]
	v_add_co_u32_e32 v16, vcc, s0, v16
	v_addc_co_u32_e32 v17, vcc, v13, v17, vcc
	global_load_dword v15, v[16:17], off
	v_lshlrev_b64 v[16:17], 3, v[8:9]
	v_add_co_u32_e32 v16, vcc, s2, v16
	v_addc_co_u32_e32 v17, vcc, v12, v17, vcc
	global_load_dwordx2 v[16:17], v[16:17], off
	v_add_u32_e32 v8, 32, v8
	s_waitcnt vmcnt(1)
	v_subrev_u32_e32 v18, s8, v15
	v_ashrrev_i32_e32 v19, 31, v18
	v_lshlrev_b64 v[18:19], 3, v[18:19]
	v_add_co_u32_e32 v18, vcc, s12, v18
	v_addc_co_u32_e32 v19, vcc, v14, v19, vcc
	global_load_dwordx2 v[18:19], v[18:19], off
	s_waitcnt vmcnt(1)
	v_mul_f64 v[16:17], v[4:5], v[16:17]
	v_cmp_ge_i32_e32 vcc, v8, v11
	s_or_b64 s[4:5], vcc, s[4:5]
	s_waitcnt vmcnt(0)
	v_fmac_f64_e32 v[0:1], v[16:17], v[18:19]
	s_andn2_b64 exec, exec, s[4:5]
	s_cbranch_execnz .LBB28_8
; %bb.9:
	s_or_b64 exec, exec, s[4:5]
.LBB28_10:
	s_or_b64 exec, exec, s[10:11]
	v_mov_b32_dpp v4, v0 row_shr:1 row_mask:0xf bank_mask:0xf
	v_mov_b32_dpp v5, v1 row_shr:1 row_mask:0xf bank_mask:0xf
	v_add_f64 v[0:1], v[0:1], v[4:5]
	v_cmp_eq_u32_e32 vcc, 31, v10
	s_nop 0
	v_mov_b32_dpp v4, v0 row_shr:2 row_mask:0xf bank_mask:0xf
	v_mov_b32_dpp v5, v1 row_shr:2 row_mask:0xf bank_mask:0xf
	v_add_f64 v[0:1], v[0:1], v[4:5]
	s_nop 1
	v_mov_b32_dpp v4, v0 row_shr:4 row_mask:0xf bank_mask:0xe
	v_mov_b32_dpp v5, v1 row_shr:4 row_mask:0xf bank_mask:0xe
	v_add_f64 v[0:1], v[0:1], v[4:5]
	;; [unrolled: 4-line block ×3, first 2 shown]
	s_nop 1
	v_mov_b32_dpp v4, v0 row_bcast:15 row_mask:0xa bank_mask:0xf
	v_mov_b32_dpp v5, v1 row_bcast:15 row_mask:0xa bank_mask:0xf
	s_and_b64 exec, exec, vcc
	s_cbranch_execz .LBB28_14
; %bb.11:
	v_add_f64 v[0:1], v[0:1], v[4:5]
	v_cmp_neq_f64_e32 vcc, 0, v[2:3]
	v_lshlrev_b64 v[4:5], 3, v[6:7]
	s_and_saveexec_b64 s[0:1], vcc
	s_cbranch_execz .LBB28_13
; %bb.12:
	v_mov_b32_e32 v7, s7
	v_add_co_u32_e32 v6, vcc, s6, v4
	v_addc_co_u32_e32 v7, vcc, v7, v5, vcc
	global_load_dwordx2 v[6:7], v[6:7], off
	s_waitcnt vmcnt(0)
	v_fmac_f64_e32 v[0:1], v[2:3], v[6:7]
.LBB28_13:
	s_or_b64 exec, exec, s[0:1]
	v_mov_b32_e32 v3, s7
	v_add_co_u32_e32 v2, vcc, s6, v4
	v_addc_co_u32_e32 v3, vcc, v3, v5, vcc
	global_store_dwordx2 v[2:3], v[0:1], off
.LBB28_14:
	s_endpgm
	.section	.rodata,"a",@progbits
	.p2align	6, 0x0
	.amdhsa_kernel _ZN9rocsparseL41csrmvn_lrb_medium_rows_warp_reduce_kernelILj256ELj32EiiddddEEvbT1_lPT2_S3_jNS_24const_host_device_scalarIT6_EEPKS1_PKS2_PKT3_PKT4_S6_PT5_21rocsparse_index_base_b
		.amdhsa_group_segment_fixed_size 0
		.amdhsa_private_segment_fixed_size 0
		.amdhsa_kernarg_size 104
		.amdhsa_user_sgpr_count 6
		.amdhsa_user_sgpr_private_segment_buffer 1
		.amdhsa_user_sgpr_dispatch_ptr 0
		.amdhsa_user_sgpr_queue_ptr 0
		.amdhsa_user_sgpr_kernarg_segment_ptr 1
		.amdhsa_user_sgpr_dispatch_id 0
		.amdhsa_user_sgpr_flat_scratch_init 0
		.amdhsa_user_sgpr_kernarg_preload_length 0
		.amdhsa_user_sgpr_kernarg_preload_offset 0
		.amdhsa_user_sgpr_private_segment_size 0
		.amdhsa_uses_dynamic_stack 0
		.amdhsa_system_sgpr_private_segment_wavefront_offset 0
		.amdhsa_system_sgpr_workgroup_id_x 1
		.amdhsa_system_sgpr_workgroup_id_y 0
		.amdhsa_system_sgpr_workgroup_id_z 0
		.amdhsa_system_sgpr_workgroup_info 0
		.amdhsa_system_vgpr_workitem_id 0
		.amdhsa_next_free_vgpr 20
		.amdhsa_next_free_sgpr 14
		.amdhsa_accum_offset 20
		.amdhsa_reserve_vcc 1
		.amdhsa_reserve_flat_scratch 0
		.amdhsa_float_round_mode_32 0
		.amdhsa_float_round_mode_16_64 0
		.amdhsa_float_denorm_mode_32 3
		.amdhsa_float_denorm_mode_16_64 3
		.amdhsa_dx10_clamp 1
		.amdhsa_ieee_mode 1
		.amdhsa_fp16_overflow 0
		.amdhsa_tg_split 0
		.amdhsa_exception_fp_ieee_invalid_op 0
		.amdhsa_exception_fp_denorm_src 0
		.amdhsa_exception_fp_ieee_div_zero 0
		.amdhsa_exception_fp_ieee_overflow 0
		.amdhsa_exception_fp_ieee_underflow 0
		.amdhsa_exception_fp_ieee_inexact 0
		.amdhsa_exception_int_div_zero 0
	.end_amdhsa_kernel
	.section	.text._ZN9rocsparseL41csrmvn_lrb_medium_rows_warp_reduce_kernelILj256ELj32EiiddddEEvbT1_lPT2_S3_jNS_24const_host_device_scalarIT6_EEPKS1_PKS2_PKT3_PKT4_S6_PT5_21rocsparse_index_base_b,"axG",@progbits,_ZN9rocsparseL41csrmvn_lrb_medium_rows_warp_reduce_kernelILj256ELj32EiiddddEEvbT1_lPT2_S3_jNS_24const_host_device_scalarIT6_EEPKS1_PKS2_PKT3_PKT4_S6_PT5_21rocsparse_index_base_b,comdat
.Lfunc_end28:
	.size	_ZN9rocsparseL41csrmvn_lrb_medium_rows_warp_reduce_kernelILj256ELj32EiiddddEEvbT1_lPT2_S3_jNS_24const_host_device_scalarIT6_EEPKS1_PKS2_PKT3_PKT4_S6_PT5_21rocsparse_index_base_b, .Lfunc_end28-_ZN9rocsparseL41csrmvn_lrb_medium_rows_warp_reduce_kernelILj256ELj32EiiddddEEvbT1_lPT2_S3_jNS_24const_host_device_scalarIT6_EEPKS1_PKS2_PKT3_PKT4_S6_PT5_21rocsparse_index_base_b
                                        ; -- End function
	.section	.AMDGPU.csdata,"",@progbits
; Kernel info:
; codeLenInByte = 756
; NumSgprs: 18
; NumVgprs: 20
; NumAgprs: 0
; TotalNumVgprs: 20
; ScratchSize: 0
; MemoryBound: 0
; FloatMode: 240
; IeeeMode: 1
; LDSByteSize: 0 bytes/workgroup (compile time only)
; SGPRBlocks: 2
; VGPRBlocks: 2
; NumSGPRsForWavesPerEU: 18
; NumVGPRsForWavesPerEU: 20
; AccumOffset: 20
; Occupancy: 8
; WaveLimiterHint : 1
; COMPUTE_PGM_RSRC2:SCRATCH_EN: 0
; COMPUTE_PGM_RSRC2:USER_SGPR: 6
; COMPUTE_PGM_RSRC2:TRAP_HANDLER: 0
; COMPUTE_PGM_RSRC2:TGID_X_EN: 1
; COMPUTE_PGM_RSRC2:TGID_Y_EN: 0
; COMPUTE_PGM_RSRC2:TGID_Z_EN: 0
; COMPUTE_PGM_RSRC2:TIDIG_COMP_CNT: 0
; COMPUTE_PGM_RSRC3_GFX90A:ACCUM_OFFSET: 4
; COMPUTE_PGM_RSRC3_GFX90A:TG_SPLIT: 0
	.section	.text._ZN9rocsparseL41csrmvn_lrb_medium_rows_warp_reduce_kernelILj256ELj64EiiddddEEvbT1_lPT2_S3_jNS_24const_host_device_scalarIT6_EEPKS1_PKS2_PKT3_PKT4_S6_PT5_21rocsparse_index_base_b,"axG",@progbits,_ZN9rocsparseL41csrmvn_lrb_medium_rows_warp_reduce_kernelILj256ELj64EiiddddEEvbT1_lPT2_S3_jNS_24const_host_device_scalarIT6_EEPKS1_PKS2_PKT3_PKT4_S6_PT5_21rocsparse_index_base_b,comdat
	.globl	_ZN9rocsparseL41csrmvn_lrb_medium_rows_warp_reduce_kernelILj256ELj64EiiddddEEvbT1_lPT2_S3_jNS_24const_host_device_scalarIT6_EEPKS1_PKS2_PKT3_PKT4_S6_PT5_21rocsparse_index_base_b ; -- Begin function _ZN9rocsparseL41csrmvn_lrb_medium_rows_warp_reduce_kernelILj256ELj64EiiddddEEvbT1_lPT2_S3_jNS_24const_host_device_scalarIT6_EEPKS1_PKS2_PKT3_PKT4_S6_PT5_21rocsparse_index_base_b
	.p2align	8
	.type	_ZN9rocsparseL41csrmvn_lrb_medium_rows_warp_reduce_kernelILj256ELj64EiiddddEEvbT1_lPT2_S3_jNS_24const_host_device_scalarIT6_EEPKS1_PKS2_PKT3_PKT4_S6_PT5_21rocsparse_index_base_b,@function
_ZN9rocsparseL41csrmvn_lrb_medium_rows_warp_reduce_kernelILj256ELj64EiiddddEEvbT1_lPT2_S3_jNS_24const_host_device_scalarIT6_EEPKS1_PKS2_PKT3_PKT4_S6_PT5_21rocsparse_index_base_b: ; @_ZN9rocsparseL41csrmvn_lrb_medium_rows_warp_reduce_kernelILj256ELj64EiiddddEEvbT1_lPT2_S3_jNS_24const_host_device_scalarIT6_EEPKS1_PKS2_PKT3_PKT4_S6_PT5_21rocsparse_index_base_b
; %bb.0:
	s_load_dwordx2 s[8:9], s[4:5], 0x60
	s_load_dwordx2 s[10:11], s[4:5], 0x28
	;; [unrolled: 1-line block ×3, first 2 shown]
	s_waitcnt lgkmcnt(0)
	s_bitcmp1_b32 s9, 0
	s_cselect_b64 s[12:13], -1, 0
	s_xor_b64 s[2:3], s[12:13], -1
	s_and_b64 vcc, exec, s[12:13]
	v_pk_mov_b32 v[4:5], s[10:11], s[10:11] op_sel:[0,1]
	s_cbranch_vccnz .LBB29_2
; %bb.1:
	v_pk_mov_b32 v[2:3], s[10:11], s[10:11] op_sel:[0,1]
	flat_load_dwordx2 v[4:5], v[2:3]
.LBB29_2:
	s_andn2_b64 vcc, exec, s[2:3]
	v_pk_mov_b32 v[2:3], s[0:1], s[0:1] op_sel:[0,1]
	s_cbranch_vccnz .LBB29_4
; %bb.3:
	v_pk_mov_b32 v[2:3], s[0:1], s[0:1] op_sel:[0,1]
	flat_load_dwordx2 v[2:3], v[2:3]
.LBB29_4:
	s_waitcnt vmcnt(0) lgkmcnt(0)
	v_cmp_neq_f64_e32 vcc, 0, v[4:5]
	v_cmp_neq_f64_e64 s[0:1], 1.0, v[2:3]
	s_or_b64 s[0:1], vcc, s[0:1]
	s_and_saveexec_b64 s[2:3], s[0:1]
	s_cbranch_execz .LBB29_14
; %bb.5:
	s_load_dwordx2 s[0:1], s[4:5], 0x8
	v_lshrrev_b32_e32 v1, 6, v0
	v_lshl_or_b32 v6, s6, 2, v1
	v_ashrrev_i32_e32 v7, 31, v6
	s_waitcnt lgkmcnt(0)
	v_cmp_gt_i64_e32 vcc, s[0:1], v[6:7]
	s_and_b64 exec, exec, vcc
	s_cbranch_execz .LBB29_14
; %bb.6:
	s_load_dword s6, s[4:5], 0x20
	s_load_dwordx4 s[0:3], s[4:5], 0x10
	s_mov_b32 s7, 0
	v_and_b32_e32 v10, 63, v0
	v_subrev_u32_e32 v0, s8, v10
	s_waitcnt lgkmcnt(0)
	s_lshl_b64 s[6:7], s[6:7], 2
	s_add_u32 s2, s2, s6
	s_addc_u32 s3, s3, s7
	s_load_dword s2, s[2:3], 0x0
	v_mov_b32_e32 v1, s1
	s_load_dwordx2 s[6:7], s[4:5], 0x58
	s_waitcnt lgkmcnt(0)
	v_add_u32_e32 v6, s2, v6
	v_ashrrev_i32_e32 v7, 31, v6
	v_lshlrev_b64 v[6:7], 2, v[6:7]
	v_add_co_u32_e32 v6, vcc, s0, v6
	v_addc_co_u32_e32 v7, vcc, v1, v7, vcc
	global_load_dword v6, v[6:7], off
	s_load_dwordx2 s[0:1], s[4:5], 0x30
	s_waitcnt lgkmcnt(0)
	v_mov_b32_e32 v1, s1
	s_waitcnt vmcnt(0)
	v_ashrrev_i32_e32 v7, 31, v6
	v_lshlrev_b64 v[8:9], 2, v[6:7]
	v_add_co_u32_e32 v8, vcc, s0, v8
	v_addc_co_u32_e32 v9, vcc, v1, v9, vcc
	global_load_dwordx2 v[8:9], v[8:9], off
	s_waitcnt vmcnt(0)
	v_subrev_u32_e32 v11, s8, v9
	v_add_u32_e32 v8, v8, v0
	v_cmp_lt_i32_e32 vcc, v8, v11
	v_pk_mov_b32 v[0:1], 0, 0
	s_and_saveexec_b64 s[10:11], vcc
	s_cbranch_execz .LBB29_10
; %bb.7:
	s_load_dwordx4 s[0:3], s[4:5], 0x38
	s_load_dwordx2 s[12:13], s[4:5], 0x48
	s_mov_b64 s[4:5], 0
	v_pk_mov_b32 v[0:1], 0, 0
	s_waitcnt lgkmcnt(0)
	v_mov_b32_e32 v12, s3
	v_mov_b32_e32 v13, s1
	;; [unrolled: 1-line block ×3, first 2 shown]
.LBB29_8:                               ; =>This Inner Loop Header: Depth=1
	v_ashrrev_i32_e32 v9, 31, v8
	v_lshlrev_b64 v[16:17], 2, v[8:9]
	v_add_co_u32_e32 v16, vcc, s0, v16
	v_addc_co_u32_e32 v17, vcc, v13, v17, vcc
	global_load_dword v15, v[16:17], off
	v_lshlrev_b64 v[16:17], 3, v[8:9]
	v_add_co_u32_e32 v16, vcc, s2, v16
	v_addc_co_u32_e32 v17, vcc, v12, v17, vcc
	global_load_dwordx2 v[16:17], v[16:17], off
	v_add_u32_e32 v8, 64, v8
	s_waitcnt vmcnt(1)
	v_subrev_u32_e32 v18, s8, v15
	v_ashrrev_i32_e32 v19, 31, v18
	v_lshlrev_b64 v[18:19], 3, v[18:19]
	v_add_co_u32_e32 v18, vcc, s12, v18
	v_addc_co_u32_e32 v19, vcc, v14, v19, vcc
	global_load_dwordx2 v[18:19], v[18:19], off
	s_waitcnt vmcnt(1)
	v_mul_f64 v[16:17], v[4:5], v[16:17]
	v_cmp_ge_i32_e32 vcc, v8, v11
	s_or_b64 s[4:5], vcc, s[4:5]
	s_waitcnt vmcnt(0)
	v_fmac_f64_e32 v[0:1], v[16:17], v[18:19]
	s_andn2_b64 exec, exec, s[4:5]
	s_cbranch_execnz .LBB29_8
; %bb.9:
	s_or_b64 exec, exec, s[4:5]
.LBB29_10:
	s_or_b64 exec, exec, s[10:11]
	v_mov_b32_dpp v4, v0 row_shr:1 row_mask:0xf bank_mask:0xf
	v_mov_b32_dpp v5, v1 row_shr:1 row_mask:0xf bank_mask:0xf
	v_add_f64 v[0:1], v[0:1], v[4:5]
	v_cmp_eq_u32_e32 vcc, 63, v10
	s_nop 0
	v_mov_b32_dpp v4, v0 row_shr:2 row_mask:0xf bank_mask:0xf
	v_mov_b32_dpp v5, v1 row_shr:2 row_mask:0xf bank_mask:0xf
	v_add_f64 v[0:1], v[0:1], v[4:5]
	s_nop 1
	v_mov_b32_dpp v4, v0 row_shr:4 row_mask:0xf bank_mask:0xe
	v_mov_b32_dpp v5, v1 row_shr:4 row_mask:0xf bank_mask:0xe
	v_add_f64 v[0:1], v[0:1], v[4:5]
	;; [unrolled: 4-line block ×3, first 2 shown]
	s_nop 1
	v_mov_b32_dpp v4, v0 row_bcast:15 row_mask:0xa bank_mask:0xf
	v_mov_b32_dpp v5, v1 row_bcast:15 row_mask:0xa bank_mask:0xf
	v_add_f64 v[0:1], v[0:1], v[4:5]
	s_nop 1
	v_mov_b32_dpp v4, v0 row_bcast:31 row_mask:0xc bank_mask:0xf
	v_mov_b32_dpp v5, v1 row_bcast:31 row_mask:0xc bank_mask:0xf
	s_and_b64 exec, exec, vcc
	s_cbranch_execz .LBB29_14
; %bb.11:
	v_add_f64 v[0:1], v[0:1], v[4:5]
	v_cmp_neq_f64_e32 vcc, 0, v[2:3]
	v_lshlrev_b64 v[4:5], 3, v[6:7]
	s_and_saveexec_b64 s[0:1], vcc
	s_cbranch_execz .LBB29_13
; %bb.12:
	v_mov_b32_e32 v7, s7
	v_add_co_u32_e32 v6, vcc, s6, v4
	v_addc_co_u32_e32 v7, vcc, v7, v5, vcc
	global_load_dwordx2 v[6:7], v[6:7], off
	s_waitcnt vmcnt(0)
	v_fmac_f64_e32 v[0:1], v[2:3], v[6:7]
.LBB29_13:
	s_or_b64 exec, exec, s[0:1]
	v_mov_b32_e32 v3, s7
	v_add_co_u32_e32 v2, vcc, s6, v4
	v_addc_co_u32_e32 v3, vcc, v3, v5, vcc
	global_store_dwordx2 v[2:3], v[0:1], off
.LBB29_14:
	s_endpgm
	.section	.rodata,"a",@progbits
	.p2align	6, 0x0
	.amdhsa_kernel _ZN9rocsparseL41csrmvn_lrb_medium_rows_warp_reduce_kernelILj256ELj64EiiddddEEvbT1_lPT2_S3_jNS_24const_host_device_scalarIT6_EEPKS1_PKS2_PKT3_PKT4_S6_PT5_21rocsparse_index_base_b
		.amdhsa_group_segment_fixed_size 0
		.amdhsa_private_segment_fixed_size 0
		.amdhsa_kernarg_size 104
		.amdhsa_user_sgpr_count 6
		.amdhsa_user_sgpr_private_segment_buffer 1
		.amdhsa_user_sgpr_dispatch_ptr 0
		.amdhsa_user_sgpr_queue_ptr 0
		.amdhsa_user_sgpr_kernarg_segment_ptr 1
		.amdhsa_user_sgpr_dispatch_id 0
		.amdhsa_user_sgpr_flat_scratch_init 0
		.amdhsa_user_sgpr_kernarg_preload_length 0
		.amdhsa_user_sgpr_kernarg_preload_offset 0
		.amdhsa_user_sgpr_private_segment_size 0
		.amdhsa_uses_dynamic_stack 0
		.amdhsa_system_sgpr_private_segment_wavefront_offset 0
		.amdhsa_system_sgpr_workgroup_id_x 1
		.amdhsa_system_sgpr_workgroup_id_y 0
		.amdhsa_system_sgpr_workgroup_id_z 0
		.amdhsa_system_sgpr_workgroup_info 0
		.amdhsa_system_vgpr_workitem_id 0
		.amdhsa_next_free_vgpr 20
		.amdhsa_next_free_sgpr 14
		.amdhsa_accum_offset 20
		.amdhsa_reserve_vcc 1
		.amdhsa_reserve_flat_scratch 0
		.amdhsa_float_round_mode_32 0
		.amdhsa_float_round_mode_16_64 0
		.amdhsa_float_denorm_mode_32 3
		.amdhsa_float_denorm_mode_16_64 3
		.amdhsa_dx10_clamp 1
		.amdhsa_ieee_mode 1
		.amdhsa_fp16_overflow 0
		.amdhsa_tg_split 0
		.amdhsa_exception_fp_ieee_invalid_op 0
		.amdhsa_exception_fp_denorm_src 0
		.amdhsa_exception_fp_ieee_div_zero 0
		.amdhsa_exception_fp_ieee_overflow 0
		.amdhsa_exception_fp_ieee_underflow 0
		.amdhsa_exception_fp_ieee_inexact 0
		.amdhsa_exception_int_div_zero 0
	.end_amdhsa_kernel
	.section	.text._ZN9rocsparseL41csrmvn_lrb_medium_rows_warp_reduce_kernelILj256ELj64EiiddddEEvbT1_lPT2_S3_jNS_24const_host_device_scalarIT6_EEPKS1_PKS2_PKT3_PKT4_S6_PT5_21rocsparse_index_base_b,"axG",@progbits,_ZN9rocsparseL41csrmvn_lrb_medium_rows_warp_reduce_kernelILj256ELj64EiiddddEEvbT1_lPT2_S3_jNS_24const_host_device_scalarIT6_EEPKS1_PKS2_PKT3_PKT4_S6_PT5_21rocsparse_index_base_b,comdat
.Lfunc_end29:
	.size	_ZN9rocsparseL41csrmvn_lrb_medium_rows_warp_reduce_kernelILj256ELj64EiiddddEEvbT1_lPT2_S3_jNS_24const_host_device_scalarIT6_EEPKS1_PKS2_PKT3_PKT4_S6_PT5_21rocsparse_index_base_b, .Lfunc_end29-_ZN9rocsparseL41csrmvn_lrb_medium_rows_warp_reduce_kernelILj256ELj64EiiddddEEvbT1_lPT2_S3_jNS_24const_host_device_scalarIT6_EEPKS1_PKS2_PKT3_PKT4_S6_PT5_21rocsparse_index_base_b
                                        ; -- End function
	.section	.AMDGPU.csdata,"",@progbits
; Kernel info:
; codeLenInByte = 784
; NumSgprs: 18
; NumVgprs: 20
; NumAgprs: 0
; TotalNumVgprs: 20
; ScratchSize: 0
; MemoryBound: 0
; FloatMode: 240
; IeeeMode: 1
; LDSByteSize: 0 bytes/workgroup (compile time only)
; SGPRBlocks: 2
; VGPRBlocks: 2
; NumSGPRsForWavesPerEU: 18
; NumVGPRsForWavesPerEU: 20
; AccumOffset: 20
; Occupancy: 8
; WaveLimiterHint : 1
; COMPUTE_PGM_RSRC2:SCRATCH_EN: 0
; COMPUTE_PGM_RSRC2:USER_SGPR: 6
; COMPUTE_PGM_RSRC2:TRAP_HANDLER: 0
; COMPUTE_PGM_RSRC2:TGID_X_EN: 1
; COMPUTE_PGM_RSRC2:TGID_Y_EN: 0
; COMPUTE_PGM_RSRC2:TGID_Z_EN: 0
; COMPUTE_PGM_RSRC2:TIDIG_COMP_CNT: 0
; COMPUTE_PGM_RSRC3_GFX90A:ACCUM_OFFSET: 4
; COMPUTE_PGM_RSRC3_GFX90A:TG_SPLIT: 0
	.section	.text._ZN9rocsparseL29csrmvn_lrb_medium_rows_kernelILj256EiiddddEEvbT0_PT1_S3_jNS_24const_host_device_scalarIT5_EEPKS1_PKS2_PKT2_PKT3_S6_PT4_21rocsparse_index_base_b,"axG",@progbits,_ZN9rocsparseL29csrmvn_lrb_medium_rows_kernelILj256EiiddddEEvbT0_PT1_S3_jNS_24const_host_device_scalarIT5_EEPKS1_PKS2_PKT2_PKT3_S6_PT4_21rocsparse_index_base_b,comdat
	.globl	_ZN9rocsparseL29csrmvn_lrb_medium_rows_kernelILj256EiiddddEEvbT0_PT1_S3_jNS_24const_host_device_scalarIT5_EEPKS1_PKS2_PKT2_PKT3_S6_PT4_21rocsparse_index_base_b ; -- Begin function _ZN9rocsparseL29csrmvn_lrb_medium_rows_kernelILj256EiiddddEEvbT0_PT1_S3_jNS_24const_host_device_scalarIT5_EEPKS1_PKS2_PKT2_PKT3_S6_PT4_21rocsparse_index_base_b
	.p2align	8
	.type	_ZN9rocsparseL29csrmvn_lrb_medium_rows_kernelILj256EiiddddEEvbT0_PT1_S3_jNS_24const_host_device_scalarIT5_EEPKS1_PKS2_PKT2_PKT3_S6_PT4_21rocsparse_index_base_b,@function
_ZN9rocsparseL29csrmvn_lrb_medium_rows_kernelILj256EiiddddEEvbT0_PT1_S3_jNS_24const_host_device_scalarIT5_EEPKS1_PKS2_PKT2_PKT3_S6_PT4_21rocsparse_index_base_b: ; @_ZN9rocsparseL29csrmvn_lrb_medium_rows_kernelILj256EiiddddEEvbT0_PT1_S3_jNS_24const_host_device_scalarIT5_EEPKS1_PKS2_PKT2_PKT3_S6_PT4_21rocsparse_index_base_b
; %bb.0:
	s_load_dwordx2 s[10:11], s[4:5], 0x58
	s_load_dwordx2 s[8:9], s[4:5], 0x20
	;; [unrolled: 1-line block ×3, first 2 shown]
	s_waitcnt lgkmcnt(0)
	s_bitcmp1_b32 s11, 0
	s_cselect_b64 s[12:13], -1, 0
	s_xor_b64 s[2:3], s[12:13], -1
	s_and_b64 vcc, exec, s[12:13]
	v_pk_mov_b32 v[4:5], s[8:9], s[8:9] op_sel:[0,1]
	s_cbranch_vccnz .LBB30_2
; %bb.1:
	v_pk_mov_b32 v[2:3], s[8:9], s[8:9] op_sel:[0,1]
	flat_load_dwordx2 v[4:5], v[2:3]
.LBB30_2:
	s_andn2_b64 vcc, exec, s[2:3]
	v_pk_mov_b32 v[2:3], s[0:1], s[0:1] op_sel:[0,1]
	s_cbranch_vccnz .LBB30_4
; %bb.3:
	v_pk_mov_b32 v[2:3], s[0:1], s[0:1] op_sel:[0,1]
	flat_load_dwordx2 v[2:3], v[2:3]
.LBB30_4:
	s_waitcnt vmcnt(0) lgkmcnt(0)
	v_cmp_neq_f64_e32 vcc, 0, v[4:5]
	v_cmp_neq_f64_e64 s[0:1], 1.0, v[2:3]
	s_or_b64 s[0:1], vcc, s[0:1]
	s_and_saveexec_b64 s[2:3], s[0:1]
	s_cbranch_execz .LBB30_29
; %bb.5:
	s_load_dword s8, s[4:5], 0x18
	s_load_dwordx4 s[0:3], s[4:5], 0x8
	s_mov_b32 s9, 0
	v_subrev_u32_e32 v1, s10, v0
	v_pk_mov_b32 v[8:9], 0, 0
	s_waitcnt lgkmcnt(0)
	s_lshl_b64 s[8:9], s[8:9], 2
	s_add_u32 s2, s2, s8
	s_addc_u32 s3, s3, s9
	s_load_dword s2, s[2:3], 0x0
	s_waitcnt lgkmcnt(0)
	s_add_i32 s2, s2, s6
	s_ashr_i32 s3, s2, 31
	s_lshl_b64 s[2:3], s[2:3], 2
	s_add_u32 s0, s0, s2
	s_addc_u32 s1, s1, s3
	s_load_dword s6, s[0:1], 0x0
	s_load_dwordx2 s[2:3], s[4:5], 0x28
	s_waitcnt lgkmcnt(0)
	s_ashr_i32 s7, s6, 31
	s_lshl_b64 s[0:1], s[6:7], 2
	s_add_u32 s0, s2, s0
	s_addc_u32 s1, s3, s1
	s_load_dwordx2 s[2:3], s[0:1], 0x0
	s_load_dwordx2 s[8:9], s[4:5], 0x50
	s_waitcnt lgkmcnt(0)
	s_sub_i32 s11, s3, s10
	v_add_u32_e32 v6, s2, v1
	v_cmp_gt_i32_e32 vcc, s11, v6
	s_and_saveexec_b64 s[12:13], vcc
	s_cbranch_execz .LBB30_9
; %bb.6:
	s_load_dwordx4 s[0:3], s[4:5], 0x30
	s_load_dwordx2 s[14:15], s[4:5], 0x40
	s_mov_b64 s[4:5], 0
	v_pk_mov_b32 v[8:9], 0, 0
	s_waitcnt lgkmcnt(0)
	v_mov_b32_e32 v1, s3
	v_mov_b32_e32 v10, s1
	;; [unrolled: 1-line block ×3, first 2 shown]
.LBB30_7:                               ; =>This Inner Loop Header: Depth=1
	v_ashrrev_i32_e32 v7, 31, v6
	v_lshlrev_b64 v[12:13], 2, v[6:7]
	v_add_co_u32_e32 v12, vcc, s0, v12
	v_addc_co_u32_e32 v13, vcc, v10, v13, vcc
	global_load_dword v14, v[12:13], off
	v_lshlrev_b64 v[12:13], 3, v[6:7]
	v_add_co_u32_e32 v12, vcc, s2, v12
	v_addc_co_u32_e32 v13, vcc, v1, v13, vcc
	global_load_dwordx2 v[12:13], v[12:13], off
	v_add_u32_e32 v6, 0x100, v6
	s_waitcnt vmcnt(1)
	v_subrev_u32_e32 v14, s10, v14
	v_ashrrev_i32_e32 v15, 31, v14
	v_lshlrev_b64 v[14:15], 3, v[14:15]
	v_add_co_u32_e32 v14, vcc, s14, v14
	v_addc_co_u32_e32 v15, vcc, v11, v15, vcc
	global_load_dwordx2 v[14:15], v[14:15], off
	s_waitcnt vmcnt(1)
	v_mul_f64 v[12:13], v[4:5], v[12:13]
	v_cmp_le_i32_e32 vcc, s11, v6
	s_or_b64 s[4:5], vcc, s[4:5]
	s_waitcnt vmcnt(0)
	v_fmac_f64_e32 v[8:9], v[12:13], v[14:15]
	s_andn2_b64 exec, exec, s[4:5]
	s_cbranch_execnz .LBB30_7
; %bb.8:
	s_or_b64 exec, exec, s[4:5]
.LBB30_9:
	s_or_b64 exec, exec, s[12:13]
	s_movk_i32 s0, 0x80
	v_lshlrev_b32_e32 v1, 3, v0
	v_cmp_gt_u32_e32 vcc, s0, v0
	ds_write_b64 v1, v[8:9]
	s_waitcnt lgkmcnt(0)
	s_barrier
	s_and_saveexec_b64 s[0:1], vcc
	s_cbranch_execz .LBB30_11
; %bb.10:
	ds_read2st64_b64 v[4:7], v1 offset1:2
	s_waitcnt lgkmcnt(0)
	v_add_f64 v[4:5], v[4:5], v[6:7]
	ds_write_b64 v1, v[4:5]
.LBB30_11:
	s_or_b64 exec, exec, s[0:1]
	v_cmp_gt_u32_e32 vcc, 64, v0
	s_waitcnt lgkmcnt(0)
	s_barrier
	s_and_saveexec_b64 s[0:1], vcc
	s_cbranch_execz .LBB30_13
; %bb.12:
	ds_read2st64_b64 v[4:7], v1 offset1:1
	s_waitcnt lgkmcnt(0)
	v_add_f64 v[4:5], v[4:5], v[6:7]
	ds_write_b64 v1, v[4:5]
.LBB30_13:
	s_or_b64 exec, exec, s[0:1]
	v_cmp_gt_u32_e32 vcc, 32, v0
	s_waitcnt lgkmcnt(0)
	s_barrier
	s_and_saveexec_b64 s[0:1], vcc
	s_cbranch_execz .LBB30_15
; %bb.14:
	ds_read2_b64 v[4:7], v1 offset1:32
	s_waitcnt lgkmcnt(0)
	v_add_f64 v[4:5], v[4:5], v[6:7]
	ds_write_b64 v1, v[4:5]
.LBB30_15:
	s_or_b64 exec, exec, s[0:1]
	v_cmp_gt_u32_e32 vcc, 16, v0
	s_waitcnt lgkmcnt(0)
	s_barrier
	s_and_saveexec_b64 s[0:1], vcc
	s_cbranch_execz .LBB30_17
; %bb.16:
	ds_read2_b64 v[4:7], v1 offset1:16
	s_waitcnt lgkmcnt(0)
	v_add_f64 v[4:5], v[4:5], v[6:7]
	ds_write_b64 v1, v[4:5]
.LBB30_17:
	;; [unrolled: 12-line block ×5, first 2 shown]
	s_or_b64 exec, exec, s[0:1]
	v_cmp_eq_u32_e32 vcc, 0, v0
	s_waitcnt lgkmcnt(0)
	s_barrier
	s_and_saveexec_b64 s[0:1], vcc
	s_cbranch_execz .LBB30_25
; %bb.24:
	v_mov_b32_e32 v8, 0
	ds_read_b128 v[4:7], v8
	s_waitcnt lgkmcnt(0)
	v_add_f64 v[0:1], v[4:5], v[6:7]
	ds_write_b64 v8, v[0:1]
.LBB30_25:
	s_or_b64 exec, exec, s[0:1]
	s_waitcnt lgkmcnt(0)
	s_barrier
	s_and_b64 exec, exec, vcc
	s_cbranch_execz .LBB30_29
; %bb.26:
	v_mov_b32_e32 v4, 0
	ds_read_b64 v[0:1], v4
	v_cmp_neq_f64_e32 vcc, 0, v[2:3]
	s_and_saveexec_b64 s[0:1], vcc
	s_cbranch_execz .LBB30_28
; %bb.27:
	s_lshl_b64 s[2:3], s[6:7], 3
	s_add_u32 s2, s8, s2
	s_addc_u32 s3, s9, s3
	s_load_dwordx2 s[2:3], s[2:3], 0x0
	s_waitcnt lgkmcnt(0)
	v_fmac_f64_e32 v[0:1], s[2:3], v[2:3]
.LBB30_28:
	s_or_b64 exec, exec, s[0:1]
	s_lshl_b64 s[0:1], s[6:7], 3
	s_add_u32 s0, s8, s0
	s_addc_u32 s1, s9, s1
	s_waitcnt lgkmcnt(0)
	global_store_dwordx2 v4, v[0:1], s[0:1]
.LBB30_29:
	s_endpgm
	.section	.rodata,"a",@progbits
	.p2align	6, 0x0
	.amdhsa_kernel _ZN9rocsparseL29csrmvn_lrb_medium_rows_kernelILj256EiiddddEEvbT0_PT1_S3_jNS_24const_host_device_scalarIT5_EEPKS1_PKS2_PKT2_PKT3_S6_PT4_21rocsparse_index_base_b
		.amdhsa_group_segment_fixed_size 2048
		.amdhsa_private_segment_fixed_size 0
		.amdhsa_kernarg_size 96
		.amdhsa_user_sgpr_count 6
		.amdhsa_user_sgpr_private_segment_buffer 1
		.amdhsa_user_sgpr_dispatch_ptr 0
		.amdhsa_user_sgpr_queue_ptr 0
		.amdhsa_user_sgpr_kernarg_segment_ptr 1
		.amdhsa_user_sgpr_dispatch_id 0
		.amdhsa_user_sgpr_flat_scratch_init 0
		.amdhsa_user_sgpr_kernarg_preload_length 0
		.amdhsa_user_sgpr_kernarg_preload_offset 0
		.amdhsa_user_sgpr_private_segment_size 0
		.amdhsa_uses_dynamic_stack 0
		.amdhsa_system_sgpr_private_segment_wavefront_offset 0
		.amdhsa_system_sgpr_workgroup_id_x 1
		.amdhsa_system_sgpr_workgroup_id_y 0
		.amdhsa_system_sgpr_workgroup_id_z 0
		.amdhsa_system_sgpr_workgroup_info 0
		.amdhsa_system_vgpr_workitem_id 0
		.amdhsa_next_free_vgpr 16
		.amdhsa_next_free_sgpr 16
		.amdhsa_accum_offset 16
		.amdhsa_reserve_vcc 1
		.amdhsa_reserve_flat_scratch 0
		.amdhsa_float_round_mode_32 0
		.amdhsa_float_round_mode_16_64 0
		.amdhsa_float_denorm_mode_32 3
		.amdhsa_float_denorm_mode_16_64 3
		.amdhsa_dx10_clamp 1
		.amdhsa_ieee_mode 1
		.amdhsa_fp16_overflow 0
		.amdhsa_tg_split 0
		.amdhsa_exception_fp_ieee_invalid_op 0
		.amdhsa_exception_fp_denorm_src 0
		.amdhsa_exception_fp_ieee_div_zero 0
		.amdhsa_exception_fp_ieee_overflow 0
		.amdhsa_exception_fp_ieee_underflow 0
		.amdhsa_exception_fp_ieee_inexact 0
		.amdhsa_exception_int_div_zero 0
	.end_amdhsa_kernel
	.section	.text._ZN9rocsparseL29csrmvn_lrb_medium_rows_kernelILj256EiiddddEEvbT0_PT1_S3_jNS_24const_host_device_scalarIT5_EEPKS1_PKS2_PKT2_PKT3_S6_PT4_21rocsparse_index_base_b,"axG",@progbits,_ZN9rocsparseL29csrmvn_lrb_medium_rows_kernelILj256EiiddddEEvbT0_PT1_S3_jNS_24const_host_device_scalarIT5_EEPKS1_PKS2_PKT2_PKT3_S6_PT4_21rocsparse_index_base_b,comdat
.Lfunc_end30:
	.size	_ZN9rocsparseL29csrmvn_lrb_medium_rows_kernelILj256EiiddddEEvbT0_PT1_S3_jNS_24const_host_device_scalarIT5_EEPKS1_PKS2_PKT2_PKT3_S6_PT4_21rocsparse_index_base_b, .Lfunc_end30-_ZN9rocsparseL29csrmvn_lrb_medium_rows_kernelILj256EiiddddEEvbT0_PT1_S3_jNS_24const_host_device_scalarIT5_EEPKS1_PKS2_PKT2_PKT3_S6_PT4_21rocsparse_index_base_b
                                        ; -- End function
	.section	.AMDGPU.csdata,"",@progbits
; Kernel info:
; codeLenInByte = 1008
; NumSgprs: 20
; NumVgprs: 16
; NumAgprs: 0
; TotalNumVgprs: 16
; ScratchSize: 0
; MemoryBound: 0
; FloatMode: 240
; IeeeMode: 1
; LDSByteSize: 2048 bytes/workgroup (compile time only)
; SGPRBlocks: 2
; VGPRBlocks: 1
; NumSGPRsForWavesPerEU: 20
; NumVGPRsForWavesPerEU: 16
; AccumOffset: 16
; Occupancy: 8
; WaveLimiterHint : 1
; COMPUTE_PGM_RSRC2:SCRATCH_EN: 0
; COMPUTE_PGM_RSRC2:USER_SGPR: 6
; COMPUTE_PGM_RSRC2:TRAP_HANDLER: 0
; COMPUTE_PGM_RSRC2:TGID_X_EN: 1
; COMPUTE_PGM_RSRC2:TGID_Y_EN: 0
; COMPUTE_PGM_RSRC2:TGID_Z_EN: 0
; COMPUTE_PGM_RSRC2:TIDIG_COMP_CNT: 0
; COMPUTE_PGM_RSRC3_GFX90A:ACCUM_OFFSET: 3
; COMPUTE_PGM_RSRC3_GFX90A:TG_SPLIT: 0
	.section	.text._ZN9rocsparseL27csrmvn_lrb_long_rows_kernelIiiddddEEvbT_PjPT0_S4_jNS_24const_host_device_scalarIT4_EEPKS1_PKS3_PKT1_PKT2_S7_PT3_21rocsparse_index_base_b,"axG",@progbits,_ZN9rocsparseL27csrmvn_lrb_long_rows_kernelIiiddddEEvbT_PjPT0_S4_jNS_24const_host_device_scalarIT4_EEPKS1_PKS3_PKT1_PKT2_S7_PT3_21rocsparse_index_base_b,comdat
	.globl	_ZN9rocsparseL27csrmvn_lrb_long_rows_kernelIiiddddEEvbT_PjPT0_S4_jNS_24const_host_device_scalarIT4_EEPKS1_PKS3_PKT1_PKT2_S7_PT3_21rocsparse_index_base_b ; -- Begin function _ZN9rocsparseL27csrmvn_lrb_long_rows_kernelIiiddddEEvbT_PjPT0_S4_jNS_24const_host_device_scalarIT4_EEPKS1_PKS3_PKT1_PKT2_S7_PT3_21rocsparse_index_base_b
	.p2align	8
	.type	_ZN9rocsparseL27csrmvn_lrb_long_rows_kernelIiiddddEEvbT_PjPT0_S4_jNS_24const_host_device_scalarIT4_EEPKS1_PKS3_PKT1_PKT2_S7_PT3_21rocsparse_index_base_b,@function
_ZN9rocsparseL27csrmvn_lrb_long_rows_kernelIiiddddEEvbT_PjPT0_S4_jNS_24const_host_device_scalarIT4_EEPKS1_PKS3_PKT1_PKT2_S7_PT3_21rocsparse_index_base_b: ; @_ZN9rocsparseL27csrmvn_lrb_long_rows_kernelIiiddddEEvbT_PjPT0_S4_jNS_24const_host_device_scalarIT4_EEPKS1_PKS3_PKT1_PKT2_S7_PT3_21rocsparse_index_base_b
; %bb.0:
	s_load_dwordx2 s[16:17], s[4:5], 0x60
	s_load_dwordx2 s[8:9], s[4:5], 0x28
	;; [unrolled: 1-line block ×3, first 2 shown]
	s_waitcnt lgkmcnt(0)
	s_bitcmp1_b32 s17, 0
	s_cselect_b64 s[10:11], -1, 0
	s_xor_b64 s[2:3], s[10:11], -1
	s_and_b64 vcc, exec, s[10:11]
	v_pk_mov_b32 v[2:3], s[8:9], s[8:9] op_sel:[0,1]
	s_cbranch_vccnz .LBB31_2
; %bb.1:
	v_pk_mov_b32 v[2:3], s[8:9], s[8:9] op_sel:[0,1]
	flat_load_dwordx2 v[2:3], v[2:3]
.LBB31_2:
	s_andn2_b64 vcc, exec, s[2:3]
	v_pk_mov_b32 v[4:5], s[0:1], s[0:1] op_sel:[0,1]
	s_cbranch_vccnz .LBB31_4
; %bb.3:
	v_pk_mov_b32 v[4:5], s[0:1], s[0:1] op_sel:[0,1]
	flat_load_dwordx2 v[4:5], v[4:5]
.LBB31_4:
	s_waitcnt vmcnt(0) lgkmcnt(0)
	v_cmp_neq_f64_e32 vcc, 0, v[2:3]
	v_cmp_neq_f64_e64 s[0:1], 1.0, v[4:5]
	s_or_b64 s[0:1], vcc, s[0:1]
	s_and_saveexec_b64 s[2:3], s[0:1]
	s_cbranch_execz .LBB31_39
; %bb.5:
	s_load_dword s0, s[4:5], 0x20
	s_load_dwordx2 s[2:3], s[4:5], 0x18
	s_mov_b32 s1, 0
	v_pk_mov_b32 v[6:7], 0, 0
	s_waitcnt lgkmcnt(0)
	s_lshl_b64 s[8:9], s[0:1], 2
	s_add_u32 s8, s2, s8
	s_addc_u32 s9, s3, s9
	s_lshl_b32 s0, -1, s0
	s_not_b32 s0, s0
	s_mul_hi_u32 s0, s0, 0x2aaaaaab
	s_lshr_b32 s7, s0, 7
	s_add_i32 s10, s7, 1
	v_cvt_f32_u32_e32 v1, s10
	s_load_dwordx4 s[0:3], s[4:5], 0x8
	s_load_dword s11, s[8:9], 0x0
	s_not_b32 s7, s7
	v_rcp_iflag_f32_e32 v1, v1
	v_mul_f32_e32 v1, 0x4f7ffffe, v1
	v_cvt_u32_f32_e32 v1, v1
	v_readfirstlane_b32 s8, v1
	s_mul_i32 s7, s7, s8
	s_mul_hi_u32 s7, s8, s7
	s_add_i32 s8, s8, s7
	s_mul_hi_u32 s7, s6, s8
	s_mul_i32 s8, s7, s10
	s_sub_i32 s8, s6, s8
	s_add_i32 s9, s7, 1
	s_sub_i32 s12, s8, s10
	s_cmp_ge_u32 s8, s10
	s_cselect_b32 s7, s9, s7
	s_cselect_b32 s8, s12, s8
	s_add_i32 s9, s7, 1
	s_cmp_ge_u32 s8, s10
	s_cselect_b32 s7, s9, s7
	s_waitcnt lgkmcnt(0)
	s_add_i32 s8, s7, s11
	s_mul_i32 s14, s7, s10
	s_ashr_i32 s9, s8, 31
	s_sub_i32 s24, s6, s14
	s_lshl_b64 s[8:9], s[8:9], 2
	s_add_u32 s8, s2, s8
	s_addc_u32 s9, s3, s9
	s_load_dword s12, s[8:9], 0x0
	s_load_dwordx2 s[10:11], s[4:5], 0x30
	s_load_dwordx2 s[2:3], s[4:5], 0x58
	v_or_b32_e32 v1, s24, v0
	v_cmp_eq_u32_e32 vcc, 0, v1
	s_waitcnt lgkmcnt(0)
	s_ashr_i32 s13, s12, 31
	s_lshl_b64 s[8:9], s[12:13], 2
	s_add_u32 s8, s10, s8
	s_addc_u32 s9, s11, s9
	s_ashr_i32 s7, s6, 31
	s_lshl_b64 s[6:7], s[6:7], 2
	s_add_u32 s6, s0, s6
	s_addc_u32 s7, s1, s7
	s_load_dwordx2 s[8:9], s[8:9], 0x0
	s_nop 0
	s_load_dword s17, s[6:7], 0x0
	s_and_saveexec_b64 s[10:11], vcc
	s_cbranch_execz .LBB31_9
; %bb.6:
	s_lshl_b64 s[18:19], s[12:13], 3
	s_add_u32 s18, s2, s18
	s_addc_u32 s19, s3, s19
	s_load_dwordx2 s[18:19], s[18:19], 0x0
	s_mov_b64 s[20:21], exec
	v_mbcnt_lo_u32_b32 v1, s20, 0
	v_mbcnt_hi_u32_b32 v1, s21, v1
	v_add_f64 v[4:5], v[4:5], -1.0
	v_cmp_eq_u32_e32 vcc, 0, v1
	s_waitcnt vmcnt(0) expcnt(0) lgkmcnt(0)
	s_and_saveexec_b64 s[22:23], vcc
	s_cbranch_execz .LBB31_8
; %bb.7:
	s_ashr_i32 s15, s14, 31
	s_lshl_b64 s[26:27], s[14:15], 2
	s_add_u32 s26, s0, s26
	s_addc_u32 s27, s1, s27
	s_bcnt1_i32_b64 s15, s[20:21]
	s_and_b32 s15, s15, 1
	v_mov_b32_e32 v1, 0
	v_mov_b32_e32 v6, s15
	global_atomic_xor v1, v6, s[26:27]
.LBB31_8:
	s_or_b64 exec, exec, s[22:23]
	v_mul_f64 v[6:7], v[4:5], s[18:19]
.LBB31_9:
	s_or_b64 exec, exec, s[10:11]
	s_mul_i32 s10, s24, 0x300
	s_sub_i32 s10, s10, s16
	s_waitcnt lgkmcnt(0)
	s_add_i32 s8, s10, s8
	s_sub_i32 s9, s9, s16
	s_add_i32 s10, s8, 0x300
	s_min_i32 s15, s10, s9
	v_add_u32_e32 v4, s8, v0
	v_cmp_gt_i32_e32 vcc, s15, v4
	s_and_saveexec_b64 s[18:19], vcc
	s_cbranch_execz .LBB31_13
; %bb.10:
	s_load_dwordx4 s[8:11], s[4:5], 0x38
	s_load_dwordx2 s[20:21], s[4:5], 0x48
	s_mov_b64 s[4:5], 0
	s_waitcnt lgkmcnt(0)
	v_mov_b32_e32 v1, s11
	v_mov_b32_e32 v8, s9
	;; [unrolled: 1-line block ×3, first 2 shown]
.LBB31_11:                              ; =>This Inner Loop Header: Depth=1
	v_ashrrev_i32_e32 v5, 31, v4
	v_lshlrev_b64 v[10:11], 2, v[4:5]
	v_add_co_u32_e32 v10, vcc, s8, v10
	v_addc_co_u32_e32 v11, vcc, v8, v11, vcc
	global_load_dword v12, v[10:11], off
	v_lshlrev_b64 v[10:11], 3, v[4:5]
	v_add_co_u32_e32 v10, vcc, s10, v10
	v_addc_co_u32_e32 v11, vcc, v1, v11, vcc
	global_load_dwordx2 v[10:11], v[10:11], off
	v_add_u32_e32 v4, 0x100, v4
	s_waitcnt vmcnt(1)
	v_subrev_u32_e32 v12, s16, v12
	v_ashrrev_i32_e32 v13, 31, v12
	v_lshlrev_b64 v[12:13], 3, v[12:13]
	v_add_co_u32_e32 v12, vcc, s20, v12
	v_addc_co_u32_e32 v13, vcc, v9, v13, vcc
	global_load_dwordx2 v[12:13], v[12:13], off
	s_waitcnt vmcnt(1)
	v_mul_f64 v[10:11], v[2:3], v[10:11]
	v_cmp_le_i32_e32 vcc, s15, v4
	s_or_b64 s[4:5], vcc, s[4:5]
	s_waitcnt vmcnt(0)
	v_fmac_f64_e32 v[6:7], v[10:11], v[12:13]
	s_andn2_b64 exec, exec, s[4:5]
	s_cbranch_execnz .LBB31_11
; %bb.12:
	s_or_b64 exec, exec, s[4:5]
.LBB31_13:
	s_or_b64 exec, exec, s[18:19]
	s_movk_i32 s4, 0x80
	v_lshlrev_b32_e32 v1, 3, v0
	v_cmp_gt_u32_e32 vcc, s4, v0
	ds_write_b64 v1, v[6:7]
	s_waitcnt lgkmcnt(0)
	s_barrier
	s_and_saveexec_b64 s[4:5], vcc
	s_cbranch_execz .LBB31_15
; %bb.14:
	ds_read2st64_b64 v[2:5], v1 offset1:2
	s_waitcnt lgkmcnt(0)
	v_add_f64 v[2:3], v[2:3], v[4:5]
	ds_write_b64 v1, v[2:3]
.LBB31_15:
	s_or_b64 exec, exec, s[4:5]
	v_cmp_gt_u32_e32 vcc, 64, v0
	s_waitcnt lgkmcnt(0)
	s_barrier
	s_and_saveexec_b64 s[4:5], vcc
	s_cbranch_execz .LBB31_17
; %bb.16:
	ds_read2st64_b64 v[2:5], v1 offset1:1
	s_waitcnt lgkmcnt(0)
	v_add_f64 v[2:3], v[2:3], v[4:5]
	ds_write_b64 v1, v[2:3]
.LBB31_17:
	s_or_b64 exec, exec, s[4:5]
	v_cmp_gt_u32_e32 vcc, 32, v0
	s_waitcnt lgkmcnt(0)
	s_barrier
	s_and_saveexec_b64 s[4:5], vcc
	s_cbranch_execz .LBB31_19
; %bb.18:
	ds_read2_b64 v[2:5], v1 offset1:32
	s_waitcnt lgkmcnt(0)
	v_add_f64 v[2:3], v[2:3], v[4:5]
	ds_write_b64 v1, v[2:3]
.LBB31_19:
	s_or_b64 exec, exec, s[4:5]
	v_cmp_gt_u32_e32 vcc, 16, v0
	s_waitcnt lgkmcnt(0)
	s_barrier
	s_and_saveexec_b64 s[4:5], vcc
	s_cbranch_execz .LBB31_21
; %bb.20:
	ds_read2_b64 v[2:5], v1 offset1:16
	s_waitcnt lgkmcnt(0)
	v_add_f64 v[2:3], v[2:3], v[4:5]
	ds_write_b64 v1, v[2:3]
.LBB31_21:
	;; [unrolled: 12-line block ×5, first 2 shown]
	s_or_b64 exec, exec, s[4:5]
	v_cmp_eq_u32_e32 vcc, 0, v0
	s_waitcnt lgkmcnt(0)
	s_barrier
	s_and_saveexec_b64 s[4:5], vcc
	s_cbranch_execz .LBB31_29
; %bb.28:
	v_mov_b32_e32 v4, 0
	ds_read_b128 v[0:3], v4
	s_waitcnt lgkmcnt(0)
	v_add_f64 v[0:1], v[0:1], v[2:3]
	ds_write_b64 v4, v[0:1]
.LBB31_29:
	s_or_b64 exec, exec, s[4:5]
	s_waitcnt lgkmcnt(0)
	s_barrier
	s_and_b64 exec, exec, vcc
	s_cbranch_execz .LBB31_39
; %bb.30:
	s_cmp_eq_u32 s24, 0
	s_cbranch_scc1 .LBB31_36
; %bb.31:
	s_ashr_i32 s15, s14, 31
	s_lshl_b64 s[4:5], s[14:15], 2
	s_add_u32 s0, s0, s4
	s_addc_u32 s1, s1, s5
	v_mov_b32_e32 v0, 0
	s_branch .LBB31_33
.LBB31_32:                              ;   in Loop: Header=BB31_33 Depth=1
	s_or_b64 exec, exec, s[4:5]
	s_waitcnt vmcnt(0)
	v_readfirstlane_b32 s4, v1
	s_cmp_eq_u32 s4, s17
	s_cbranch_scc0 .LBB31_35
.LBB31_33:                              ; =>This Inner Loop Header: Depth=1
	v_mbcnt_lo_u32_b32 v1, exec_lo, 0
	v_mbcnt_hi_u32_b32 v1, exec_hi, v1
	v_cmp_eq_u32_e32 vcc, 0, v1
                                        ; implicit-def: $vgpr1
	s_and_saveexec_b64 s[4:5], vcc
	s_cbranch_execz .LBB31_32
; %bb.34:                               ;   in Loop: Header=BB31_33 Depth=1
	global_load_dword v1, v0, s[0:1] glc
	s_branch .LBB31_32
.LBB31_35:
	v_mov_b32_e32 v0, 0
	global_load_dword v1, v0, s[6:7]
	s_waitcnt vmcnt(0)
	v_xor_b32_e32 v1, 1, v1
	global_store_dword v0, v1, s[6:7]
.LBB31_36:
	s_mov_b64 s[4:5], exec
	v_mbcnt_lo_u32_b32 v0, s4, 0
	v_mbcnt_hi_u32_b32 v0, s5, v0
	v_cmp_eq_u32_e32 vcc, 0, v0
	s_and_b64 s[0:1], exec, vcc
	s_mov_b64 exec, s[0:1]
	s_cbranch_execz .LBB31_39
; %bb.37:
	s_lshl_b64 s[0:1], s[12:13], 3
	s_add_u32 s0, s2, s0
	s_addc_u32 s1, s3, s1
	v_mov_b32_e32 v6, 0
	global_load_dwordx2 v[2:3], v6, s[0:1]
	ds_read_b64 v[0:1], v6
	s_bcnt1_i32_b64 s2, s[4:5]
	v_cvt_f64_u32_e32 v[4:5], s2
	s_mov_b64 s[2:3], 0
	s_waitcnt lgkmcnt(0)
	v_mul_f64 v[4:5], v[0:1], v[4:5]
.LBB31_38:                              ; =>This Inner Loop Header: Depth=1
	s_waitcnt vmcnt(0)
	v_add_f64 v[0:1], v[2:3], v[4:5]
	global_atomic_cmpswap_x2 v[0:1], v6, v[0:3], s[0:1] glc
	s_waitcnt vmcnt(0)
	v_cmp_eq_u64_e32 vcc, v[0:1], v[2:3]
	s_or_b64 s[2:3], vcc, s[2:3]
	v_pk_mov_b32 v[2:3], v[0:1], v[0:1] op_sel:[0,1]
	s_andn2_b64 exec, exec, s[2:3]
	s_cbranch_execnz .LBB31_38
.LBB31_39:
	s_endpgm
	.section	.rodata,"a",@progbits
	.p2align	6, 0x0
	.amdhsa_kernel _ZN9rocsparseL27csrmvn_lrb_long_rows_kernelIiiddddEEvbT_PjPT0_S4_jNS_24const_host_device_scalarIT4_EEPKS1_PKS3_PKT1_PKT2_S7_PT3_21rocsparse_index_base_b
		.amdhsa_group_segment_fixed_size 2048
		.amdhsa_private_segment_fixed_size 0
		.amdhsa_kernarg_size 104
		.amdhsa_user_sgpr_count 6
		.amdhsa_user_sgpr_private_segment_buffer 1
		.amdhsa_user_sgpr_dispatch_ptr 0
		.amdhsa_user_sgpr_queue_ptr 0
		.amdhsa_user_sgpr_kernarg_segment_ptr 1
		.amdhsa_user_sgpr_dispatch_id 0
		.amdhsa_user_sgpr_flat_scratch_init 0
		.amdhsa_user_sgpr_kernarg_preload_length 0
		.amdhsa_user_sgpr_kernarg_preload_offset 0
		.amdhsa_user_sgpr_private_segment_size 0
		.amdhsa_uses_dynamic_stack 0
		.amdhsa_system_sgpr_private_segment_wavefront_offset 0
		.amdhsa_system_sgpr_workgroup_id_x 1
		.amdhsa_system_sgpr_workgroup_id_y 0
		.amdhsa_system_sgpr_workgroup_id_z 0
		.amdhsa_system_sgpr_workgroup_info 0
		.amdhsa_system_vgpr_workitem_id 0
		.amdhsa_next_free_vgpr 14
		.amdhsa_next_free_sgpr 28
		.amdhsa_accum_offset 16
		.amdhsa_reserve_vcc 1
		.amdhsa_reserve_flat_scratch 0
		.amdhsa_float_round_mode_32 0
		.amdhsa_float_round_mode_16_64 0
		.amdhsa_float_denorm_mode_32 3
		.amdhsa_float_denorm_mode_16_64 3
		.amdhsa_dx10_clamp 1
		.amdhsa_ieee_mode 1
		.amdhsa_fp16_overflow 0
		.amdhsa_tg_split 0
		.amdhsa_exception_fp_ieee_invalid_op 0
		.amdhsa_exception_fp_denorm_src 0
		.amdhsa_exception_fp_ieee_div_zero 0
		.amdhsa_exception_fp_ieee_overflow 0
		.amdhsa_exception_fp_ieee_underflow 0
		.amdhsa_exception_fp_ieee_inexact 0
		.amdhsa_exception_int_div_zero 0
	.end_amdhsa_kernel
	.section	.text._ZN9rocsparseL27csrmvn_lrb_long_rows_kernelIiiddddEEvbT_PjPT0_S4_jNS_24const_host_device_scalarIT4_EEPKS1_PKS3_PKT1_PKT2_S7_PT3_21rocsparse_index_base_b,"axG",@progbits,_ZN9rocsparseL27csrmvn_lrb_long_rows_kernelIiiddddEEvbT_PjPT0_S4_jNS_24const_host_device_scalarIT4_EEPKS1_PKS3_PKT1_PKT2_S7_PT3_21rocsparse_index_base_b,comdat
.Lfunc_end31:
	.size	_ZN9rocsparseL27csrmvn_lrb_long_rows_kernelIiiddddEEvbT_PjPT0_S4_jNS_24const_host_device_scalarIT4_EEPKS1_PKS3_PKT1_PKT2_S7_PT3_21rocsparse_index_base_b, .Lfunc_end31-_ZN9rocsparseL27csrmvn_lrb_long_rows_kernelIiiddddEEvbT_PjPT0_S4_jNS_24const_host_device_scalarIT4_EEPKS1_PKS3_PKT1_PKT2_S7_PT3_21rocsparse_index_base_b
                                        ; -- End function
	.section	.AMDGPU.csdata,"",@progbits
; Kernel info:
; codeLenInByte = 1492
; NumSgprs: 32
; NumVgprs: 14
; NumAgprs: 0
; TotalNumVgprs: 14
; ScratchSize: 0
; MemoryBound: 0
; FloatMode: 240
; IeeeMode: 1
; LDSByteSize: 2048 bytes/workgroup (compile time only)
; SGPRBlocks: 3
; VGPRBlocks: 1
; NumSGPRsForWavesPerEU: 32
; NumVGPRsForWavesPerEU: 14
; AccumOffset: 16
; Occupancy: 8
; WaveLimiterHint : 1
; COMPUTE_PGM_RSRC2:SCRATCH_EN: 0
; COMPUTE_PGM_RSRC2:USER_SGPR: 6
; COMPUTE_PGM_RSRC2:TRAP_HANDLER: 0
; COMPUTE_PGM_RSRC2:TGID_X_EN: 1
; COMPUTE_PGM_RSRC2:TGID_Y_EN: 0
; COMPUTE_PGM_RSRC2:TGID_Z_EN: 0
; COMPUTE_PGM_RSRC2:TIDIG_COMP_CNT: 0
; COMPUTE_PGM_RSRC3_GFX90A:ACCUM_OFFSET: 3
; COMPUTE_PGM_RSRC3_GFX90A:TG_SPLIT: 0
	.section	.text._ZN9rocsparseL28csrmvn_lrb_short_rows_kernelIliddddEEvbT_PT0_S3_jNS_24const_host_device_scalarIT4_EEPKS1_PKS2_PKT1_PKT2_S6_PT3_21rocsparse_index_base_b,"axG",@progbits,_ZN9rocsparseL28csrmvn_lrb_short_rows_kernelIliddddEEvbT_PT0_S3_jNS_24const_host_device_scalarIT4_EEPKS1_PKS2_PKT1_PKT2_S6_PT3_21rocsparse_index_base_b,comdat
	.globl	_ZN9rocsparseL28csrmvn_lrb_short_rows_kernelIliddddEEvbT_PT0_S3_jNS_24const_host_device_scalarIT4_EEPKS1_PKS2_PKT1_PKT2_S6_PT3_21rocsparse_index_base_b ; -- Begin function _ZN9rocsparseL28csrmvn_lrb_short_rows_kernelIliddddEEvbT_PT0_S3_jNS_24const_host_device_scalarIT4_EEPKS1_PKS2_PKT1_PKT2_S6_PT3_21rocsparse_index_base_b
	.p2align	8
	.type	_ZN9rocsparseL28csrmvn_lrb_short_rows_kernelIliddddEEvbT_PT0_S3_jNS_24const_host_device_scalarIT4_EEPKS1_PKS2_PKT1_PKT2_S6_PT3_21rocsparse_index_base_b,@function
_ZN9rocsparseL28csrmvn_lrb_short_rows_kernelIliddddEEvbT_PT0_S3_jNS_24const_host_device_scalarIT4_EEPKS1_PKS2_PKT1_PKT2_S6_PT3_21rocsparse_index_base_b: ; @_ZN9rocsparseL28csrmvn_lrb_short_rows_kernelIliddddEEvbT_PT0_S3_jNS_24const_host_device_scalarIT4_EEPKS1_PKS2_PKT1_PKT2_S6_PT3_21rocsparse_index_base_b
; %bb.0:
	s_load_dwordx2 s[18:19], s[4:5], 0x60
	s_load_dwordx2 s[8:9], s[4:5], 0x28
	;; [unrolled: 1-line block ×3, first 2 shown]
	s_waitcnt lgkmcnt(0)
	s_bitcmp1_b32 s19, 0
	s_cselect_b64 s[10:11], -1, 0
	s_xor_b64 s[2:3], s[10:11], -1
	s_and_b64 vcc, exec, s[10:11]
	v_pk_mov_b32 v[8:9], s[8:9], s[8:9] op_sel:[0,1]
	s_cbranch_vccnz .LBB32_2
; %bb.1:
	v_pk_mov_b32 v[2:3], s[8:9], s[8:9] op_sel:[0,1]
	flat_load_dwordx2 v[8:9], v[2:3]
.LBB32_2:
	s_andn2_b64 vcc, exec, s[2:3]
	v_pk_mov_b32 v[6:7], s[0:1], s[0:1] op_sel:[0,1]
	s_cbranch_vccnz .LBB32_4
; %bb.3:
	v_pk_mov_b32 v[2:3], s[0:1], s[0:1] op_sel:[0,1]
	flat_load_dwordx2 v[6:7], v[2:3]
.LBB32_4:
	s_waitcnt vmcnt(0) lgkmcnt(0)
	v_cmp_neq_f64_e32 vcc, 0, v[8:9]
	v_cmp_neq_f64_e64 s[0:1], 1.0, v[6:7]
	s_or_b64 s[0:1], vcc, s[0:1]
	s_and_saveexec_b64 s[2:3], s[0:1]
	s_cbranch_execz .LBB32_18
; %bb.5:
	s_load_dword s16, s[4:5], 0x20
	s_load_dwordx4 s[0:3], s[4:5], 0x10
	s_mov_b32 s19, 0
	s_mov_b32 s17, s19
	;; [unrolled: 1-line block ×3, first 2 shown]
	s_waitcnt lgkmcnt(0)
	s_lshl_b64 s[8:9], s[16:17], 2
	s_add_u32 s8, s2, s8
	s_addc_u32 s9, s3, s9
	s_add_i32 s10, s16, 1
	s_lshl_b64 s[10:11], s[10:11], 2
	s_add_u32 s2, s2, s10
	s_addc_u32 s3, s3, s11
	s_load_dword s17, s[8:9], 0x0
	s_load_dword s7, s[2:3], 0x0
	s_lshl_b32 s20, s6, 8
	s_add_i32 s3, s20, 0x100
	s_waitcnt lgkmcnt(0)
	s_sub_i32 s2, s7, s17
	s_min_u32 s21, s2, s3
	s_cmp_gt_u32 s16, 23
	s_cbranch_scc1 .LBB32_12
; %bb.6:
	s_load_dwordx8 s[8:15], s[4:5], 0x30
	v_mov_b32_e32 v13, 0
	s_lshl_b32 s22, 0x100, s16
	v_bfe_u32 v10, v0, 0, s16
	v_mov_b32_e32 v11, v13
	v_lshl_add_u32 v1, v0, 3, 0
	s_mov_b32 s23, s19
	s_branch .LBB32_9
.LBB32_7:                               ;   in Loop: Header=BB32_9 Depth=1
	s_or_b64 exec, exec, s[6:7]
	ds_write_b64 v1, v[4:5]
.LBB32_8:                               ;   in Loop: Header=BB32_9 Depth=1
	s_or_b64 exec, exec, s[2:3]
	s_addk_i32 s23, 0x100
	s_cmp_ge_u32 s23, s22
	v_add_u32_e32 v1, 0x800, v1
	s_cbranch_scc1 .LBB32_12
.LBB32_9:                               ; =>This Inner Loop Header: Depth=1
	v_add_u32_e32 v2, s23, v0
	v_lshrrev_b32_e32 v2, s16, v2
	v_add_u32_e32 v2, s20, v2
	v_cmp_gt_u32_e32 vcc, s21, v2
	s_and_saveexec_b64 s[2:3], vcc
	s_cbranch_execz .LBB32_8
; %bb.10:                               ;   in Loop: Header=BB32_9 Depth=1
	v_add_u32_e32 v12, s17, v2
	v_lshlrev_b64 v[2:3], 2, v[12:13]
	v_mov_b32_e32 v4, s1
	v_add_co_u32_e32 v2, vcc, s0, v2
	v_addc_co_u32_e32 v3, vcc, v4, v3, vcc
	global_load_dword v2, v[2:3], off
	s_waitcnt lgkmcnt(0)
	v_mov_b32_e32 v4, s9
	s_waitcnt vmcnt(0)
	v_ashrrev_i32_e32 v3, 31, v2
	v_lshlrev_b64 v[2:3], 3, v[2:3]
	v_add_co_u32_e32 v2, vcc, s8, v2
	v_addc_co_u32_e32 v3, vcc, v4, v3, vcc
	global_load_dwordx4 v[2:5], v[2:3], off
	s_waitcnt vmcnt(0)
	v_sub_co_u32_e32 v4, vcc, v4, v2
	v_subb_co_u32_e32 v5, vcc, v5, v3, vcc
	v_cmp_gt_i64_e32 vcc, v[4:5], v[10:11]
	v_pk_mov_b32 v[4:5], 0, 0
	s_and_saveexec_b64 s[6:7], vcc
	s_cbranch_execz .LBB32_7
; %bb.11:                               ;   in Loop: Header=BB32_9 Depth=1
	v_mov_b32_e32 v4, s19
	v_subrev_co_u32_e32 v2, vcc, s18, v2
	v_subb_co_u32_e32 v3, vcc, v3, v4, vcc
	v_add_co_u32_e32 v2, vcc, v2, v10
	v_addc_co_u32_e32 v3, vcc, 0, v3, vcc
	v_lshlrev_b64 v[4:5], 2, v[2:3]
	v_mov_b32_e32 v12, s11
	v_add_co_u32_e32 v4, vcc, s10, v4
	v_addc_co_u32_e32 v5, vcc, v12, v5, vcc
	global_load_dword v4, v[4:5], off
	v_lshlrev_b64 v[2:3], 3, v[2:3]
	v_mov_b32_e32 v5, s13
	v_add_co_u32_e32 v2, vcc, s12, v2
	v_addc_co_u32_e32 v3, vcc, v5, v3, vcc
	v_mov_b32_e32 v12, s15
	global_load_dwordx2 v[2:3], v[2:3], off
	s_waitcnt vmcnt(1)
	v_subrev_u32_e32 v4, s18, v4
	v_ashrrev_i32_e32 v5, 31, v4
	v_lshlrev_b64 v[4:5], 3, v[4:5]
	v_add_co_u32_e32 v4, vcc, s14, v4
	v_addc_co_u32_e32 v5, vcc, v12, v5, vcc
	global_load_dwordx2 v[4:5], v[4:5], off
	s_waitcnt vmcnt(1)
	v_mul_f64 v[2:3], v[8:9], v[2:3]
	s_waitcnt vmcnt(0)
	v_mul_f64 v[4:5], v[2:3], v[4:5]
	s_branch .LBB32_7
.LBB32_12:
	s_sub_i32 s2, s21, s20
	v_cmp_gt_u32_e32 vcc, s2, v0
	s_waitcnt lgkmcnt(0)
	s_barrier
	s_and_b64 exec, exec, vcc
	s_cbranch_execz .LBB32_18
; %bb.13:
	s_add_i32 s17, s17, s20
	v_add_u32_e32 v2, s17, v0
	v_mov_b32_e32 v3, 0
	v_lshlrev_b64 v[2:3], 2, v[2:3]
	v_mov_b32_e32 v1, s1
	v_add_co_u32_e32 v2, vcc, s0, v2
	v_addc_co_u32_e32 v3, vcc, v1, v3, vcc
	global_load_dword v2, v[2:3], off
	s_load_dwordx2 s[0:1], s[4:5], 0x58
	v_lshlrev_b32_e32 v0, s16, v0
	v_lshl_add_u32 v3, v0, 3, 0
	s_mov_b32 s2, 1
	v_pk_mov_b32 v[0:1], 0, 0
.LBB32_14:                              ; =>This Inner Loop Header: Depth=1
	ds_read_b64 v[4:5], v3
	s_lshr_b32 s3, s2, s16
	s_add_i32 s2, s2, 1
	v_add_u32_e32 v3, 8, v3
	s_cmp_lg_u32 s3, 0
	s_waitcnt lgkmcnt(0)
	v_add_f64 v[0:1], v[0:1], v[4:5]
	s_cbranch_scc0 .LBB32_14
; %bb.15:
	s_waitcnt vmcnt(0)
	v_ashrrev_i32_e32 v3, 31, v2
	v_cmp_neq_f64_e32 vcc, 0, v[6:7]
	v_lshlrev_b64 v[2:3], 3, v[2:3]
	s_and_saveexec_b64 s[2:3], vcc
	s_cbranch_execz .LBB32_17
; %bb.16:
	v_mov_b32_e32 v5, s1
	v_add_co_u32_e32 v4, vcc, s0, v2
	v_addc_co_u32_e32 v5, vcc, v5, v3, vcc
	global_load_dwordx2 v[4:5], v[4:5], off
	s_waitcnt vmcnt(0)
	v_fmac_f64_e32 v[0:1], v[6:7], v[4:5]
.LBB32_17:
	s_or_b64 exec, exec, s[2:3]
	v_mov_b32_e32 v4, s1
	v_add_co_u32_e32 v2, vcc, s0, v2
	v_addc_co_u32_e32 v3, vcc, v4, v3, vcc
	global_store_dwordx2 v[2:3], v[0:1], off
.LBB32_18:
	s_endpgm
	.section	.rodata,"a",@progbits
	.p2align	6, 0x0
	.amdhsa_kernel _ZN9rocsparseL28csrmvn_lrb_short_rows_kernelIliddddEEvbT_PT0_S3_jNS_24const_host_device_scalarIT4_EEPKS1_PKS2_PKT1_PKT2_S6_PT3_21rocsparse_index_base_b
		.amdhsa_group_segment_fixed_size 0
		.amdhsa_private_segment_fixed_size 0
		.amdhsa_kernarg_size 104
		.amdhsa_user_sgpr_count 6
		.amdhsa_user_sgpr_private_segment_buffer 1
		.amdhsa_user_sgpr_dispatch_ptr 0
		.amdhsa_user_sgpr_queue_ptr 0
		.amdhsa_user_sgpr_kernarg_segment_ptr 1
		.amdhsa_user_sgpr_dispatch_id 0
		.amdhsa_user_sgpr_flat_scratch_init 0
		.amdhsa_user_sgpr_kernarg_preload_length 0
		.amdhsa_user_sgpr_kernarg_preload_offset 0
		.amdhsa_user_sgpr_private_segment_size 0
		.amdhsa_uses_dynamic_stack 0
		.amdhsa_system_sgpr_private_segment_wavefront_offset 0
		.amdhsa_system_sgpr_workgroup_id_x 1
		.amdhsa_system_sgpr_workgroup_id_y 0
		.amdhsa_system_sgpr_workgroup_id_z 0
		.amdhsa_system_sgpr_workgroup_info 0
		.amdhsa_system_vgpr_workitem_id 0
		.amdhsa_next_free_vgpr 14
		.amdhsa_next_free_sgpr 24
		.amdhsa_accum_offset 16
		.amdhsa_reserve_vcc 1
		.amdhsa_reserve_flat_scratch 0
		.amdhsa_float_round_mode_32 0
		.amdhsa_float_round_mode_16_64 0
		.amdhsa_float_denorm_mode_32 3
		.amdhsa_float_denorm_mode_16_64 3
		.amdhsa_dx10_clamp 1
		.amdhsa_ieee_mode 1
		.amdhsa_fp16_overflow 0
		.amdhsa_tg_split 0
		.amdhsa_exception_fp_ieee_invalid_op 0
		.amdhsa_exception_fp_denorm_src 0
		.amdhsa_exception_fp_ieee_div_zero 0
		.amdhsa_exception_fp_ieee_overflow 0
		.amdhsa_exception_fp_ieee_underflow 0
		.amdhsa_exception_fp_ieee_inexact 0
		.amdhsa_exception_int_div_zero 0
	.end_amdhsa_kernel
	.section	.text._ZN9rocsparseL28csrmvn_lrb_short_rows_kernelIliddddEEvbT_PT0_S3_jNS_24const_host_device_scalarIT4_EEPKS1_PKS2_PKT1_PKT2_S6_PT3_21rocsparse_index_base_b,"axG",@progbits,_ZN9rocsparseL28csrmvn_lrb_short_rows_kernelIliddddEEvbT_PT0_S3_jNS_24const_host_device_scalarIT4_EEPKS1_PKS2_PKT1_PKT2_S6_PT3_21rocsparse_index_base_b,comdat
.Lfunc_end32:
	.size	_ZN9rocsparseL28csrmvn_lrb_short_rows_kernelIliddddEEvbT_PT0_S3_jNS_24const_host_device_scalarIT4_EEPKS1_PKS2_PKT1_PKT2_S6_PT3_21rocsparse_index_base_b, .Lfunc_end32-_ZN9rocsparseL28csrmvn_lrb_short_rows_kernelIliddddEEvbT_PT0_S3_jNS_24const_host_device_scalarIT4_EEPKS1_PKS2_PKT1_PKT2_S6_PT3_21rocsparse_index_base_b
                                        ; -- End function
	.section	.AMDGPU.csdata,"",@progbits
; Kernel info:
; codeLenInByte = 816
; NumSgprs: 28
; NumVgprs: 14
; NumAgprs: 0
; TotalNumVgprs: 14
; ScratchSize: 0
; MemoryBound: 0
; FloatMode: 240
; IeeeMode: 1
; LDSByteSize: 0 bytes/workgroup (compile time only)
; SGPRBlocks: 3
; VGPRBlocks: 1
; NumSGPRsForWavesPerEU: 28
; NumVGPRsForWavesPerEU: 14
; AccumOffset: 16
; Occupancy: 8
; WaveLimiterHint : 1
; COMPUTE_PGM_RSRC2:SCRATCH_EN: 0
; COMPUTE_PGM_RSRC2:USER_SGPR: 6
; COMPUTE_PGM_RSRC2:TRAP_HANDLER: 0
; COMPUTE_PGM_RSRC2:TGID_X_EN: 1
; COMPUTE_PGM_RSRC2:TGID_Y_EN: 0
; COMPUTE_PGM_RSRC2:TGID_Z_EN: 0
; COMPUTE_PGM_RSRC2:TIDIG_COMP_CNT: 0
; COMPUTE_PGM_RSRC3_GFX90A:ACCUM_OFFSET: 3
; COMPUTE_PGM_RSRC3_GFX90A:TG_SPLIT: 0
	.section	.text._ZN9rocsparseL30csrmvn_lrb_short_rows_2_kernelIliddddEEvbT_PT0_S3_jNS_24const_host_device_scalarIT4_EEPKS1_PKS2_PKT1_PKT2_S6_PT3_21rocsparse_index_base_b,"axG",@progbits,_ZN9rocsparseL30csrmvn_lrb_short_rows_2_kernelIliddddEEvbT_PT0_S3_jNS_24const_host_device_scalarIT4_EEPKS1_PKS2_PKT1_PKT2_S6_PT3_21rocsparse_index_base_b,comdat
	.globl	_ZN9rocsparseL30csrmvn_lrb_short_rows_2_kernelIliddddEEvbT_PT0_S3_jNS_24const_host_device_scalarIT4_EEPKS1_PKS2_PKT1_PKT2_S6_PT3_21rocsparse_index_base_b ; -- Begin function _ZN9rocsparseL30csrmvn_lrb_short_rows_2_kernelIliddddEEvbT_PT0_S3_jNS_24const_host_device_scalarIT4_EEPKS1_PKS2_PKT1_PKT2_S6_PT3_21rocsparse_index_base_b
	.p2align	8
	.type	_ZN9rocsparseL30csrmvn_lrb_short_rows_2_kernelIliddddEEvbT_PT0_S3_jNS_24const_host_device_scalarIT4_EEPKS1_PKS2_PKT1_PKT2_S6_PT3_21rocsparse_index_base_b,@function
_ZN9rocsparseL30csrmvn_lrb_short_rows_2_kernelIliddddEEvbT_PT0_S3_jNS_24const_host_device_scalarIT4_EEPKS1_PKS2_PKT1_PKT2_S6_PT3_21rocsparse_index_base_b: ; @_ZN9rocsparseL30csrmvn_lrb_short_rows_2_kernelIliddddEEvbT_PT0_S3_jNS_24const_host_device_scalarIT4_EEPKS1_PKS2_PKT1_PKT2_S6_PT3_21rocsparse_index_base_b
; %bb.0:
	s_load_dwordx2 s[20:21], s[4:5], 0x60
	s_load_dwordx2 s[8:9], s[4:5], 0x28
	;; [unrolled: 1-line block ×3, first 2 shown]
	s_waitcnt lgkmcnt(0)
	s_bitcmp1_b32 s21, 0
	s_cselect_b64 s[10:11], -1, 0
	s_xor_b64 s[2:3], s[10:11], -1
	s_and_b64 vcc, exec, s[10:11]
	v_pk_mov_b32 v[8:9], s[8:9], s[8:9] op_sel:[0,1]
	s_cbranch_vccnz .LBB33_2
; %bb.1:
	v_pk_mov_b32 v[2:3], s[8:9], s[8:9] op_sel:[0,1]
	flat_load_dwordx2 v[8:9], v[2:3]
.LBB33_2:
	s_andn2_b64 vcc, exec, s[2:3]
	v_pk_mov_b32 v[6:7], s[0:1], s[0:1] op_sel:[0,1]
	s_cbranch_vccnz .LBB33_4
; %bb.3:
	v_pk_mov_b32 v[2:3], s[0:1], s[0:1] op_sel:[0,1]
	flat_load_dwordx2 v[6:7], v[2:3]
.LBB33_4:
	s_waitcnt vmcnt(0) lgkmcnt(0)
	v_cmp_neq_f64_e32 vcc, 0, v[8:9]
	v_cmp_neq_f64_e64 s[0:1], 1.0, v[6:7]
	s_or_b64 s[0:1], vcc, s[0:1]
	s_and_saveexec_b64 s[2:3], s[0:1]
	s_cbranch_execz .LBB33_30
; %bb.5:
	s_load_dword s2, s[4:5], 0x20
	s_load_dwordx4 s[16:19], s[4:5], 0x10
	s_mov_b32 s3, 0
	s_mov_b32 s1, s3
	v_mov_b32_e32 v11, 0
	s_waitcnt lgkmcnt(0)
	s_lshl_b64 s[8:9], s[2:3], 2
	s_add_u32 s22, s18, s8
	s_addc_u32 s23, s19, s9
	s_add_i32 s0, s2, 1
	s_lshl_b64 s[0:1], s[0:1], 2
	s_add_u32 s0, s18, s0
	s_addc_u32 s1, s19, s1
	s_load_dword s7, s[22:23], 0x0
	s_load_dword s21, s[0:1], 0x0
	s_load_dwordx2 s[18:19], s[4:5], 0x58
	s_load_dwordx8 s[8:15], s[4:5], 0x30
	s_lshr_b32 s3, 0x400, s2
	s_mul_i32 s6, s3, s6
	s_waitcnt lgkmcnt(0)
	s_sub_i32 s0, s21, s7
	s_add_i32 s1, s6, s3
	v_lshrrev_b32_e32 v1, s2, v0
	s_min_u32 s21, s0, s1
	v_add_u32_e32 v1, s6, v1
	v_bfe_u32 v10, v0, 0, s2
	v_cmp_gt_u32_e32 vcc, s21, v1
	s_and_saveexec_b64 s[0:1], vcc
	s_cbranch_execz .LBB33_9
; %bb.6:
	v_add_u32_e32 v2, s7, v1
	v_mov_b32_e32 v3, v11
	v_lshlrev_b64 v[2:3], 2, v[2:3]
	v_mov_b32_e32 v1, s17
	v_add_co_u32_e32 v2, vcc, s16, v2
	v_addc_co_u32_e32 v3, vcc, v1, v3, vcc
	global_load_dword v2, v[2:3], off
	v_mov_b32_e32 v1, s9
	s_waitcnt vmcnt(0)
	v_ashrrev_i32_e32 v3, 31, v2
	v_lshlrev_b64 v[2:3], 3, v[2:3]
	v_add_co_u32_e32 v2, vcc, s8, v2
	v_addc_co_u32_e32 v3, vcc, v1, v3, vcc
	global_load_dwordx4 v[2:5], v[2:3], off
	s_waitcnt vmcnt(0)
	v_sub_co_u32_e32 v4, vcc, v4, v2
	v_subb_co_u32_e32 v5, vcc, v5, v3, vcc
	v_cmp_gt_i64_e32 vcc, v[4:5], v[10:11]
	v_pk_mov_b32 v[4:5], 0, 0
	s_and_saveexec_b64 s[4:5], vcc
	s_cbranch_execz .LBB33_8
; %bb.7:
	v_subrev_co_u32_e32 v1, vcc, s20, v2
	v_subbrev_co_u32_e32 v3, vcc, 0, v3, vcc
	v_add_co_u32_e32 v2, vcc, v1, v10
	v_addc_co_u32_e32 v3, vcc, 0, v3, vcc
	v_lshlrev_b64 v[4:5], 2, v[2:3]
	v_mov_b32_e32 v1, s11
	v_add_co_u32_e32 v4, vcc, s10, v4
	v_addc_co_u32_e32 v5, vcc, v1, v5, vcc
	global_load_dword v1, v[4:5], off
	v_lshlrev_b64 v[2:3], 3, v[2:3]
	v_mov_b32_e32 v4, s13
	v_add_co_u32_e32 v2, vcc, s12, v2
	v_addc_co_u32_e32 v3, vcc, v4, v3, vcc
	v_mov_b32_e32 v12, s15
	global_load_dwordx2 v[2:3], v[2:3], off
	s_waitcnt vmcnt(1)
	v_subrev_u32_e32 v4, s20, v1
	v_ashrrev_i32_e32 v5, 31, v4
	v_lshlrev_b64 v[4:5], 3, v[4:5]
	v_add_co_u32_e32 v4, vcc, s14, v4
	v_addc_co_u32_e32 v5, vcc, v12, v5, vcc
	global_load_dwordx2 v[4:5], v[4:5], off
	s_waitcnt vmcnt(1)
	v_mul_f64 v[2:3], v[8:9], v[2:3]
	s_waitcnt vmcnt(0)
	v_mul_f64 v[4:5], v[2:3], v[4:5]
.LBB33_8:
	s_or_b64 exec, exec, s[4:5]
	v_lshlrev_b32_e32 v1, 3, v0
	ds_write_b64 v1, v[4:5]
.LBB33_9:
	s_or_b64 exec, exec, s[0:1]
	v_or_b32_e32 v1, 0x100, v0
	v_lshrrev_b32_e32 v1, s2, v1
	v_add_u32_e32 v1, s6, v1
	v_cmp_gt_u32_e32 vcc, s21, v1
	s_and_saveexec_b64 s[0:1], vcc
	s_cbranch_execz .LBB33_13
; %bb.10:
	v_add_u32_e32 v2, s7, v1
	v_mov_b32_e32 v3, 0
	v_lshlrev_b64 v[2:3], 2, v[2:3]
	v_mov_b32_e32 v1, s17
	v_add_co_u32_e32 v2, vcc, s16, v2
	v_addc_co_u32_e32 v3, vcc, v1, v3, vcc
	global_load_dword v2, v[2:3], off
	v_mov_b32_e32 v1, s9
	s_waitcnt vmcnt(0)
	v_ashrrev_i32_e32 v3, 31, v2
	v_lshlrev_b64 v[2:3], 3, v[2:3]
	v_add_co_u32_e32 v2, vcc, s8, v2
	v_addc_co_u32_e32 v3, vcc, v1, v3, vcc
	global_load_dwordx4 v[2:5], v[2:3], off
	s_waitcnt vmcnt(0)
	v_sub_co_u32_e32 v4, vcc, v4, v2
	v_subb_co_u32_e32 v5, vcc, v5, v3, vcc
	v_cmp_gt_i64_e32 vcc, v[4:5], v[10:11]
	v_pk_mov_b32 v[4:5], 0, 0
	s_and_saveexec_b64 s[4:5], vcc
	s_cbranch_execz .LBB33_12
; %bb.11:
	v_subrev_co_u32_e32 v1, vcc, s20, v2
	v_subbrev_co_u32_e32 v3, vcc, 0, v3, vcc
	v_add_co_u32_e32 v2, vcc, v1, v10
	v_addc_co_u32_e32 v3, vcc, 0, v3, vcc
	v_lshlrev_b64 v[4:5], 2, v[2:3]
	v_mov_b32_e32 v1, s11
	v_add_co_u32_e32 v4, vcc, s10, v4
	v_addc_co_u32_e32 v5, vcc, v1, v5, vcc
	global_load_dword v1, v[4:5], off
	v_lshlrev_b64 v[2:3], 3, v[2:3]
	v_mov_b32_e32 v4, s13
	v_add_co_u32_e32 v2, vcc, s12, v2
	v_addc_co_u32_e32 v3, vcc, v4, v3, vcc
	v_mov_b32_e32 v12, s15
	global_load_dwordx2 v[2:3], v[2:3], off
	s_waitcnt vmcnt(1)
	v_subrev_u32_e32 v4, s20, v1
	v_ashrrev_i32_e32 v5, 31, v4
	v_lshlrev_b64 v[4:5], 3, v[4:5]
	v_add_co_u32_e32 v4, vcc, s14, v4
	v_addc_co_u32_e32 v5, vcc, v12, v5, vcc
	global_load_dwordx2 v[4:5], v[4:5], off
	s_waitcnt vmcnt(1)
	v_mul_f64 v[2:3], v[8:9], v[2:3]
	s_waitcnt vmcnt(0)
	v_mul_f64 v[4:5], v[2:3], v[4:5]
.LBB33_12:
	s_or_b64 exec, exec, s[4:5]
	v_lshlrev_b32_e32 v1, 3, v0
	ds_write_b64 v1, v[4:5] offset:2048
.LBB33_13:
	s_or_b64 exec, exec, s[0:1]
	v_or_b32_e32 v1, 0x200, v0
	v_lshrrev_b32_e32 v1, s2, v1
	v_add_u32_e32 v1, s6, v1
	v_cmp_gt_u32_e32 vcc, s21, v1
	s_and_saveexec_b64 s[0:1], vcc
	s_cbranch_execz .LBB33_17
; %bb.14:
	v_add_u32_e32 v2, s7, v1
	v_mov_b32_e32 v3, 0
	v_lshlrev_b64 v[2:3], 2, v[2:3]
	v_mov_b32_e32 v1, s17
	v_add_co_u32_e32 v2, vcc, s16, v2
	v_addc_co_u32_e32 v3, vcc, v1, v3, vcc
	global_load_dword v2, v[2:3], off
	v_mov_b32_e32 v1, s9
	s_waitcnt vmcnt(0)
	v_ashrrev_i32_e32 v3, 31, v2
	v_lshlrev_b64 v[2:3], 3, v[2:3]
	v_add_co_u32_e32 v2, vcc, s8, v2
	v_addc_co_u32_e32 v3, vcc, v1, v3, vcc
	global_load_dwordx4 v[2:5], v[2:3], off
	s_waitcnt vmcnt(0)
	v_sub_co_u32_e32 v4, vcc, v4, v2
	v_subb_co_u32_e32 v5, vcc, v5, v3, vcc
	v_cmp_gt_i64_e32 vcc, v[4:5], v[10:11]
	v_pk_mov_b32 v[4:5], 0, 0
	s_and_saveexec_b64 s[4:5], vcc
	s_cbranch_execz .LBB33_16
; %bb.15:
	v_subrev_co_u32_e32 v1, vcc, s20, v2
	v_subbrev_co_u32_e32 v3, vcc, 0, v3, vcc
	v_add_co_u32_e32 v2, vcc, v1, v10
	v_addc_co_u32_e32 v3, vcc, 0, v3, vcc
	v_lshlrev_b64 v[4:5], 2, v[2:3]
	v_mov_b32_e32 v1, s11
	v_add_co_u32_e32 v4, vcc, s10, v4
	v_addc_co_u32_e32 v5, vcc, v1, v5, vcc
	global_load_dword v1, v[4:5], off
	v_lshlrev_b64 v[2:3], 3, v[2:3]
	v_mov_b32_e32 v4, s13
	v_add_co_u32_e32 v2, vcc, s12, v2
	v_addc_co_u32_e32 v3, vcc, v4, v3, vcc
	v_mov_b32_e32 v12, s15
	global_load_dwordx2 v[2:3], v[2:3], off
	s_waitcnt vmcnt(1)
	v_subrev_u32_e32 v4, s20, v1
	v_ashrrev_i32_e32 v5, 31, v4
	v_lshlrev_b64 v[4:5], 3, v[4:5]
	v_add_co_u32_e32 v4, vcc, s14, v4
	v_addc_co_u32_e32 v5, vcc, v12, v5, vcc
	global_load_dwordx2 v[4:5], v[4:5], off
	s_waitcnt vmcnt(1)
	v_mul_f64 v[2:3], v[8:9], v[2:3]
	s_waitcnt vmcnt(0)
	v_mul_f64 v[4:5], v[2:3], v[4:5]
.LBB33_16:
	s_or_b64 exec, exec, s[4:5]
	v_lshlrev_b32_e32 v1, 3, v0
	ds_write_b64 v1, v[4:5] offset:4096
.LBB33_17:
	;; [unrolled: 61-line block ×3, first 2 shown]
	s_or_b64 exec, exec, s[0:1]
	s_cmp_lt_u32 s2, 11
	s_waitcnt lgkmcnt(0)
	s_barrier
	s_cbranch_scc0 .LBB33_30
; %bb.22:
	s_sub_i32 s8, s21, s6
	s_add_i32 s9, s7, s6
	v_cmp_neq_f64_e32 vcc, 0, v[6:7]
	s_mov_b32 s10, 0
	v_mov_b32_e32 v3, 0
	s_branch .LBB33_25
.LBB33_23:                              ;   in Loop: Header=BB33_25 Depth=1
	s_or_b64 exec, exec, s[6:7]
	v_mov_b32_e32 v1, s19
	v_add_co_u32_e64 v8, s[0:1], s18, v8
	v_addc_co_u32_e64 v9, s[0:1], v1, v9, s[0:1]
	global_store_dwordx2 v[8:9], v[4:5], off
.LBB33_24:                              ;   in Loop: Header=BB33_25 Depth=1
	s_or_b64 exec, exec, s[4:5]
	s_addk_i32 s10, 0x100
	s_cmp_lt_u32 s10, s3
	s_cbranch_scc0 .LBB33_30
.LBB33_25:                              ; =>This Loop Header: Depth=1
                                        ;     Child Loop BB33_27 Depth 2
	v_add_u32_e32 v1, s10, v0
	v_cmp_gt_u32_e64 s[0:1], s8, v1
	s_and_saveexec_b64 s[4:5], s[0:1]
	s_cbranch_execz .LBB33_24
; %bb.26:                               ;   in Loop: Header=BB33_25 Depth=1
	v_add_u32_e32 v2, s9, v1
	v_lshlrev_b64 v[4:5], 2, v[2:3]
	v_mov_b32_e32 v2, s17
	v_add_co_u32_e64 v4, s[0:1], s16, v4
	v_addc_co_u32_e64 v5, s[0:1], v2, v5, s[0:1]
	global_load_dword v8, v[4:5], off
	v_lshlrev_b32_e32 v1, s2, v1
	v_lshlrev_b32_e32 v1, 3, v1
	s_mov_b32 s0, 1
	v_pk_mov_b32 v[4:5], 0, 0
.LBB33_27:                              ;   Parent Loop BB33_25 Depth=1
                                        ; =>  This Inner Loop Header: Depth=2
	ds_read_b64 v[10:11], v1
	s_lshr_b32 s1, s0, s2
	s_add_i32 s0, s0, 1
	v_add_u32_e32 v1, 8, v1
	s_cmp_lg_u32 s1, 0
	s_waitcnt lgkmcnt(0)
	v_add_f64 v[4:5], v[4:5], v[10:11]
	s_cbranch_scc0 .LBB33_27
; %bb.28:                               ;   in Loop: Header=BB33_25 Depth=1
	s_waitcnt vmcnt(0)
	v_ashrrev_i32_e32 v9, 31, v8
	v_lshlrev_b64 v[8:9], 3, v[8:9]
	s_and_saveexec_b64 s[6:7], vcc
	s_cbranch_execz .LBB33_23
; %bb.29:                               ;   in Loop: Header=BB33_25 Depth=1
	v_mov_b32_e32 v1, s19
	v_add_co_u32_e64 v10, s[0:1], s18, v8
	v_addc_co_u32_e64 v11, s[0:1], v1, v9, s[0:1]
	global_load_dwordx2 v[10:11], v[10:11], off
	s_waitcnt vmcnt(0)
	v_fmac_f64_e32 v[4:5], v[6:7], v[10:11]
	s_branch .LBB33_23
.LBB33_30:
	s_endpgm
	.section	.rodata,"a",@progbits
	.p2align	6, 0x0
	.amdhsa_kernel _ZN9rocsparseL30csrmvn_lrb_short_rows_2_kernelIliddddEEvbT_PT0_S3_jNS_24const_host_device_scalarIT4_EEPKS1_PKS2_PKT1_PKT2_S6_PT3_21rocsparse_index_base_b
		.amdhsa_group_segment_fixed_size 8192
		.amdhsa_private_segment_fixed_size 0
		.amdhsa_kernarg_size 104
		.amdhsa_user_sgpr_count 6
		.amdhsa_user_sgpr_private_segment_buffer 1
		.amdhsa_user_sgpr_dispatch_ptr 0
		.amdhsa_user_sgpr_queue_ptr 0
		.amdhsa_user_sgpr_kernarg_segment_ptr 1
		.amdhsa_user_sgpr_dispatch_id 0
		.amdhsa_user_sgpr_flat_scratch_init 0
		.amdhsa_user_sgpr_kernarg_preload_length 0
		.amdhsa_user_sgpr_kernarg_preload_offset 0
		.amdhsa_user_sgpr_private_segment_size 0
		.amdhsa_uses_dynamic_stack 0
		.amdhsa_system_sgpr_private_segment_wavefront_offset 0
		.amdhsa_system_sgpr_workgroup_id_x 1
		.amdhsa_system_sgpr_workgroup_id_y 0
		.amdhsa_system_sgpr_workgroup_id_z 0
		.amdhsa_system_sgpr_workgroup_info 0
		.amdhsa_system_vgpr_workitem_id 0
		.amdhsa_next_free_vgpr 13
		.amdhsa_next_free_sgpr 24
		.amdhsa_accum_offset 16
		.amdhsa_reserve_vcc 1
		.amdhsa_reserve_flat_scratch 0
		.amdhsa_float_round_mode_32 0
		.amdhsa_float_round_mode_16_64 0
		.amdhsa_float_denorm_mode_32 3
		.amdhsa_float_denorm_mode_16_64 3
		.amdhsa_dx10_clamp 1
		.amdhsa_ieee_mode 1
		.amdhsa_fp16_overflow 0
		.amdhsa_tg_split 0
		.amdhsa_exception_fp_ieee_invalid_op 0
		.amdhsa_exception_fp_denorm_src 0
		.amdhsa_exception_fp_ieee_div_zero 0
		.amdhsa_exception_fp_ieee_overflow 0
		.amdhsa_exception_fp_ieee_underflow 0
		.amdhsa_exception_fp_ieee_inexact 0
		.amdhsa_exception_int_div_zero 0
	.end_amdhsa_kernel
	.section	.text._ZN9rocsparseL30csrmvn_lrb_short_rows_2_kernelIliddddEEvbT_PT0_S3_jNS_24const_host_device_scalarIT4_EEPKS1_PKS2_PKT1_PKT2_S6_PT3_21rocsparse_index_base_b,"axG",@progbits,_ZN9rocsparseL30csrmvn_lrb_short_rows_2_kernelIliddddEEvbT_PT0_S3_jNS_24const_host_device_scalarIT4_EEPKS1_PKS2_PKT1_PKT2_S6_PT3_21rocsparse_index_base_b,comdat
.Lfunc_end33:
	.size	_ZN9rocsparseL30csrmvn_lrb_short_rows_2_kernelIliddddEEvbT_PT0_S3_jNS_24const_host_device_scalarIT4_EEPKS1_PKS2_PKT1_PKT2_S6_PT3_21rocsparse_index_base_b, .Lfunc_end33-_ZN9rocsparseL30csrmvn_lrb_short_rows_2_kernelIliddddEEvbT_PT0_S3_jNS_24const_host_device_scalarIT4_EEPKS1_PKS2_PKT1_PKT2_S6_PT3_21rocsparse_index_base_b
                                        ; -- End function
	.section	.AMDGPU.csdata,"",@progbits
; Kernel info:
; codeLenInByte = 1680
; NumSgprs: 28
; NumVgprs: 13
; NumAgprs: 0
; TotalNumVgprs: 13
; ScratchSize: 0
; MemoryBound: 0
; FloatMode: 240
; IeeeMode: 1
; LDSByteSize: 8192 bytes/workgroup (compile time only)
; SGPRBlocks: 3
; VGPRBlocks: 1
; NumSGPRsForWavesPerEU: 28
; NumVGPRsForWavesPerEU: 13
; AccumOffset: 16
; Occupancy: 8
; WaveLimiterHint : 1
; COMPUTE_PGM_RSRC2:SCRATCH_EN: 0
; COMPUTE_PGM_RSRC2:USER_SGPR: 6
; COMPUTE_PGM_RSRC2:TRAP_HANDLER: 0
; COMPUTE_PGM_RSRC2:TGID_X_EN: 1
; COMPUTE_PGM_RSRC2:TGID_Y_EN: 0
; COMPUTE_PGM_RSRC2:TGID_Z_EN: 0
; COMPUTE_PGM_RSRC2:TIDIG_COMP_CNT: 0
; COMPUTE_PGM_RSRC3_GFX90A:ACCUM_OFFSET: 3
; COMPUTE_PGM_RSRC3_GFX90A:TG_SPLIT: 0
	.section	.text._ZN9rocsparseL41csrmvn_lrb_medium_rows_warp_reduce_kernelILj256ELj32EliddddEEvbT1_lPT2_S3_jNS_24const_host_device_scalarIT6_EEPKS1_PKS2_PKT3_PKT4_S6_PT5_21rocsparse_index_base_b,"axG",@progbits,_ZN9rocsparseL41csrmvn_lrb_medium_rows_warp_reduce_kernelILj256ELj32EliddddEEvbT1_lPT2_S3_jNS_24const_host_device_scalarIT6_EEPKS1_PKS2_PKT3_PKT4_S6_PT5_21rocsparse_index_base_b,comdat
	.globl	_ZN9rocsparseL41csrmvn_lrb_medium_rows_warp_reduce_kernelILj256ELj32EliddddEEvbT1_lPT2_S3_jNS_24const_host_device_scalarIT6_EEPKS1_PKS2_PKT3_PKT4_S6_PT5_21rocsparse_index_base_b ; -- Begin function _ZN9rocsparseL41csrmvn_lrb_medium_rows_warp_reduce_kernelILj256ELj32EliddddEEvbT1_lPT2_S3_jNS_24const_host_device_scalarIT6_EEPKS1_PKS2_PKT3_PKT4_S6_PT5_21rocsparse_index_base_b
	.p2align	8
	.type	_ZN9rocsparseL41csrmvn_lrb_medium_rows_warp_reduce_kernelILj256ELj32EliddddEEvbT1_lPT2_S3_jNS_24const_host_device_scalarIT6_EEPKS1_PKS2_PKT3_PKT4_S6_PT5_21rocsparse_index_base_b,@function
_ZN9rocsparseL41csrmvn_lrb_medium_rows_warp_reduce_kernelILj256ELj32EliddddEEvbT1_lPT2_S3_jNS_24const_host_device_scalarIT6_EEPKS1_PKS2_PKT3_PKT4_S6_PT5_21rocsparse_index_base_b: ; @_ZN9rocsparseL41csrmvn_lrb_medium_rows_warp_reduce_kernelILj256ELj32EliddddEEvbT1_lPT2_S3_jNS_24const_host_device_scalarIT6_EEPKS1_PKS2_PKT3_PKT4_S6_PT5_21rocsparse_index_base_b
; %bb.0:
	s_load_dwordx2 s[2:3], s[4:5], 0x68
	s_load_dwordx2 s[10:11], s[4:5], 0x30
	;; [unrolled: 1-line block ×3, first 2 shown]
	s_waitcnt lgkmcnt(0)
	s_bitcmp1_b32 s3, 0
	s_cselect_b64 s[12:13], -1, 0
	s_xor_b64 s[8:9], s[12:13], -1
	s_and_b64 vcc, exec, s[12:13]
	v_pk_mov_b32 v[4:5], s[10:11], s[10:11] op_sel:[0,1]
	s_cbranch_vccnz .LBB34_2
; %bb.1:
	v_pk_mov_b32 v[2:3], s[10:11], s[10:11] op_sel:[0,1]
	flat_load_dwordx2 v[4:5], v[2:3]
.LBB34_2:
	s_andn2_b64 vcc, exec, s[8:9]
	v_pk_mov_b32 v[2:3], s[0:1], s[0:1] op_sel:[0,1]
	s_cbranch_vccnz .LBB34_4
; %bb.3:
	v_pk_mov_b32 v[2:3], s[0:1], s[0:1] op_sel:[0,1]
	flat_load_dwordx2 v[2:3], v[2:3]
.LBB34_4:
	s_waitcnt vmcnt(0) lgkmcnt(0)
	v_cmp_neq_f64_e32 vcc, 0, v[4:5]
	v_cmp_neq_f64_e64 s[0:1], 1.0, v[2:3]
	s_or_b64 s[0:1], vcc, s[0:1]
	s_and_saveexec_b64 s[8:9], s[0:1]
	s_cbranch_execz .LBB34_14
; %bb.5:
	s_load_dwordx2 s[0:1], s[4:5], 0x10
	v_lshrrev_b32_e32 v1, 5, v0
	v_lshl_or_b32 v6, s6, 3, v1
	v_ashrrev_i32_e32 v7, 31, v6
	s_waitcnt lgkmcnt(0)
	v_cmp_gt_i64_e32 vcc, s[0:1], v[6:7]
	s_and_b64 exec, exec, vcc
	s_cbranch_execz .LBB34_14
; %bb.6:
	s_load_dword s0, s[4:5], 0x28
	s_load_dwordx4 s[8:11], s[4:5], 0x18
	s_mov_b32 s1, 0
	v_and_b32_e32 v16, 31, v0
	s_load_dwordx2 s[6:7], s[4:5], 0x60
	s_waitcnt lgkmcnt(0)
	s_lshl_b64 s[0:1], s[0:1], 2
	s_add_u32 s0, s10, s0
	s_addc_u32 s1, s11, s1
	s_load_dword s0, s[0:1], 0x0
	v_mov_b32_e32 v1, s9
	s_waitcnt lgkmcnt(0)
	v_add_u32_e32 v6, s0, v6
	v_ashrrev_i32_e32 v7, 31, v6
	v_lshlrev_b64 v[6:7], 2, v[6:7]
	v_add_co_u32_e32 v6, vcc, s8, v6
	v_addc_co_u32_e32 v7, vcc, v1, v7, vcc
	global_load_dword v6, v[6:7], off
	s_load_dwordx2 s[0:1], s[4:5], 0x38
	s_waitcnt lgkmcnt(0)
	v_mov_b32_e32 v1, s1
	s_waitcnt vmcnt(0)
	v_ashrrev_i32_e32 v7, 31, v6
	v_lshlrev_b64 v[6:7], 3, v[6:7]
	v_add_co_u32_e32 v8, vcc, s0, v6
	v_addc_co_u32_e32 v9, vcc, v1, v7, vcc
	global_load_dwordx4 v[8:11], v[8:9], off
	v_subrev_co_u32_e32 v12, vcc, s2, v16
	v_subb_co_u32_e64 v13, s[0:1], 0, 0, vcc
	s_waitcnt vmcnt(0)
	v_subrev_co_u32_e32 v0, vcc, s2, v10
	v_subbrev_co_u32_e32 v1, vcc, 0, v11, vcc
	v_add_co_u32_e32 v8, vcc, v8, v12
	v_addc_co_u32_e32 v9, vcc, v9, v13, vcc
	v_cmp_lt_i64_e32 vcc, v[8:9], v[0:1]
	v_pk_mov_b32 v[10:11], 0, 0
	s_and_saveexec_b64 s[8:9], vcc
	s_cbranch_execz .LBB34_10
; %bb.7:
	s_load_dwordx4 s[12:15], s[4:5], 0x40
	s_load_dwordx2 s[10:11], s[4:5], 0x50
	v_lshlrev_b64 v[10:11], 3, v[8:9]
	s_mov_b64 s[4:5], 0
	s_waitcnt lgkmcnt(0)
	v_mov_b32_e32 v13, s15
	v_add_co_u32_e32 v12, vcc, s14, v10
	v_addc_co_u32_e32 v13, vcc, v13, v11, vcc
	v_lshlrev_b64 v[10:11], 2, v[8:9]
	v_mov_b32_e32 v15, s13
	v_add_co_u32_e32 v14, vcc, s12, v10
	v_addc_co_u32_e32 v15, vcc, v15, v11, vcc
	v_pk_mov_b32 v[10:11], 0, 0
	v_mov_b32_e32 v17, s11
.LBB34_8:                               ; =>This Inner Loop Header: Depth=1
	global_load_dword v20, v[14:15], off
	global_load_dwordx2 v[18:19], v[12:13], off
	s_waitcnt vmcnt(1)
	v_subrev_u32_e32 v20, s2, v20
	v_ashrrev_i32_e32 v21, 31, v20
	v_lshlrev_b64 v[20:21], 3, v[20:21]
	v_add_co_u32_e32 v20, vcc, s10, v20
	v_addc_co_u32_e32 v21, vcc, v17, v21, vcc
	global_load_dwordx2 v[20:21], v[20:21], off
	v_add_co_u32_e32 v8, vcc, 32, v8
	v_addc_co_u32_e32 v9, vcc, 0, v9, vcc
	v_add_co_u32_e32 v12, vcc, 0x100, v12
	v_addc_co_u32_e32 v13, vcc, 0, v13, vcc
	v_add_co_u32_e32 v14, vcc, 0x80, v14
	v_cmp_ge_i64_e64 s[0:1], v[8:9], v[0:1]
	s_waitcnt vmcnt(1)
	v_mul_f64 v[18:19], v[4:5], v[18:19]
	v_addc_co_u32_e32 v15, vcc, 0, v15, vcc
	s_or_b64 s[4:5], s[0:1], s[4:5]
	s_waitcnt vmcnt(0)
	v_fmac_f64_e32 v[10:11], v[18:19], v[20:21]
	s_andn2_b64 exec, exec, s[4:5]
	s_cbranch_execnz .LBB34_8
; %bb.9:
	s_or_b64 exec, exec, s[4:5]
.LBB34_10:
	s_or_b64 exec, exec, s[8:9]
	v_mov_b32_dpp v0, v10 row_shr:1 row_mask:0xf bank_mask:0xf
	v_mov_b32_dpp v1, v11 row_shr:1 row_mask:0xf bank_mask:0xf
	v_add_f64 v[0:1], v[10:11], v[0:1]
	v_cmp_eq_u32_e32 vcc, 31, v16
	s_nop 0
	v_mov_b32_dpp v4, v0 row_shr:2 row_mask:0xf bank_mask:0xf
	v_mov_b32_dpp v5, v1 row_shr:2 row_mask:0xf bank_mask:0xf
	v_add_f64 v[0:1], v[0:1], v[4:5]
	s_nop 1
	v_mov_b32_dpp v4, v0 row_shr:4 row_mask:0xf bank_mask:0xe
	v_mov_b32_dpp v5, v1 row_shr:4 row_mask:0xf bank_mask:0xe
	v_add_f64 v[0:1], v[0:1], v[4:5]
	;; [unrolled: 4-line block ×3, first 2 shown]
	s_nop 1
	v_mov_b32_dpp v4, v0 row_bcast:15 row_mask:0xa bank_mask:0xf
	v_mov_b32_dpp v5, v1 row_bcast:15 row_mask:0xa bank_mask:0xf
	s_and_b64 exec, exec, vcc
	s_cbranch_execz .LBB34_14
; %bb.11:
	v_add_f64 v[0:1], v[0:1], v[4:5]
	v_cmp_neq_f64_e32 vcc, 0, v[2:3]
	s_and_saveexec_b64 s[0:1], vcc
	s_cbranch_execz .LBB34_13
; %bb.12:
	v_mov_b32_e32 v5, s7
	v_add_co_u32_e32 v4, vcc, s6, v6
	v_addc_co_u32_e32 v5, vcc, v5, v7, vcc
	global_load_dwordx2 v[4:5], v[4:5], off
	s_waitcnt vmcnt(0)
	v_fmac_f64_e32 v[0:1], v[2:3], v[4:5]
.LBB34_13:
	s_or_b64 exec, exec, s[0:1]
	v_mov_b32_e32 v3, s7
	v_add_co_u32_e32 v2, vcc, s6, v6
	v_addc_co_u32_e32 v3, vcc, v3, v7, vcc
	global_store_dwordx2 v[2:3], v[0:1], off
.LBB34_14:
	s_endpgm
	.section	.rodata,"a",@progbits
	.p2align	6, 0x0
	.amdhsa_kernel _ZN9rocsparseL41csrmvn_lrb_medium_rows_warp_reduce_kernelILj256ELj32EliddddEEvbT1_lPT2_S3_jNS_24const_host_device_scalarIT6_EEPKS1_PKS2_PKT3_PKT4_S6_PT5_21rocsparse_index_base_b
		.amdhsa_group_segment_fixed_size 0
		.amdhsa_private_segment_fixed_size 0
		.amdhsa_kernarg_size 112
		.amdhsa_user_sgpr_count 6
		.amdhsa_user_sgpr_private_segment_buffer 1
		.amdhsa_user_sgpr_dispatch_ptr 0
		.amdhsa_user_sgpr_queue_ptr 0
		.amdhsa_user_sgpr_kernarg_segment_ptr 1
		.amdhsa_user_sgpr_dispatch_id 0
		.amdhsa_user_sgpr_flat_scratch_init 0
		.amdhsa_user_sgpr_kernarg_preload_length 0
		.amdhsa_user_sgpr_kernarg_preload_offset 0
		.amdhsa_user_sgpr_private_segment_size 0
		.amdhsa_uses_dynamic_stack 0
		.amdhsa_system_sgpr_private_segment_wavefront_offset 0
		.amdhsa_system_sgpr_workgroup_id_x 1
		.amdhsa_system_sgpr_workgroup_id_y 0
		.amdhsa_system_sgpr_workgroup_id_z 0
		.amdhsa_system_sgpr_workgroup_info 0
		.amdhsa_system_vgpr_workitem_id 0
		.amdhsa_next_free_vgpr 22
		.amdhsa_next_free_sgpr 16
		.amdhsa_accum_offset 24
		.amdhsa_reserve_vcc 1
		.amdhsa_reserve_flat_scratch 0
		.amdhsa_float_round_mode_32 0
		.amdhsa_float_round_mode_16_64 0
		.amdhsa_float_denorm_mode_32 3
		.amdhsa_float_denorm_mode_16_64 3
		.amdhsa_dx10_clamp 1
		.amdhsa_ieee_mode 1
		.amdhsa_fp16_overflow 0
		.amdhsa_tg_split 0
		.amdhsa_exception_fp_ieee_invalid_op 0
		.amdhsa_exception_fp_denorm_src 0
		.amdhsa_exception_fp_ieee_div_zero 0
		.amdhsa_exception_fp_ieee_overflow 0
		.amdhsa_exception_fp_ieee_underflow 0
		.amdhsa_exception_fp_ieee_inexact 0
		.amdhsa_exception_int_div_zero 0
	.end_amdhsa_kernel
	.section	.text._ZN9rocsparseL41csrmvn_lrb_medium_rows_warp_reduce_kernelILj256ELj32EliddddEEvbT1_lPT2_S3_jNS_24const_host_device_scalarIT6_EEPKS1_PKS2_PKT3_PKT4_S6_PT5_21rocsparse_index_base_b,"axG",@progbits,_ZN9rocsparseL41csrmvn_lrb_medium_rows_warp_reduce_kernelILj256ELj32EliddddEEvbT1_lPT2_S3_jNS_24const_host_device_scalarIT6_EEPKS1_PKS2_PKT3_PKT4_S6_PT5_21rocsparse_index_base_b,comdat
.Lfunc_end34:
	.size	_ZN9rocsparseL41csrmvn_lrb_medium_rows_warp_reduce_kernelILj256ELj32EliddddEEvbT1_lPT2_S3_jNS_24const_host_device_scalarIT6_EEPKS1_PKS2_PKT3_PKT4_S6_PT5_21rocsparse_index_base_b, .Lfunc_end34-_ZN9rocsparseL41csrmvn_lrb_medium_rows_warp_reduce_kernelILj256ELj32EliddddEEvbT1_lPT2_S3_jNS_24const_host_device_scalarIT6_EEPKS1_PKS2_PKT3_PKT4_S6_PT5_21rocsparse_index_base_b
                                        ; -- End function
	.section	.AMDGPU.csdata,"",@progbits
; Kernel info:
; codeLenInByte = 792
; NumSgprs: 20
; NumVgprs: 22
; NumAgprs: 0
; TotalNumVgprs: 22
; ScratchSize: 0
; MemoryBound: 0
; FloatMode: 240
; IeeeMode: 1
; LDSByteSize: 0 bytes/workgroup (compile time only)
; SGPRBlocks: 2
; VGPRBlocks: 2
; NumSGPRsForWavesPerEU: 20
; NumVGPRsForWavesPerEU: 22
; AccumOffset: 24
; Occupancy: 8
; WaveLimiterHint : 1
; COMPUTE_PGM_RSRC2:SCRATCH_EN: 0
; COMPUTE_PGM_RSRC2:USER_SGPR: 6
; COMPUTE_PGM_RSRC2:TRAP_HANDLER: 0
; COMPUTE_PGM_RSRC2:TGID_X_EN: 1
; COMPUTE_PGM_RSRC2:TGID_Y_EN: 0
; COMPUTE_PGM_RSRC2:TGID_Z_EN: 0
; COMPUTE_PGM_RSRC2:TIDIG_COMP_CNT: 0
; COMPUTE_PGM_RSRC3_GFX90A:ACCUM_OFFSET: 5
; COMPUTE_PGM_RSRC3_GFX90A:TG_SPLIT: 0
	.section	.text._ZN9rocsparseL41csrmvn_lrb_medium_rows_warp_reduce_kernelILj256ELj64EliddddEEvbT1_lPT2_S3_jNS_24const_host_device_scalarIT6_EEPKS1_PKS2_PKT3_PKT4_S6_PT5_21rocsparse_index_base_b,"axG",@progbits,_ZN9rocsparseL41csrmvn_lrb_medium_rows_warp_reduce_kernelILj256ELj64EliddddEEvbT1_lPT2_S3_jNS_24const_host_device_scalarIT6_EEPKS1_PKS2_PKT3_PKT4_S6_PT5_21rocsparse_index_base_b,comdat
	.globl	_ZN9rocsparseL41csrmvn_lrb_medium_rows_warp_reduce_kernelILj256ELj64EliddddEEvbT1_lPT2_S3_jNS_24const_host_device_scalarIT6_EEPKS1_PKS2_PKT3_PKT4_S6_PT5_21rocsparse_index_base_b ; -- Begin function _ZN9rocsparseL41csrmvn_lrb_medium_rows_warp_reduce_kernelILj256ELj64EliddddEEvbT1_lPT2_S3_jNS_24const_host_device_scalarIT6_EEPKS1_PKS2_PKT3_PKT4_S6_PT5_21rocsparse_index_base_b
	.p2align	8
	.type	_ZN9rocsparseL41csrmvn_lrb_medium_rows_warp_reduce_kernelILj256ELj64EliddddEEvbT1_lPT2_S3_jNS_24const_host_device_scalarIT6_EEPKS1_PKS2_PKT3_PKT4_S6_PT5_21rocsparse_index_base_b,@function
_ZN9rocsparseL41csrmvn_lrb_medium_rows_warp_reduce_kernelILj256ELj64EliddddEEvbT1_lPT2_S3_jNS_24const_host_device_scalarIT6_EEPKS1_PKS2_PKT3_PKT4_S6_PT5_21rocsparse_index_base_b: ; @_ZN9rocsparseL41csrmvn_lrb_medium_rows_warp_reduce_kernelILj256ELj64EliddddEEvbT1_lPT2_S3_jNS_24const_host_device_scalarIT6_EEPKS1_PKS2_PKT3_PKT4_S6_PT5_21rocsparse_index_base_b
; %bb.0:
	s_load_dwordx2 s[2:3], s[4:5], 0x68
	s_load_dwordx2 s[10:11], s[4:5], 0x30
	;; [unrolled: 1-line block ×3, first 2 shown]
	s_waitcnt lgkmcnt(0)
	s_bitcmp1_b32 s3, 0
	s_cselect_b64 s[12:13], -1, 0
	s_xor_b64 s[8:9], s[12:13], -1
	s_and_b64 vcc, exec, s[12:13]
	v_pk_mov_b32 v[4:5], s[10:11], s[10:11] op_sel:[0,1]
	s_cbranch_vccnz .LBB35_2
; %bb.1:
	v_pk_mov_b32 v[2:3], s[10:11], s[10:11] op_sel:[0,1]
	flat_load_dwordx2 v[4:5], v[2:3]
.LBB35_2:
	s_andn2_b64 vcc, exec, s[8:9]
	v_pk_mov_b32 v[2:3], s[0:1], s[0:1] op_sel:[0,1]
	s_cbranch_vccnz .LBB35_4
; %bb.3:
	v_pk_mov_b32 v[2:3], s[0:1], s[0:1] op_sel:[0,1]
	flat_load_dwordx2 v[2:3], v[2:3]
.LBB35_4:
	s_waitcnt vmcnt(0) lgkmcnt(0)
	v_cmp_neq_f64_e32 vcc, 0, v[4:5]
	v_cmp_neq_f64_e64 s[0:1], 1.0, v[2:3]
	s_or_b64 s[0:1], vcc, s[0:1]
	s_and_saveexec_b64 s[8:9], s[0:1]
	s_cbranch_execz .LBB35_14
; %bb.5:
	s_load_dwordx2 s[0:1], s[4:5], 0x10
	v_lshrrev_b32_e32 v1, 6, v0
	v_lshl_or_b32 v6, s6, 2, v1
	v_ashrrev_i32_e32 v7, 31, v6
	s_waitcnt lgkmcnt(0)
	v_cmp_gt_i64_e32 vcc, s[0:1], v[6:7]
	s_and_b64 exec, exec, vcc
	s_cbranch_execz .LBB35_14
; %bb.6:
	s_load_dword s0, s[4:5], 0x28
	s_load_dwordx4 s[8:11], s[4:5], 0x18
	s_mov_b32 s1, 0
	v_and_b32_e32 v16, 63, v0
	s_load_dwordx2 s[6:7], s[4:5], 0x60
	s_waitcnt lgkmcnt(0)
	s_lshl_b64 s[0:1], s[0:1], 2
	s_add_u32 s0, s10, s0
	s_addc_u32 s1, s11, s1
	s_load_dword s0, s[0:1], 0x0
	v_mov_b32_e32 v1, s9
	s_waitcnt lgkmcnt(0)
	v_add_u32_e32 v6, s0, v6
	v_ashrrev_i32_e32 v7, 31, v6
	v_lshlrev_b64 v[6:7], 2, v[6:7]
	v_add_co_u32_e32 v6, vcc, s8, v6
	v_addc_co_u32_e32 v7, vcc, v1, v7, vcc
	global_load_dword v6, v[6:7], off
	s_load_dwordx2 s[0:1], s[4:5], 0x38
	s_waitcnt lgkmcnt(0)
	v_mov_b32_e32 v1, s1
	s_waitcnt vmcnt(0)
	v_ashrrev_i32_e32 v7, 31, v6
	v_lshlrev_b64 v[6:7], 3, v[6:7]
	v_add_co_u32_e32 v8, vcc, s0, v6
	v_addc_co_u32_e32 v9, vcc, v1, v7, vcc
	global_load_dwordx4 v[8:11], v[8:9], off
	v_subrev_co_u32_e32 v12, vcc, s2, v16
	v_subb_co_u32_e64 v13, s[0:1], 0, 0, vcc
	s_waitcnt vmcnt(0)
	v_subrev_co_u32_e32 v0, vcc, s2, v10
	v_subbrev_co_u32_e32 v1, vcc, 0, v11, vcc
	v_add_co_u32_e32 v8, vcc, v8, v12
	v_addc_co_u32_e32 v9, vcc, v9, v13, vcc
	v_cmp_lt_i64_e32 vcc, v[8:9], v[0:1]
	v_pk_mov_b32 v[10:11], 0, 0
	s_and_saveexec_b64 s[8:9], vcc
	s_cbranch_execz .LBB35_10
; %bb.7:
	s_load_dwordx4 s[12:15], s[4:5], 0x40
	s_load_dwordx2 s[10:11], s[4:5], 0x50
	v_lshlrev_b64 v[10:11], 3, v[8:9]
	s_mov_b64 s[4:5], 0
	s_waitcnt lgkmcnt(0)
	v_mov_b32_e32 v13, s15
	v_add_co_u32_e32 v12, vcc, s14, v10
	v_addc_co_u32_e32 v13, vcc, v13, v11, vcc
	v_lshlrev_b64 v[10:11], 2, v[8:9]
	v_mov_b32_e32 v15, s13
	v_add_co_u32_e32 v14, vcc, s12, v10
	v_addc_co_u32_e32 v15, vcc, v15, v11, vcc
	v_pk_mov_b32 v[10:11], 0, 0
	v_mov_b32_e32 v17, s11
.LBB35_8:                               ; =>This Inner Loop Header: Depth=1
	global_load_dword v20, v[14:15], off
	global_load_dwordx2 v[18:19], v[12:13], off
	s_waitcnt vmcnt(1)
	v_subrev_u32_e32 v20, s2, v20
	v_ashrrev_i32_e32 v21, 31, v20
	v_lshlrev_b64 v[20:21], 3, v[20:21]
	v_add_co_u32_e32 v20, vcc, s10, v20
	v_addc_co_u32_e32 v21, vcc, v17, v21, vcc
	global_load_dwordx2 v[20:21], v[20:21], off
	v_add_co_u32_e32 v8, vcc, 64, v8
	v_addc_co_u32_e32 v9, vcc, 0, v9, vcc
	v_add_co_u32_e32 v12, vcc, 0x200, v12
	v_addc_co_u32_e32 v13, vcc, 0, v13, vcc
	v_add_co_u32_e32 v14, vcc, 0x100, v14
	v_cmp_ge_i64_e64 s[0:1], v[8:9], v[0:1]
	s_waitcnt vmcnt(1)
	v_mul_f64 v[18:19], v[4:5], v[18:19]
	v_addc_co_u32_e32 v15, vcc, 0, v15, vcc
	s_or_b64 s[4:5], s[0:1], s[4:5]
	s_waitcnt vmcnt(0)
	v_fmac_f64_e32 v[10:11], v[18:19], v[20:21]
	s_andn2_b64 exec, exec, s[4:5]
	s_cbranch_execnz .LBB35_8
; %bb.9:
	s_or_b64 exec, exec, s[4:5]
.LBB35_10:
	s_or_b64 exec, exec, s[8:9]
	v_mov_b32_dpp v0, v10 row_shr:1 row_mask:0xf bank_mask:0xf
	v_mov_b32_dpp v1, v11 row_shr:1 row_mask:0xf bank_mask:0xf
	v_add_f64 v[0:1], v[10:11], v[0:1]
	v_cmp_eq_u32_e32 vcc, 63, v16
	s_nop 0
	v_mov_b32_dpp v4, v0 row_shr:2 row_mask:0xf bank_mask:0xf
	v_mov_b32_dpp v5, v1 row_shr:2 row_mask:0xf bank_mask:0xf
	v_add_f64 v[0:1], v[0:1], v[4:5]
	s_nop 1
	v_mov_b32_dpp v4, v0 row_shr:4 row_mask:0xf bank_mask:0xe
	v_mov_b32_dpp v5, v1 row_shr:4 row_mask:0xf bank_mask:0xe
	v_add_f64 v[0:1], v[0:1], v[4:5]
	;; [unrolled: 4-line block ×3, first 2 shown]
	s_nop 1
	v_mov_b32_dpp v4, v0 row_bcast:15 row_mask:0xa bank_mask:0xf
	v_mov_b32_dpp v5, v1 row_bcast:15 row_mask:0xa bank_mask:0xf
	v_add_f64 v[0:1], v[0:1], v[4:5]
	s_nop 1
	v_mov_b32_dpp v4, v0 row_bcast:31 row_mask:0xc bank_mask:0xf
	v_mov_b32_dpp v5, v1 row_bcast:31 row_mask:0xc bank_mask:0xf
	s_and_b64 exec, exec, vcc
	s_cbranch_execz .LBB35_14
; %bb.11:
	v_add_f64 v[0:1], v[0:1], v[4:5]
	v_cmp_neq_f64_e32 vcc, 0, v[2:3]
	s_and_saveexec_b64 s[0:1], vcc
	s_cbranch_execz .LBB35_13
; %bb.12:
	v_mov_b32_e32 v5, s7
	v_add_co_u32_e32 v4, vcc, s6, v6
	v_addc_co_u32_e32 v5, vcc, v5, v7, vcc
	global_load_dwordx2 v[4:5], v[4:5], off
	s_waitcnt vmcnt(0)
	v_fmac_f64_e32 v[0:1], v[2:3], v[4:5]
.LBB35_13:
	s_or_b64 exec, exec, s[0:1]
	v_mov_b32_e32 v3, s7
	v_add_co_u32_e32 v2, vcc, s6, v6
	v_addc_co_u32_e32 v3, vcc, v3, v7, vcc
	global_store_dwordx2 v[2:3], v[0:1], off
.LBB35_14:
	s_endpgm
	.section	.rodata,"a",@progbits
	.p2align	6, 0x0
	.amdhsa_kernel _ZN9rocsparseL41csrmvn_lrb_medium_rows_warp_reduce_kernelILj256ELj64EliddddEEvbT1_lPT2_S3_jNS_24const_host_device_scalarIT6_EEPKS1_PKS2_PKT3_PKT4_S6_PT5_21rocsparse_index_base_b
		.amdhsa_group_segment_fixed_size 0
		.amdhsa_private_segment_fixed_size 0
		.amdhsa_kernarg_size 112
		.amdhsa_user_sgpr_count 6
		.amdhsa_user_sgpr_private_segment_buffer 1
		.amdhsa_user_sgpr_dispatch_ptr 0
		.amdhsa_user_sgpr_queue_ptr 0
		.amdhsa_user_sgpr_kernarg_segment_ptr 1
		.amdhsa_user_sgpr_dispatch_id 0
		.amdhsa_user_sgpr_flat_scratch_init 0
		.amdhsa_user_sgpr_kernarg_preload_length 0
		.amdhsa_user_sgpr_kernarg_preload_offset 0
		.amdhsa_user_sgpr_private_segment_size 0
		.amdhsa_uses_dynamic_stack 0
		.amdhsa_system_sgpr_private_segment_wavefront_offset 0
		.amdhsa_system_sgpr_workgroup_id_x 1
		.amdhsa_system_sgpr_workgroup_id_y 0
		.amdhsa_system_sgpr_workgroup_id_z 0
		.amdhsa_system_sgpr_workgroup_info 0
		.amdhsa_system_vgpr_workitem_id 0
		.amdhsa_next_free_vgpr 22
		.amdhsa_next_free_sgpr 16
		.amdhsa_accum_offset 24
		.amdhsa_reserve_vcc 1
		.amdhsa_reserve_flat_scratch 0
		.amdhsa_float_round_mode_32 0
		.amdhsa_float_round_mode_16_64 0
		.amdhsa_float_denorm_mode_32 3
		.amdhsa_float_denorm_mode_16_64 3
		.amdhsa_dx10_clamp 1
		.amdhsa_ieee_mode 1
		.amdhsa_fp16_overflow 0
		.amdhsa_tg_split 0
		.amdhsa_exception_fp_ieee_invalid_op 0
		.amdhsa_exception_fp_denorm_src 0
		.amdhsa_exception_fp_ieee_div_zero 0
		.amdhsa_exception_fp_ieee_overflow 0
		.amdhsa_exception_fp_ieee_underflow 0
		.amdhsa_exception_fp_ieee_inexact 0
		.amdhsa_exception_int_div_zero 0
	.end_amdhsa_kernel
	.section	.text._ZN9rocsparseL41csrmvn_lrb_medium_rows_warp_reduce_kernelILj256ELj64EliddddEEvbT1_lPT2_S3_jNS_24const_host_device_scalarIT6_EEPKS1_PKS2_PKT3_PKT4_S6_PT5_21rocsparse_index_base_b,"axG",@progbits,_ZN9rocsparseL41csrmvn_lrb_medium_rows_warp_reduce_kernelILj256ELj64EliddddEEvbT1_lPT2_S3_jNS_24const_host_device_scalarIT6_EEPKS1_PKS2_PKT3_PKT4_S6_PT5_21rocsparse_index_base_b,comdat
.Lfunc_end35:
	.size	_ZN9rocsparseL41csrmvn_lrb_medium_rows_warp_reduce_kernelILj256ELj64EliddddEEvbT1_lPT2_S3_jNS_24const_host_device_scalarIT6_EEPKS1_PKS2_PKT3_PKT4_S6_PT5_21rocsparse_index_base_b, .Lfunc_end35-_ZN9rocsparseL41csrmvn_lrb_medium_rows_warp_reduce_kernelILj256ELj64EliddddEEvbT1_lPT2_S3_jNS_24const_host_device_scalarIT6_EEPKS1_PKS2_PKT3_PKT4_S6_PT5_21rocsparse_index_base_b
                                        ; -- End function
	.section	.AMDGPU.csdata,"",@progbits
; Kernel info:
; codeLenInByte = 820
; NumSgprs: 20
; NumVgprs: 22
; NumAgprs: 0
; TotalNumVgprs: 22
; ScratchSize: 0
; MemoryBound: 0
; FloatMode: 240
; IeeeMode: 1
; LDSByteSize: 0 bytes/workgroup (compile time only)
; SGPRBlocks: 2
; VGPRBlocks: 2
; NumSGPRsForWavesPerEU: 20
; NumVGPRsForWavesPerEU: 22
; AccumOffset: 24
; Occupancy: 8
; WaveLimiterHint : 1
; COMPUTE_PGM_RSRC2:SCRATCH_EN: 0
; COMPUTE_PGM_RSRC2:USER_SGPR: 6
; COMPUTE_PGM_RSRC2:TRAP_HANDLER: 0
; COMPUTE_PGM_RSRC2:TGID_X_EN: 1
; COMPUTE_PGM_RSRC2:TGID_Y_EN: 0
; COMPUTE_PGM_RSRC2:TGID_Z_EN: 0
; COMPUTE_PGM_RSRC2:TIDIG_COMP_CNT: 0
; COMPUTE_PGM_RSRC3_GFX90A:ACCUM_OFFSET: 5
; COMPUTE_PGM_RSRC3_GFX90A:TG_SPLIT: 0
	.section	.text._ZN9rocsparseL29csrmvn_lrb_medium_rows_kernelILj256EliddddEEvbT0_PT1_S3_jNS_24const_host_device_scalarIT5_EEPKS1_PKS2_PKT2_PKT3_S6_PT4_21rocsparse_index_base_b,"axG",@progbits,_ZN9rocsparseL29csrmvn_lrb_medium_rows_kernelILj256EliddddEEvbT0_PT1_S3_jNS_24const_host_device_scalarIT5_EEPKS1_PKS2_PKT2_PKT3_S6_PT4_21rocsparse_index_base_b,comdat
	.globl	_ZN9rocsparseL29csrmvn_lrb_medium_rows_kernelILj256EliddddEEvbT0_PT1_S3_jNS_24const_host_device_scalarIT5_EEPKS1_PKS2_PKT2_PKT3_S6_PT4_21rocsparse_index_base_b ; -- Begin function _ZN9rocsparseL29csrmvn_lrb_medium_rows_kernelILj256EliddddEEvbT0_PT1_S3_jNS_24const_host_device_scalarIT5_EEPKS1_PKS2_PKT2_PKT3_S6_PT4_21rocsparse_index_base_b
	.p2align	8
	.type	_ZN9rocsparseL29csrmvn_lrb_medium_rows_kernelILj256EliddddEEvbT0_PT1_S3_jNS_24const_host_device_scalarIT5_EEPKS1_PKS2_PKT2_PKT3_S6_PT4_21rocsparse_index_base_b,@function
_ZN9rocsparseL29csrmvn_lrb_medium_rows_kernelILj256EliddddEEvbT0_PT1_S3_jNS_24const_host_device_scalarIT5_EEPKS1_PKS2_PKT2_PKT3_S6_PT4_21rocsparse_index_base_b: ; @_ZN9rocsparseL29csrmvn_lrb_medium_rows_kernelILj256EliddddEEvbT0_PT1_S3_jNS_24const_host_device_scalarIT5_EEPKS1_PKS2_PKT2_PKT3_S6_PT4_21rocsparse_index_base_b
; %bb.0:
	s_load_dwordx2 s[8:9], s[4:5], 0x60
	s_load_dwordx2 s[10:11], s[4:5], 0x28
	;; [unrolled: 1-line block ×3, first 2 shown]
	s_waitcnt lgkmcnt(0)
	s_bitcmp1_b32 s9, 0
	s_cselect_b64 s[12:13], -1, 0
	s_xor_b64 s[2:3], s[12:13], -1
	s_and_b64 vcc, exec, s[12:13]
	v_pk_mov_b32 v[4:5], s[10:11], s[10:11] op_sel:[0,1]
	s_cbranch_vccnz .LBB36_2
; %bb.1:
	v_pk_mov_b32 v[2:3], s[10:11], s[10:11] op_sel:[0,1]
	flat_load_dwordx2 v[4:5], v[2:3]
.LBB36_2:
	s_andn2_b64 vcc, exec, s[2:3]
	v_pk_mov_b32 v[2:3], s[0:1], s[0:1] op_sel:[0,1]
	s_cbranch_vccnz .LBB36_4
; %bb.3:
	v_pk_mov_b32 v[2:3], s[0:1], s[0:1] op_sel:[0,1]
	flat_load_dwordx2 v[2:3], v[2:3]
.LBB36_4:
	s_waitcnt vmcnt(0) lgkmcnt(0)
	v_cmp_neq_f64_e32 vcc, 0, v[4:5]
	v_cmp_neq_f64_e64 s[0:1], 1.0, v[2:3]
	s_or_b64 s[0:1], vcc, s[0:1]
	s_and_saveexec_b64 s[2:3], s[0:1]
	s_cbranch_execz .LBB36_29
; %bb.5:
	s_load_dword s10, s[4:5], 0x20
	s_load_dwordx4 s[0:3], s[4:5], 0x10
	s_mov_b32 s11, 0
	v_subrev_co_u32_e32 v1, vcc, s8, v0
	s_waitcnt lgkmcnt(0)
	s_lshl_b64 s[10:11], s[10:11], 2
	s_add_u32 s2, s2, s10
	s_addc_u32 s3, s3, s11
	s_load_dword s2, s[2:3], 0x0
	s_waitcnt lgkmcnt(0)
	s_add_i32 s2, s2, s6
	s_ashr_i32 s3, s2, 31
	s_lshl_b64 s[2:3], s[2:3], 2
	s_add_u32 s0, s0, s2
	s_addc_u32 s1, s1, s3
	s_load_dword s6, s[0:1], 0x0
	s_load_dwordx2 s[10:11], s[4:5], 0x30
	s_load_dwordx2 s[2:3], s[4:5], 0x58
	s_waitcnt lgkmcnt(0)
	s_ashr_i32 s7, s6, 31
	s_lshl_b64 s[6:7], s[6:7], 3
	s_add_u32 s0, s10, s6
	s_addc_u32 s1, s11, s7
	s_load_dwordx4 s[12:15], s[0:1], 0x0
	v_subb_co_u32_e64 v7, s[0:1], 0, 0, vcc
	s_waitcnt lgkmcnt(0)
	s_sub_u32 s10, s14, s8
	v_mov_b32_e32 v8, s13
	v_add_co_u32_e32 v6, vcc, s12, v1
	s_subb_u32 s11, s15, 0
	v_addc_co_u32_e32 v7, vcc, v8, v7, vcc
	v_cmp_gt_i64_e32 vcc, s[10:11], v[6:7]
	v_pk_mov_b32 v[8:9], 0, 0
	s_and_saveexec_b64 s[12:13], vcc
	s_cbranch_execz .LBB36_9
; %bb.6:
	s_load_dwordx4 s[16:19], s[4:5], 0x38
	s_load_dwordx2 s[14:15], s[4:5], 0x48
	v_lshlrev_b64 v[8:9], 3, v[6:7]
	s_mov_b64 s[4:5], 0
	s_movk_i32 s9, 0x100
	s_waitcnt lgkmcnt(0)
	v_mov_b32_e32 v1, s19
	v_add_co_u32_e32 v10, vcc, s18, v8
	v_addc_co_u32_e32 v11, vcc, v1, v9, vcc
	v_lshlrev_b64 v[8:9], 2, v[6:7]
	v_mov_b32_e32 v1, s17
	v_add_co_u32_e32 v12, vcc, s16, v8
	v_addc_co_u32_e32 v13, vcc, v1, v9, vcc
	v_pk_mov_b32 v[8:9], 0, 0
	v_mov_b32_e32 v1, s15
.LBB36_7:                               ; =>This Inner Loop Header: Depth=1
	global_load_dword v16, v[12:13], off
	global_load_dwordx2 v[14:15], v[10:11], off
	s_waitcnt vmcnt(1)
	v_subrev_u32_e32 v16, s8, v16
	v_ashrrev_i32_e32 v17, 31, v16
	v_lshlrev_b64 v[16:17], 3, v[16:17]
	v_add_co_u32_e32 v16, vcc, s14, v16
	v_addc_co_u32_e32 v17, vcc, v1, v17, vcc
	global_load_dwordx2 v[16:17], v[16:17], off
	v_add_co_u32_e32 v6, vcc, s9, v6
	v_addc_co_u32_e32 v7, vcc, 0, v7, vcc
	v_add_co_u32_e32 v10, vcc, 0x800, v10
	v_addc_co_u32_e32 v11, vcc, 0, v11, vcc
	v_add_co_u32_e32 v12, vcc, 0x400, v12
	v_cmp_le_i64_e64 s[0:1], s[10:11], v[6:7]
	s_waitcnt vmcnt(1)
	v_mul_f64 v[14:15], v[4:5], v[14:15]
	v_addc_co_u32_e32 v13, vcc, 0, v13, vcc
	s_or_b64 s[4:5], s[0:1], s[4:5]
	s_waitcnt vmcnt(0)
	v_fmac_f64_e32 v[8:9], v[14:15], v[16:17]
	s_andn2_b64 exec, exec, s[4:5]
	s_cbranch_execnz .LBB36_7
; %bb.8:
	s_or_b64 exec, exec, s[4:5]
.LBB36_9:
	s_or_b64 exec, exec, s[12:13]
	s_movk_i32 s0, 0x80
	v_lshlrev_b32_e32 v1, 3, v0
	v_cmp_gt_u32_e32 vcc, s0, v0
	ds_write_b64 v1, v[8:9]
	s_waitcnt lgkmcnt(0)
	s_barrier
	s_and_saveexec_b64 s[0:1], vcc
	s_cbranch_execz .LBB36_11
; %bb.10:
	ds_read2st64_b64 v[4:7], v1 offset1:2
	s_waitcnt lgkmcnt(0)
	v_add_f64 v[4:5], v[4:5], v[6:7]
	ds_write_b64 v1, v[4:5]
.LBB36_11:
	s_or_b64 exec, exec, s[0:1]
	v_cmp_gt_u32_e32 vcc, 64, v0
	s_waitcnt lgkmcnt(0)
	s_barrier
	s_and_saveexec_b64 s[0:1], vcc
	s_cbranch_execz .LBB36_13
; %bb.12:
	ds_read2st64_b64 v[4:7], v1 offset1:1
	s_waitcnt lgkmcnt(0)
	v_add_f64 v[4:5], v[4:5], v[6:7]
	ds_write_b64 v1, v[4:5]
.LBB36_13:
	s_or_b64 exec, exec, s[0:1]
	v_cmp_gt_u32_e32 vcc, 32, v0
	s_waitcnt lgkmcnt(0)
	s_barrier
	s_and_saveexec_b64 s[0:1], vcc
	s_cbranch_execz .LBB36_15
; %bb.14:
	ds_read2_b64 v[4:7], v1 offset1:32
	s_waitcnt lgkmcnt(0)
	v_add_f64 v[4:5], v[4:5], v[6:7]
	ds_write_b64 v1, v[4:5]
.LBB36_15:
	s_or_b64 exec, exec, s[0:1]
	v_cmp_gt_u32_e32 vcc, 16, v0
	s_waitcnt lgkmcnt(0)
	s_barrier
	s_and_saveexec_b64 s[0:1], vcc
	s_cbranch_execz .LBB36_17
; %bb.16:
	ds_read2_b64 v[4:7], v1 offset1:16
	s_waitcnt lgkmcnt(0)
	v_add_f64 v[4:5], v[4:5], v[6:7]
	ds_write_b64 v1, v[4:5]
.LBB36_17:
	;; [unrolled: 12-line block ×5, first 2 shown]
	s_or_b64 exec, exec, s[0:1]
	v_cmp_eq_u32_e32 vcc, 0, v0
	s_waitcnt lgkmcnt(0)
	s_barrier
	s_and_saveexec_b64 s[0:1], vcc
	s_cbranch_execz .LBB36_25
; %bb.24:
	v_mov_b32_e32 v8, 0
	ds_read_b128 v[4:7], v8
	s_waitcnt lgkmcnt(0)
	v_add_f64 v[0:1], v[4:5], v[6:7]
	ds_write_b64 v8, v[0:1]
.LBB36_25:
	s_or_b64 exec, exec, s[0:1]
	s_waitcnt lgkmcnt(0)
	s_barrier
	s_and_b64 exec, exec, vcc
	s_cbranch_execz .LBB36_29
; %bb.26:
	v_mov_b32_e32 v4, 0
	ds_read_b64 v[0:1], v4
	v_cmp_neq_f64_e32 vcc, 0, v[2:3]
	s_and_saveexec_b64 s[0:1], vcc
	s_cbranch_execz .LBB36_28
; %bb.27:
	s_add_u32 s4, s2, s6
	s_addc_u32 s5, s3, s7
	s_load_dwordx2 s[4:5], s[4:5], 0x0
	s_waitcnt lgkmcnt(0)
	v_fmac_f64_e32 v[0:1], s[4:5], v[2:3]
.LBB36_28:
	s_or_b64 exec, exec, s[0:1]
	s_add_u32 s0, s2, s6
	s_addc_u32 s1, s3, s7
	s_waitcnt lgkmcnt(0)
	global_store_dwordx2 v4, v[0:1], s[0:1]
.LBB36_29:
	s_endpgm
	.section	.rodata,"a",@progbits
	.p2align	6, 0x0
	.amdhsa_kernel _ZN9rocsparseL29csrmvn_lrb_medium_rows_kernelILj256EliddddEEvbT0_PT1_S3_jNS_24const_host_device_scalarIT5_EEPKS1_PKS2_PKT2_PKT3_S6_PT4_21rocsparse_index_base_b
		.amdhsa_group_segment_fixed_size 2048
		.amdhsa_private_segment_fixed_size 0
		.amdhsa_kernarg_size 104
		.amdhsa_user_sgpr_count 6
		.amdhsa_user_sgpr_private_segment_buffer 1
		.amdhsa_user_sgpr_dispatch_ptr 0
		.amdhsa_user_sgpr_queue_ptr 0
		.amdhsa_user_sgpr_kernarg_segment_ptr 1
		.amdhsa_user_sgpr_dispatch_id 0
		.amdhsa_user_sgpr_flat_scratch_init 0
		.amdhsa_user_sgpr_kernarg_preload_length 0
		.amdhsa_user_sgpr_kernarg_preload_offset 0
		.amdhsa_user_sgpr_private_segment_size 0
		.amdhsa_uses_dynamic_stack 0
		.amdhsa_system_sgpr_private_segment_wavefront_offset 0
		.amdhsa_system_sgpr_workgroup_id_x 1
		.amdhsa_system_sgpr_workgroup_id_y 0
		.amdhsa_system_sgpr_workgroup_id_z 0
		.amdhsa_system_sgpr_workgroup_info 0
		.amdhsa_system_vgpr_workitem_id 0
		.amdhsa_next_free_vgpr 18
		.amdhsa_next_free_sgpr 20
		.amdhsa_accum_offset 20
		.amdhsa_reserve_vcc 1
		.amdhsa_reserve_flat_scratch 0
		.amdhsa_float_round_mode_32 0
		.amdhsa_float_round_mode_16_64 0
		.amdhsa_float_denorm_mode_32 3
		.amdhsa_float_denorm_mode_16_64 3
		.amdhsa_dx10_clamp 1
		.amdhsa_ieee_mode 1
		.amdhsa_fp16_overflow 0
		.amdhsa_tg_split 0
		.amdhsa_exception_fp_ieee_invalid_op 0
		.amdhsa_exception_fp_denorm_src 0
		.amdhsa_exception_fp_ieee_div_zero 0
		.amdhsa_exception_fp_ieee_overflow 0
		.amdhsa_exception_fp_ieee_underflow 0
		.amdhsa_exception_fp_ieee_inexact 0
		.amdhsa_exception_int_div_zero 0
	.end_amdhsa_kernel
	.section	.text._ZN9rocsparseL29csrmvn_lrb_medium_rows_kernelILj256EliddddEEvbT0_PT1_S3_jNS_24const_host_device_scalarIT5_EEPKS1_PKS2_PKT2_PKT3_S6_PT4_21rocsparse_index_base_b,"axG",@progbits,_ZN9rocsparseL29csrmvn_lrb_medium_rows_kernelILj256EliddddEEvbT0_PT1_S3_jNS_24const_host_device_scalarIT5_EEPKS1_PKS2_PKT2_PKT3_S6_PT4_21rocsparse_index_base_b,comdat
.Lfunc_end36:
	.size	_ZN9rocsparseL29csrmvn_lrb_medium_rows_kernelILj256EliddddEEvbT0_PT1_S3_jNS_24const_host_device_scalarIT5_EEPKS1_PKS2_PKT2_PKT3_S6_PT4_21rocsparse_index_base_b, .Lfunc_end36-_ZN9rocsparseL29csrmvn_lrb_medium_rows_kernelILj256EliddddEEvbT0_PT1_S3_jNS_24const_host_device_scalarIT5_EEPKS1_PKS2_PKT2_PKT3_S6_PT4_21rocsparse_index_base_b
                                        ; -- End function
	.section	.AMDGPU.csdata,"",@progbits
; Kernel info:
; codeLenInByte = 1048
; NumSgprs: 24
; NumVgprs: 18
; NumAgprs: 0
; TotalNumVgprs: 18
; ScratchSize: 0
; MemoryBound: 0
; FloatMode: 240
; IeeeMode: 1
; LDSByteSize: 2048 bytes/workgroup (compile time only)
; SGPRBlocks: 2
; VGPRBlocks: 2
; NumSGPRsForWavesPerEU: 24
; NumVGPRsForWavesPerEU: 18
; AccumOffset: 20
; Occupancy: 8
; WaveLimiterHint : 1
; COMPUTE_PGM_RSRC2:SCRATCH_EN: 0
; COMPUTE_PGM_RSRC2:USER_SGPR: 6
; COMPUTE_PGM_RSRC2:TRAP_HANDLER: 0
; COMPUTE_PGM_RSRC2:TGID_X_EN: 1
; COMPUTE_PGM_RSRC2:TGID_Y_EN: 0
; COMPUTE_PGM_RSRC2:TGID_Z_EN: 0
; COMPUTE_PGM_RSRC2:TIDIG_COMP_CNT: 0
; COMPUTE_PGM_RSRC3_GFX90A:ACCUM_OFFSET: 4
; COMPUTE_PGM_RSRC3_GFX90A:TG_SPLIT: 0
	.section	.text._ZN9rocsparseL27csrmvn_lrb_long_rows_kernelIliddddEEvbT_PjPT0_S4_jNS_24const_host_device_scalarIT4_EEPKS1_PKS3_PKT1_PKT2_S7_PT3_21rocsparse_index_base_b,"axG",@progbits,_ZN9rocsparseL27csrmvn_lrb_long_rows_kernelIliddddEEvbT_PjPT0_S4_jNS_24const_host_device_scalarIT4_EEPKS1_PKS3_PKT1_PKT2_S7_PT3_21rocsparse_index_base_b,comdat
	.globl	_ZN9rocsparseL27csrmvn_lrb_long_rows_kernelIliddddEEvbT_PjPT0_S4_jNS_24const_host_device_scalarIT4_EEPKS1_PKS3_PKT1_PKT2_S7_PT3_21rocsparse_index_base_b ; -- Begin function _ZN9rocsparseL27csrmvn_lrb_long_rows_kernelIliddddEEvbT_PjPT0_S4_jNS_24const_host_device_scalarIT4_EEPKS1_PKS3_PKT1_PKT2_S7_PT3_21rocsparse_index_base_b
	.p2align	8
	.type	_ZN9rocsparseL27csrmvn_lrb_long_rows_kernelIliddddEEvbT_PjPT0_S4_jNS_24const_host_device_scalarIT4_EEPKS1_PKS3_PKT1_PKT2_S7_PT3_21rocsparse_index_base_b,@function
_ZN9rocsparseL27csrmvn_lrb_long_rows_kernelIliddddEEvbT_PjPT0_S4_jNS_24const_host_device_scalarIT4_EEPKS1_PKS3_PKT1_PKT2_S7_PT3_21rocsparse_index_base_b: ; @_ZN9rocsparseL27csrmvn_lrb_long_rows_kernelIliddddEEvbT_PjPT0_S4_jNS_24const_host_device_scalarIT4_EEPKS1_PKS3_PKT1_PKT2_S7_PT3_21rocsparse_index_base_b
; %bb.0:
	s_load_dwordx2 s[16:17], s[4:5], 0x68
	s_load_dwordx2 s[8:9], s[4:5], 0x30
	;; [unrolled: 1-line block ×3, first 2 shown]
	s_waitcnt lgkmcnt(0)
	s_bitcmp1_b32 s17, 0
	s_cselect_b64 s[10:11], -1, 0
	s_xor_b64 s[2:3], s[10:11], -1
	s_and_b64 vcc, exec, s[10:11]
	v_pk_mov_b32 v[2:3], s[8:9], s[8:9] op_sel:[0,1]
	s_cbranch_vccnz .LBB37_2
; %bb.1:
	v_pk_mov_b32 v[2:3], s[8:9], s[8:9] op_sel:[0,1]
	flat_load_dwordx2 v[2:3], v[2:3]
.LBB37_2:
	s_andn2_b64 vcc, exec, s[2:3]
	v_pk_mov_b32 v[6:7], s[0:1], s[0:1] op_sel:[0,1]
	s_cbranch_vccnz .LBB37_4
; %bb.3:
	v_pk_mov_b32 v[4:5], s[0:1], s[0:1] op_sel:[0,1]
	flat_load_dwordx2 v[6:7], v[4:5]
.LBB37_4:
	s_waitcnt vmcnt(0) lgkmcnt(0)
	v_cmp_neq_f64_e32 vcc, 0, v[2:3]
	v_cmp_neq_f64_e64 s[0:1], 1.0, v[6:7]
	s_or_b64 s[0:1], vcc, s[0:1]
	s_and_saveexec_b64 s[2:3], s[0:1]
	s_cbranch_execz .LBB37_39
; %bb.5:
	s_load_dword s18, s[4:5], 0x28
	s_load_dwordx2 s[0:1], s[4:5], 0x20
	s_mov_b32 s19, 0
	v_pk_mov_b32 v[4:5], 0, 0
	s_waitcnt lgkmcnt(0)
	s_lshl_b64 s[2:3], s[18:19], 2
	s_add_u32 s0, s0, s2
	s_addc_u32 s1, s1, s3
	s_lshl_b32 s2, -1, s18
	s_not_b32 s2, s2
	s_mul_hi_u32 s2, s2, 0x2aaaaaab
	s_lshr_b32 s2, s2, 7
	s_add_i32 s3, s2, 1
	v_cvt_f32_u32_e32 v1, s3
	s_load_dwordx4 s[8:11], s[4:5], 0x10
	s_load_dword s7, s[0:1], 0x0
	s_not_b32 s0, s2
	v_rcp_iflag_f32_e32 v1, v1
	v_mul_f32_e32 v1, 0x4f7ffffe, v1
	v_cvt_u32_f32_e32 v1, v1
	v_readfirstlane_b32 s1, v1
	s_mul_i32 s0, s0, s1
	s_mul_hi_u32 s0, s1, s0
	s_add_i32 s1, s1, s0
	s_mul_hi_u32 s0, s6, s1
	s_mul_i32 s1, s0, s3
	s_sub_i32 s1, s6, s1
	s_add_i32 s2, s0, 1
	s_sub_i32 s12, s1, s3
	s_cmp_ge_u32 s1, s3
	s_cselect_b32 s0, s2, s0
	s_cselect_b32 s1, s12, s1
	s_add_i32 s2, s0, 1
	s_cmp_ge_u32 s1, s3
	s_cselect_b32 s0, s2, s0
	s_mul_i32 s14, s0, s3
	s_waitcnt lgkmcnt(0)
	s_add_i32 s0, s0, s7
	s_ashr_i32 s1, s0, 31
	s_sub_i32 s28, s6, s14
	s_lshl_b64 s[0:1], s[0:1], 2
	s_add_u32 s0, s10, s0
	s_addc_u32 s1, s11, s1
	s_load_dword s2, s[0:1], 0x0
	s_load_dwordx2 s[20:21], s[4:5], 0x38
	s_load_dwordx2 s[10:11], s[4:5], 0x60
	v_or_b32_e32 v1, s28, v0
	v_cmp_eq_u32_e32 vcc, 0, v1
	s_waitcnt lgkmcnt(0)
	s_ashr_i32 s3, s2, 31
	s_lshl_b64 s[12:13], s[2:3], 3
	s_add_u32 s0, s20, s12
	s_addc_u32 s1, s21, s13
	s_ashr_i32 s7, s6, 31
	s_lshl_b64 s[6:7], s[6:7], 2
	s_add_u32 s6, s8, s6
	s_addc_u32 s7, s9, s7
	s_load_dwordx4 s[0:3], s[0:1], 0x0
	s_nop 0
	s_load_dword s17, s[6:7], 0x0
	s_and_saveexec_b64 s[20:21], vcc
	s_cbranch_execz .LBB37_9
; %bb.6:
	s_add_u32 s22, s10, s12
	s_addc_u32 s23, s11, s13
	s_load_dwordx2 s[22:23], s[22:23], 0x0
	s_mov_b64 s[24:25], exec
	v_mbcnt_lo_u32_b32 v1, s24, 0
	v_mbcnt_hi_u32_b32 v1, s25, v1
	v_add_f64 v[4:5], v[6:7], -1.0
	v_cmp_eq_u32_e32 vcc, 0, v1
	s_waitcnt vmcnt(0) expcnt(0) lgkmcnt(0)
	s_and_saveexec_b64 s[26:27], vcc
	s_cbranch_execz .LBB37_8
; %bb.7:
	s_ashr_i32 s15, s14, 31
	s_lshl_b64 s[30:31], s[14:15], 2
	s_add_u32 s30, s8, s30
	s_addc_u32 s31, s9, s31
	s_bcnt1_i32_b64 s15, s[24:25]
	s_and_b32 s15, s15, 1
	v_mov_b32_e32 v1, 0
	v_mov_b32_e32 v6, s15
	global_atomic_xor v1, v6, s[30:31]
.LBB37_8:
	s_or_b64 exec, exec, s[26:27]
	v_mul_f64 v[4:5], v[4:5], s[22:23]
.LBB37_9:
	s_or_b64 exec, exec, s[20:21]
	s_mul_i32 s18, s28, 3
	s_lshl_b64 s[18:19], s[18:19], 8
	s_waitcnt lgkmcnt(0)
	s_sub_u32 s0, s0, s16
	s_subb_u32 s1, s1, 0
	s_add_u32 s15, s0, s18
	s_addc_u32 s20, s1, s19
	s_sub_u32 s0, s2, s16
	s_subb_u32 s1, s3, 0
	s_add_u32 s2, s15, 0x300
	s_addc_u32 s3, s20, 0
	v_pk_mov_b32 v[6:7], s[0:1], s[0:1] op_sel:[0,1]
	v_cmp_lt_i64_e32 vcc, s[2:3], v[6:7]
	s_and_b64 s[18:19], vcc, exec
	v_mov_b32_e32 v1, s20
	v_add_co_u32_e32 v6, vcc, s15, v0
	s_cselect_b32 s3, s3, s1
	s_cselect_b32 s2, s2, s0
	v_addc_co_u32_e32 v7, vcc, 0, v1, vcc
	v_cmp_gt_i64_e32 vcc, s[2:3], v[6:7]
	s_and_saveexec_b64 s[18:19], vcc
	s_cbranch_execz .LBB37_13
; %bb.10:
	s_load_dwordx4 s[24:27], s[4:5], 0x40
	s_load_dwordx2 s[20:21], s[4:5], 0x50
	v_lshlrev_b64 v[8:9], 3, v[6:7]
	v_lshlrev_b64 v[10:11], 2, v[6:7]
	s_mov_b64 s[4:5], 0
	s_waitcnt lgkmcnt(0)
	v_mov_b32_e32 v1, s27
	v_add_co_u32_e32 v8, vcc, s26, v8
	v_addc_co_u32_e32 v9, vcc, v1, v9, vcc
	v_mov_b32_e32 v1, s25
	v_add_co_u32_e32 v10, vcc, s24, v10
	v_addc_co_u32_e32 v11, vcc, v1, v11, vcc
	v_mov_b32_e32 v1, s21
	s_movk_i32 s15, 0x100
.LBB37_11:                              ; =>This Inner Loop Header: Depth=1
	global_load_dword v14, v[10:11], off
	global_load_dwordx2 v[12:13], v[8:9], off
	s_waitcnt vmcnt(1)
	v_subrev_u32_e32 v14, s16, v14
	v_ashrrev_i32_e32 v15, 31, v14
	v_lshlrev_b64 v[14:15], 3, v[14:15]
	v_add_co_u32_e32 v14, vcc, s20, v14
	v_addc_co_u32_e32 v15, vcc, v1, v15, vcc
	global_load_dwordx2 v[14:15], v[14:15], off
	v_add_co_u32_e32 v6, vcc, s15, v6
	v_addc_co_u32_e32 v7, vcc, 0, v7, vcc
	v_add_co_u32_e32 v8, vcc, 0x800, v8
	v_addc_co_u32_e32 v9, vcc, 0, v9, vcc
	v_add_co_u32_e32 v10, vcc, 0x400, v10
	v_cmp_le_i64_e64 s[0:1], s[2:3], v[6:7]
	s_waitcnt vmcnt(1)
	v_mul_f64 v[12:13], v[2:3], v[12:13]
	v_addc_co_u32_e32 v11, vcc, 0, v11, vcc
	s_or_b64 s[4:5], s[0:1], s[4:5]
	s_waitcnt vmcnt(0)
	v_fmac_f64_e32 v[4:5], v[12:13], v[14:15]
	s_andn2_b64 exec, exec, s[4:5]
	s_cbranch_execnz .LBB37_11
; %bb.12:
	s_or_b64 exec, exec, s[4:5]
.LBB37_13:
	s_or_b64 exec, exec, s[18:19]
	s_movk_i32 s0, 0x80
	v_lshlrev_b32_e32 v1, 3, v0
	v_cmp_gt_u32_e32 vcc, s0, v0
	ds_write_b64 v1, v[4:5]
	s_waitcnt lgkmcnt(0)
	s_barrier
	s_and_saveexec_b64 s[0:1], vcc
	s_cbranch_execz .LBB37_15
; %bb.14:
	ds_read2st64_b64 v[2:5], v1 offset1:2
	s_waitcnt lgkmcnt(0)
	v_add_f64 v[2:3], v[2:3], v[4:5]
	ds_write_b64 v1, v[2:3]
.LBB37_15:
	s_or_b64 exec, exec, s[0:1]
	v_cmp_gt_u32_e32 vcc, 64, v0
	s_waitcnt lgkmcnt(0)
	s_barrier
	s_and_saveexec_b64 s[0:1], vcc
	s_cbranch_execz .LBB37_17
; %bb.16:
	ds_read2st64_b64 v[2:5], v1 offset1:1
	s_waitcnt lgkmcnt(0)
	v_add_f64 v[2:3], v[2:3], v[4:5]
	ds_write_b64 v1, v[2:3]
.LBB37_17:
	s_or_b64 exec, exec, s[0:1]
	v_cmp_gt_u32_e32 vcc, 32, v0
	s_waitcnt lgkmcnt(0)
	s_barrier
	s_and_saveexec_b64 s[0:1], vcc
	s_cbranch_execz .LBB37_19
; %bb.18:
	ds_read2_b64 v[2:5], v1 offset1:32
	s_waitcnt lgkmcnt(0)
	v_add_f64 v[2:3], v[2:3], v[4:5]
	ds_write_b64 v1, v[2:3]
.LBB37_19:
	s_or_b64 exec, exec, s[0:1]
	v_cmp_gt_u32_e32 vcc, 16, v0
	s_waitcnt lgkmcnt(0)
	s_barrier
	s_and_saveexec_b64 s[0:1], vcc
	s_cbranch_execz .LBB37_21
; %bb.20:
	ds_read2_b64 v[2:5], v1 offset1:16
	s_waitcnt lgkmcnt(0)
	v_add_f64 v[2:3], v[2:3], v[4:5]
	ds_write_b64 v1, v[2:3]
.LBB37_21:
	;; [unrolled: 12-line block ×5, first 2 shown]
	s_or_b64 exec, exec, s[0:1]
	v_cmp_eq_u32_e32 vcc, 0, v0
	s_waitcnt lgkmcnt(0)
	s_barrier
	s_and_saveexec_b64 s[0:1], vcc
	s_cbranch_execz .LBB37_29
; %bb.28:
	v_mov_b32_e32 v4, 0
	ds_read_b128 v[0:3], v4
	s_waitcnt lgkmcnt(0)
	v_add_f64 v[0:1], v[0:1], v[2:3]
	ds_write_b64 v4, v[0:1]
.LBB37_29:
	s_or_b64 exec, exec, s[0:1]
	s_waitcnt lgkmcnt(0)
	s_barrier
	s_and_b64 exec, exec, vcc
	s_cbranch_execz .LBB37_39
; %bb.30:
	s_cmp_eq_u32 s28, 0
	s_cbranch_scc1 .LBB37_36
; %bb.31:
	s_ashr_i32 s15, s14, 31
	s_lshl_b64 s[0:1], s[14:15], 2
	s_add_u32 s0, s8, s0
	s_addc_u32 s1, s9, s1
	v_mov_b32_e32 v0, 0
	s_branch .LBB37_33
.LBB37_32:                              ;   in Loop: Header=BB37_33 Depth=1
	s_or_b64 exec, exec, s[2:3]
	s_waitcnt vmcnt(0)
	v_readfirstlane_b32 s2, v1
	s_cmp_eq_u32 s2, s17
	s_cbranch_scc0 .LBB37_35
.LBB37_33:                              ; =>This Inner Loop Header: Depth=1
	v_mbcnt_lo_u32_b32 v1, exec_lo, 0
	v_mbcnt_hi_u32_b32 v1, exec_hi, v1
	v_cmp_eq_u32_e32 vcc, 0, v1
                                        ; implicit-def: $vgpr1
	s_and_saveexec_b64 s[2:3], vcc
	s_cbranch_execz .LBB37_32
; %bb.34:                               ;   in Loop: Header=BB37_33 Depth=1
	global_load_dword v1, v0, s[0:1] glc
	s_branch .LBB37_32
.LBB37_35:
	v_mov_b32_e32 v0, 0
	global_load_dword v1, v0, s[6:7]
	s_waitcnt vmcnt(0)
	v_xor_b32_e32 v1, 1, v1
	global_store_dword v0, v1, s[6:7]
.LBB37_36:
	s_mov_b64 s[2:3], exec
	v_mbcnt_lo_u32_b32 v0, s2, 0
	v_mbcnt_hi_u32_b32 v0, s3, v0
	v_cmp_eq_u32_e32 vcc, 0, v0
	s_and_b64 s[0:1], exec, vcc
	s_mov_b64 exec, s[0:1]
	s_cbranch_execz .LBB37_39
; %bb.37:
	s_add_u32 s0, s10, s12
	s_addc_u32 s1, s11, s13
	v_mov_b32_e32 v6, 0
	global_load_dwordx2 v[2:3], v6, s[0:1]
	ds_read_b64 v[0:1], v6
	s_bcnt1_i32_b64 s2, s[2:3]
	v_cvt_f64_u32_e32 v[4:5], s2
	s_mov_b64 s[2:3], 0
	s_waitcnt lgkmcnt(0)
	v_mul_f64 v[4:5], v[0:1], v[4:5]
.LBB37_38:                              ; =>This Inner Loop Header: Depth=1
	s_waitcnt vmcnt(0)
	v_add_f64 v[0:1], v[2:3], v[4:5]
	global_atomic_cmpswap_x2 v[0:1], v6, v[0:3], s[0:1] glc
	s_waitcnt vmcnt(0)
	v_cmp_eq_u64_e32 vcc, v[0:1], v[2:3]
	s_or_b64 s[2:3], vcc, s[2:3]
	v_pk_mov_b32 v[2:3], v[0:1], v[0:1] op_sel:[0,1]
	s_andn2_b64 exec, exec, s[2:3]
	s_cbranch_execnz .LBB37_38
.LBB37_39:
	s_endpgm
	.section	.rodata,"a",@progbits
	.p2align	6, 0x0
	.amdhsa_kernel _ZN9rocsparseL27csrmvn_lrb_long_rows_kernelIliddddEEvbT_PjPT0_S4_jNS_24const_host_device_scalarIT4_EEPKS1_PKS3_PKT1_PKT2_S7_PT3_21rocsparse_index_base_b
		.amdhsa_group_segment_fixed_size 2048
		.amdhsa_private_segment_fixed_size 0
		.amdhsa_kernarg_size 112
		.amdhsa_user_sgpr_count 6
		.amdhsa_user_sgpr_private_segment_buffer 1
		.amdhsa_user_sgpr_dispatch_ptr 0
		.amdhsa_user_sgpr_queue_ptr 0
		.amdhsa_user_sgpr_kernarg_segment_ptr 1
		.amdhsa_user_sgpr_dispatch_id 0
		.amdhsa_user_sgpr_flat_scratch_init 0
		.amdhsa_user_sgpr_kernarg_preload_length 0
		.amdhsa_user_sgpr_kernarg_preload_offset 0
		.amdhsa_user_sgpr_private_segment_size 0
		.amdhsa_uses_dynamic_stack 0
		.amdhsa_system_sgpr_private_segment_wavefront_offset 0
		.amdhsa_system_sgpr_workgroup_id_x 1
		.amdhsa_system_sgpr_workgroup_id_y 0
		.amdhsa_system_sgpr_workgroup_id_z 0
		.amdhsa_system_sgpr_workgroup_info 0
		.amdhsa_system_vgpr_workitem_id 0
		.amdhsa_next_free_vgpr 16
		.amdhsa_next_free_sgpr 32
		.amdhsa_accum_offset 16
		.amdhsa_reserve_vcc 1
		.amdhsa_reserve_flat_scratch 0
		.amdhsa_float_round_mode_32 0
		.amdhsa_float_round_mode_16_64 0
		.amdhsa_float_denorm_mode_32 3
		.amdhsa_float_denorm_mode_16_64 3
		.amdhsa_dx10_clamp 1
		.amdhsa_ieee_mode 1
		.amdhsa_fp16_overflow 0
		.amdhsa_tg_split 0
		.amdhsa_exception_fp_ieee_invalid_op 0
		.amdhsa_exception_fp_denorm_src 0
		.amdhsa_exception_fp_ieee_div_zero 0
		.amdhsa_exception_fp_ieee_overflow 0
		.amdhsa_exception_fp_ieee_underflow 0
		.amdhsa_exception_fp_ieee_inexact 0
		.amdhsa_exception_int_div_zero 0
	.end_amdhsa_kernel
	.section	.text._ZN9rocsparseL27csrmvn_lrb_long_rows_kernelIliddddEEvbT_PjPT0_S4_jNS_24const_host_device_scalarIT4_EEPKS1_PKS3_PKT1_PKT2_S7_PT3_21rocsparse_index_base_b,"axG",@progbits,_ZN9rocsparseL27csrmvn_lrb_long_rows_kernelIliddddEEvbT_PjPT0_S4_jNS_24const_host_device_scalarIT4_EEPKS1_PKS3_PKT1_PKT2_S7_PT3_21rocsparse_index_base_b,comdat
.Lfunc_end37:
	.size	_ZN9rocsparseL27csrmvn_lrb_long_rows_kernelIliddddEEvbT_PjPT0_S4_jNS_24const_host_device_scalarIT4_EEPKS1_PKS3_PKT1_PKT2_S7_PT3_21rocsparse_index_base_b, .Lfunc_end37-_ZN9rocsparseL27csrmvn_lrb_long_rows_kernelIliddddEEvbT_PjPT0_S4_jNS_24const_host_device_scalarIT4_EEPKS1_PKS3_PKT1_PKT2_S7_PT3_21rocsparse_index_base_b
                                        ; -- End function
	.section	.AMDGPU.csdata,"",@progbits
; Kernel info:
; codeLenInByte = 1556
; NumSgprs: 36
; NumVgprs: 16
; NumAgprs: 0
; TotalNumVgprs: 16
; ScratchSize: 0
; MemoryBound: 0
; FloatMode: 240
; IeeeMode: 1
; LDSByteSize: 2048 bytes/workgroup (compile time only)
; SGPRBlocks: 4
; VGPRBlocks: 1
; NumSGPRsForWavesPerEU: 36
; NumVGPRsForWavesPerEU: 16
; AccumOffset: 16
; Occupancy: 8
; WaveLimiterHint : 1
; COMPUTE_PGM_RSRC2:SCRATCH_EN: 0
; COMPUTE_PGM_RSRC2:USER_SGPR: 6
; COMPUTE_PGM_RSRC2:TRAP_HANDLER: 0
; COMPUTE_PGM_RSRC2:TGID_X_EN: 1
; COMPUTE_PGM_RSRC2:TGID_Y_EN: 0
; COMPUTE_PGM_RSRC2:TGID_Z_EN: 0
; COMPUTE_PGM_RSRC2:TIDIG_COMP_CNT: 0
; COMPUTE_PGM_RSRC3_GFX90A:ACCUM_OFFSET: 3
; COMPUTE_PGM_RSRC3_GFX90A:TG_SPLIT: 0
	.section	.text._ZN9rocsparseL28csrmvn_lrb_short_rows_kernelIllddddEEvbT_PT0_S3_jNS_24const_host_device_scalarIT4_EEPKS1_PKS2_PKT1_PKT2_S6_PT3_21rocsparse_index_base_b,"axG",@progbits,_ZN9rocsparseL28csrmvn_lrb_short_rows_kernelIllddddEEvbT_PT0_S3_jNS_24const_host_device_scalarIT4_EEPKS1_PKS2_PKT1_PKT2_S6_PT3_21rocsparse_index_base_b,comdat
	.globl	_ZN9rocsparseL28csrmvn_lrb_short_rows_kernelIllddddEEvbT_PT0_S3_jNS_24const_host_device_scalarIT4_EEPKS1_PKS2_PKT1_PKT2_S6_PT3_21rocsparse_index_base_b ; -- Begin function _ZN9rocsparseL28csrmvn_lrb_short_rows_kernelIllddddEEvbT_PT0_S3_jNS_24const_host_device_scalarIT4_EEPKS1_PKS2_PKT1_PKT2_S6_PT3_21rocsparse_index_base_b
	.p2align	8
	.type	_ZN9rocsparseL28csrmvn_lrb_short_rows_kernelIllddddEEvbT_PT0_S3_jNS_24const_host_device_scalarIT4_EEPKS1_PKS2_PKT1_PKT2_S6_PT3_21rocsparse_index_base_b,@function
_ZN9rocsparseL28csrmvn_lrb_short_rows_kernelIllddddEEvbT_PT0_S3_jNS_24const_host_device_scalarIT4_EEPKS1_PKS2_PKT1_PKT2_S6_PT3_21rocsparse_index_base_b: ; @_ZN9rocsparseL28csrmvn_lrb_short_rows_kernelIllddddEEvbT_PT0_S3_jNS_24const_host_device_scalarIT4_EEPKS1_PKS2_PKT1_PKT2_S6_PT3_21rocsparse_index_base_b
; %bb.0:
	s_load_dwordx2 s[18:19], s[4:5], 0x60
	s_load_dwordx2 s[8:9], s[4:5], 0x28
	;; [unrolled: 1-line block ×3, first 2 shown]
	s_waitcnt lgkmcnt(0)
	s_bitcmp1_b32 s19, 0
	s_cselect_b64 s[10:11], -1, 0
	s_xor_b64 s[2:3], s[10:11], -1
	s_and_b64 vcc, exec, s[10:11]
	v_pk_mov_b32 v[8:9], s[8:9], s[8:9] op_sel:[0,1]
	s_cbranch_vccnz .LBB38_2
; %bb.1:
	v_pk_mov_b32 v[2:3], s[8:9], s[8:9] op_sel:[0,1]
	flat_load_dwordx2 v[8:9], v[2:3]
.LBB38_2:
	s_andn2_b64 vcc, exec, s[2:3]
	v_pk_mov_b32 v[6:7], s[0:1], s[0:1] op_sel:[0,1]
	s_cbranch_vccnz .LBB38_4
; %bb.3:
	v_pk_mov_b32 v[2:3], s[0:1], s[0:1] op_sel:[0,1]
	flat_load_dwordx2 v[6:7], v[2:3]
.LBB38_4:
	s_waitcnt vmcnt(0) lgkmcnt(0)
	v_cmp_neq_f64_e32 vcc, 0, v[8:9]
	v_cmp_neq_f64_e64 s[0:1], 1.0, v[6:7]
	s_or_b64 s[0:1], vcc, s[0:1]
	s_and_saveexec_b64 s[2:3], s[0:1]
	s_cbranch_execz .LBB38_18
; %bb.5:
	s_load_dword s16, s[4:5], 0x20
	s_load_dwordx4 s[0:3], s[4:5], 0x10
	s_mov_b32 s7, 0
	s_mov_b32 s17, s7
	;; [unrolled: 1-line block ×3, first 2 shown]
	s_waitcnt lgkmcnt(0)
	s_lshl_b64 s[8:9], s[16:17], 3
	s_add_u32 s8, s2, s8
	s_addc_u32 s9, s3, s9
	s_add_i32 s10, s16, 1
	s_lshl_b64 s[10:11], s[10:11], 3
	s_add_u32 s10, s2, s10
	s_addc_u32 s11, s3, s11
	s_load_dwordx2 s[2:3], s[8:9], 0x0
	s_load_dword s12, s[10:11], 0x0
	s_lshl_b32 s6, s6, 8
	s_add_i32 s9, s6, 0x100
	s_waitcnt lgkmcnt(0)
	s_sub_i32 s8, s12, s2
	s_min_u32 s17, s8, s9
	s_cmp_gt_u32 s16, 23
	s_cbranch_scc1 .LBB38_12
; %bb.6:
	s_load_dwordx8 s[8:15], s[4:5], 0x30
	s_lshl_b32 s19, 0x100, s16
	s_lshl_b64 s[20:21], s[2:3], 3
	s_add_u32 s24, s0, s20
	v_mov_b32_e32 v13, 0
	s_addc_u32 s25, s1, s21
	v_bfe_u32 v10, v0, 0, s16
	v_mov_b32_e32 v11, v13
	v_lshl_add_u32 v1, v0, 3, 0
	s_mov_b32 s26, s7
	s_branch .LBB38_9
.LBB38_7:                               ;   in Loop: Header=BB38_9 Depth=1
	s_or_b64 exec, exec, s[22:23]
	ds_write_b64 v1, v[4:5]
.LBB38_8:                               ;   in Loop: Header=BB38_9 Depth=1
	s_or_b64 exec, exec, s[20:21]
	s_addk_i32 s26, 0x100
	s_cmp_ge_u32 s26, s19
	v_add_u32_e32 v1, 0x800, v1
	s_cbranch_scc1 .LBB38_12
.LBB38_9:                               ; =>This Inner Loop Header: Depth=1
	v_add_u32_e32 v2, s26, v0
	v_lshrrev_b32_e32 v2, s16, v2
	v_add_u32_e32 v12, s6, v2
	v_cmp_gt_u32_e32 vcc, s17, v12
	s_and_saveexec_b64 s[20:21], vcc
	s_cbranch_execz .LBB38_8
; %bb.10:                               ;   in Loop: Header=BB38_9 Depth=1
	v_lshlrev_b64 v[2:3], 3, v[12:13]
	v_mov_b32_e32 v4, s25
	v_add_co_u32_e32 v2, vcc, s24, v2
	v_addc_co_u32_e32 v3, vcc, v4, v3, vcc
	global_load_dwordx2 v[2:3], v[2:3], off
	s_waitcnt lgkmcnt(0)
	v_mov_b32_e32 v4, s9
	s_waitcnt vmcnt(0)
	v_lshlrev_b64 v[2:3], 3, v[2:3]
	v_add_co_u32_e32 v2, vcc, s8, v2
	v_addc_co_u32_e32 v3, vcc, v4, v3, vcc
	global_load_dwordx4 v[2:5], v[2:3], off
	s_waitcnt vmcnt(0)
	v_sub_co_u32_e32 v4, vcc, v4, v2
	v_subb_co_u32_e32 v5, vcc, v5, v3, vcc
	v_cmp_gt_i64_e32 vcc, v[4:5], v[10:11]
	v_pk_mov_b32 v[4:5], 0, 0
	s_and_saveexec_b64 s[22:23], vcc
	s_cbranch_execz .LBB38_7
; %bb.11:                               ;   in Loop: Header=BB38_9 Depth=1
	v_mov_b32_e32 v12, s7
	v_subrev_co_u32_e32 v2, vcc, s18, v2
	v_subb_co_u32_e32 v3, vcc, v3, v12, vcc
	v_add_co_u32_e32 v2, vcc, v2, v10
	v_addc_co_u32_e32 v3, vcc, 0, v3, vcc
	v_lshlrev_b64 v[2:3], 3, v[2:3]
	v_mov_b32_e32 v5, s11
	v_add_co_u32_e32 v4, vcc, s10, v2
	v_addc_co_u32_e32 v5, vcc, v5, v3, vcc
	global_load_dwordx2 v[4:5], v[4:5], off
	v_mov_b32_e32 v14, s13
	v_add_co_u32_e32 v2, vcc, s12, v2
	v_addc_co_u32_e32 v3, vcc, v14, v3, vcc
	v_mov_b32_e32 v15, s15
	global_load_dwordx2 v[2:3], v[2:3], off
	s_waitcnt vmcnt(1)
	v_subrev_co_u32_e32 v4, vcc, s18, v4
	v_subb_co_u32_e32 v5, vcc, v5, v12, vcc
	v_lshlrev_b64 v[4:5], 3, v[4:5]
	v_add_co_u32_e32 v4, vcc, s14, v4
	v_addc_co_u32_e32 v5, vcc, v15, v5, vcc
	global_load_dwordx2 v[4:5], v[4:5], off
	s_waitcnt vmcnt(1)
	v_mul_f64 v[2:3], v[8:9], v[2:3]
	s_waitcnt vmcnt(0)
	v_mul_f64 v[4:5], v[2:3], v[4:5]
	s_branch .LBB38_7
.LBB38_12:
	s_sub_i32 s7, s17, s6
	v_cmp_gt_u32_e32 vcc, s7, v0
	s_waitcnt lgkmcnt(0)
	s_barrier
	s_and_b64 exec, exec, vcc
	s_cbranch_execz .LBB38_18
; %bb.13:
	s_lshl_b64 s[2:3], s[2:3], 3
	s_mov_b32 s7, 0
	s_add_u32 s2, s0, s2
	s_addc_u32 s3, s1, s3
	s_lshl_b64 s[0:1], s[6:7], 3
	s_add_u32 s0, s2, s0
	s_addc_u32 s1, s3, s1
	v_lshlrev_b32_e32 v1, 3, v0
	global_load_dwordx2 v[2:3], v1, s[0:1]
	s_load_dwordx2 s[0:1], s[4:5], 0x58
	v_lshlrev_b32_e32 v0, s16, v0
	v_lshl_add_u32 v4, v0, 3, 0
	s_mov_b32 s2, 1
	v_pk_mov_b32 v[0:1], 0, 0
.LBB38_14:                              ; =>This Inner Loop Header: Depth=1
	ds_read_b64 v[8:9], v4
	s_lshr_b32 s3, s2, s16
	s_add_i32 s2, s2, 1
	v_add_u32_e32 v4, 8, v4
	s_cmp_lg_u32 s3, 0
	s_waitcnt lgkmcnt(0)
	v_add_f64 v[0:1], v[0:1], v[8:9]
	s_cbranch_scc0 .LBB38_14
; %bb.15:
	v_cmp_neq_f64_e32 vcc, 0, v[6:7]
	s_waitcnt vmcnt(0)
	v_lshlrev_b64 v[2:3], 3, v[2:3]
	s_and_saveexec_b64 s[2:3], vcc
	s_cbranch_execz .LBB38_17
; %bb.16:
	v_mov_b32_e32 v5, s1
	v_add_co_u32_e32 v4, vcc, s0, v2
	v_addc_co_u32_e32 v5, vcc, v5, v3, vcc
	global_load_dwordx2 v[4:5], v[4:5], off
	s_waitcnt vmcnt(0)
	v_fmac_f64_e32 v[0:1], v[6:7], v[4:5]
.LBB38_17:
	s_or_b64 exec, exec, s[2:3]
	v_mov_b32_e32 v4, s1
	v_add_co_u32_e32 v2, vcc, s0, v2
	v_addc_co_u32_e32 v3, vcc, v4, v3, vcc
	global_store_dwordx2 v[2:3], v[0:1], off
.LBB38_18:
	s_endpgm
	.section	.rodata,"a",@progbits
	.p2align	6, 0x0
	.amdhsa_kernel _ZN9rocsparseL28csrmvn_lrb_short_rows_kernelIllddddEEvbT_PT0_S3_jNS_24const_host_device_scalarIT4_EEPKS1_PKS2_PKT1_PKT2_S6_PT3_21rocsparse_index_base_b
		.amdhsa_group_segment_fixed_size 0
		.amdhsa_private_segment_fixed_size 0
		.amdhsa_kernarg_size 104
		.amdhsa_user_sgpr_count 6
		.amdhsa_user_sgpr_private_segment_buffer 1
		.amdhsa_user_sgpr_dispatch_ptr 0
		.amdhsa_user_sgpr_queue_ptr 0
		.amdhsa_user_sgpr_kernarg_segment_ptr 1
		.amdhsa_user_sgpr_dispatch_id 0
		.amdhsa_user_sgpr_flat_scratch_init 0
		.amdhsa_user_sgpr_kernarg_preload_length 0
		.amdhsa_user_sgpr_kernarg_preload_offset 0
		.amdhsa_user_sgpr_private_segment_size 0
		.amdhsa_uses_dynamic_stack 0
		.amdhsa_system_sgpr_private_segment_wavefront_offset 0
		.amdhsa_system_sgpr_workgroup_id_x 1
		.amdhsa_system_sgpr_workgroup_id_y 0
		.amdhsa_system_sgpr_workgroup_id_z 0
		.amdhsa_system_sgpr_workgroup_info 0
		.amdhsa_system_vgpr_workitem_id 0
		.amdhsa_next_free_vgpr 16
		.amdhsa_next_free_sgpr 27
		.amdhsa_accum_offset 16
		.amdhsa_reserve_vcc 1
		.amdhsa_reserve_flat_scratch 0
		.amdhsa_float_round_mode_32 0
		.amdhsa_float_round_mode_16_64 0
		.amdhsa_float_denorm_mode_32 3
		.amdhsa_float_denorm_mode_16_64 3
		.amdhsa_dx10_clamp 1
		.amdhsa_ieee_mode 1
		.amdhsa_fp16_overflow 0
		.amdhsa_tg_split 0
		.amdhsa_exception_fp_ieee_invalid_op 0
		.amdhsa_exception_fp_denorm_src 0
		.amdhsa_exception_fp_ieee_div_zero 0
		.amdhsa_exception_fp_ieee_overflow 0
		.amdhsa_exception_fp_ieee_underflow 0
		.amdhsa_exception_fp_ieee_inexact 0
		.amdhsa_exception_int_div_zero 0
	.end_amdhsa_kernel
	.section	.text._ZN9rocsparseL28csrmvn_lrb_short_rows_kernelIllddddEEvbT_PT0_S3_jNS_24const_host_device_scalarIT4_EEPKS1_PKS2_PKT1_PKT2_S6_PT3_21rocsparse_index_base_b,"axG",@progbits,_ZN9rocsparseL28csrmvn_lrb_short_rows_kernelIllddddEEvbT_PT0_S3_jNS_24const_host_device_scalarIT4_EEPKS1_PKS2_PKT1_PKT2_S6_PT3_21rocsparse_index_base_b,comdat
.Lfunc_end38:
	.size	_ZN9rocsparseL28csrmvn_lrb_short_rows_kernelIllddddEEvbT_PT0_S3_jNS_24const_host_device_scalarIT4_EEPKS1_PKS2_PKT1_PKT2_S6_PT3_21rocsparse_index_base_b, .Lfunc_end38-_ZN9rocsparseL28csrmvn_lrb_short_rows_kernelIllddddEEvbT_PT0_S3_jNS_24const_host_device_scalarIT4_EEPKS1_PKS2_PKT1_PKT2_S6_PT3_21rocsparse_index_base_b
                                        ; -- End function
	.section	.AMDGPU.csdata,"",@progbits
; Kernel info:
; codeLenInByte = 808
; NumSgprs: 31
; NumVgprs: 16
; NumAgprs: 0
; TotalNumVgprs: 16
; ScratchSize: 0
; MemoryBound: 0
; FloatMode: 240
; IeeeMode: 1
; LDSByteSize: 0 bytes/workgroup (compile time only)
; SGPRBlocks: 3
; VGPRBlocks: 1
; NumSGPRsForWavesPerEU: 31
; NumVGPRsForWavesPerEU: 16
; AccumOffset: 16
; Occupancy: 8
; WaveLimiterHint : 1
; COMPUTE_PGM_RSRC2:SCRATCH_EN: 0
; COMPUTE_PGM_RSRC2:USER_SGPR: 6
; COMPUTE_PGM_RSRC2:TRAP_HANDLER: 0
; COMPUTE_PGM_RSRC2:TGID_X_EN: 1
; COMPUTE_PGM_RSRC2:TGID_Y_EN: 0
; COMPUTE_PGM_RSRC2:TGID_Z_EN: 0
; COMPUTE_PGM_RSRC2:TIDIG_COMP_CNT: 0
; COMPUTE_PGM_RSRC3_GFX90A:ACCUM_OFFSET: 3
; COMPUTE_PGM_RSRC3_GFX90A:TG_SPLIT: 0
	.section	.text._ZN9rocsparseL30csrmvn_lrb_short_rows_2_kernelIllddddEEvbT_PT0_S3_jNS_24const_host_device_scalarIT4_EEPKS1_PKS2_PKT1_PKT2_S6_PT3_21rocsparse_index_base_b,"axG",@progbits,_ZN9rocsparseL30csrmvn_lrb_short_rows_2_kernelIllddddEEvbT_PT0_S3_jNS_24const_host_device_scalarIT4_EEPKS1_PKS2_PKT1_PKT2_S6_PT3_21rocsparse_index_base_b,comdat
	.globl	_ZN9rocsparseL30csrmvn_lrb_short_rows_2_kernelIllddddEEvbT_PT0_S3_jNS_24const_host_device_scalarIT4_EEPKS1_PKS2_PKT1_PKT2_S6_PT3_21rocsparse_index_base_b ; -- Begin function _ZN9rocsparseL30csrmvn_lrb_short_rows_2_kernelIllddddEEvbT_PT0_S3_jNS_24const_host_device_scalarIT4_EEPKS1_PKS2_PKT1_PKT2_S6_PT3_21rocsparse_index_base_b
	.p2align	8
	.type	_ZN9rocsparseL30csrmvn_lrb_short_rows_2_kernelIllddddEEvbT_PT0_S3_jNS_24const_host_device_scalarIT4_EEPKS1_PKS2_PKT1_PKT2_S6_PT3_21rocsparse_index_base_b,@function
_ZN9rocsparseL30csrmvn_lrb_short_rows_2_kernelIllddddEEvbT_PT0_S3_jNS_24const_host_device_scalarIT4_EEPKS1_PKS2_PKT1_PKT2_S6_PT3_21rocsparse_index_base_b: ; @_ZN9rocsparseL30csrmvn_lrb_short_rows_2_kernelIllddddEEvbT_PT0_S3_jNS_24const_host_device_scalarIT4_EEPKS1_PKS2_PKT1_PKT2_S6_PT3_21rocsparse_index_base_b
; %bb.0:
	s_load_dwordx2 s[18:19], s[4:5], 0x60
	s_load_dwordx2 s[8:9], s[4:5], 0x28
	s_load_dwordx2 s[0:1], s[4:5], 0x50
	s_waitcnt lgkmcnt(0)
	s_bitcmp1_b32 s19, 0
	s_cselect_b64 s[10:11], -1, 0
	s_xor_b64 s[2:3], s[10:11], -1
	s_and_b64 vcc, exec, s[10:11]
	v_pk_mov_b32 v[8:9], s[8:9], s[8:9] op_sel:[0,1]
	s_cbranch_vccnz .LBB39_2
; %bb.1:
	v_pk_mov_b32 v[2:3], s[8:9], s[8:9] op_sel:[0,1]
	flat_load_dwordx2 v[8:9], v[2:3]
.LBB39_2:
	s_andn2_b64 vcc, exec, s[2:3]
	v_pk_mov_b32 v[6:7], s[0:1], s[0:1] op_sel:[0,1]
	s_cbranch_vccnz .LBB39_4
; %bb.3:
	v_pk_mov_b32 v[2:3], s[0:1], s[0:1] op_sel:[0,1]
	flat_load_dwordx2 v[6:7], v[2:3]
.LBB39_4:
	s_waitcnt vmcnt(0) lgkmcnt(0)
	v_cmp_neq_f64_e32 vcc, 0, v[8:9]
	v_cmp_neq_f64_e64 s[0:1], 1.0, v[6:7]
	s_or_b64 s[0:1], vcc, s[0:1]
	s_and_saveexec_b64 s[2:3], s[0:1]
	s_cbranch_execz .LBB39_30
; %bb.5:
	s_load_dword s2, s[4:5], 0x20
	s_load_dwordx4 s[20:23], s[4:5], 0x10
	s_mov_b32 s3, 0
	s_mov_b32 s1, s3
	v_mov_b32_e32 v11, 0
	s_waitcnt lgkmcnt(0)
	s_lshl_b64 s[8:9], s[2:3], 3
	s_add_u32 s24, s22, s8
	s_addc_u32 s25, s23, s9
	s_add_i32 s0, s2, 1
	s_lshl_b64 s[0:1], s[0:1], 3
	s_add_u32 s0, s22, s0
	s_addc_u32 s1, s23, s1
	s_load_dwordx2 s[22:23], s[24:25], 0x0
	s_load_dword s7, s[0:1], 0x0
	s_load_dwordx2 s[16:17], s[4:5], 0x58
	s_load_dwordx8 s[8:15], s[4:5], 0x30
	s_lshr_b32 s3, 0x400, s2
	s_mul_i32 s4, s3, s6
	s_waitcnt lgkmcnt(0)
	s_sub_i32 s0, s7, s22
	s_add_i32 s1, s4, s3
	s_min_u32 s5, s0, s1
	s_lshl_b64 s[0:1], s[22:23], 3
	v_lshrrev_b32_e32 v1, s2, v0
	s_add_u32 s19, s20, s0
	v_add_u32_e32 v2, s4, v1
	s_addc_u32 s20, s21, s1
	v_bfe_u32 v10, v0, 0, s2
	v_cmp_gt_u32_e32 vcc, s5, v2
	s_and_saveexec_b64 s[0:1], vcc
	s_cbranch_execz .LBB39_9
; %bb.6:
	v_mov_b32_e32 v3, v11
	v_lshlrev_b64 v[2:3], 3, v[2:3]
	v_mov_b32_e32 v1, s20
	v_add_co_u32_e32 v2, vcc, s19, v2
	v_addc_co_u32_e32 v3, vcc, v1, v3, vcc
	global_load_dwordx2 v[2:3], v[2:3], off
	v_mov_b32_e32 v1, s9
	s_waitcnt vmcnt(0)
	v_lshlrev_b64 v[2:3], 3, v[2:3]
	v_add_co_u32_e32 v2, vcc, s8, v2
	v_addc_co_u32_e32 v3, vcc, v1, v3, vcc
	global_load_dwordx4 v[2:5], v[2:3], off
	s_waitcnt vmcnt(0)
	v_sub_co_u32_e32 v4, vcc, v4, v2
	v_subb_co_u32_e32 v5, vcc, v5, v3, vcc
	v_cmp_gt_i64_e32 vcc, v[4:5], v[10:11]
	v_pk_mov_b32 v[4:5], 0, 0
	s_and_saveexec_b64 s[6:7], vcc
	s_cbranch_execz .LBB39_8
; %bb.7:
	v_subrev_co_u32_e32 v1, vcc, s18, v2
	v_subbrev_co_u32_e32 v3, vcc, 0, v3, vcc
	v_add_co_u32_e32 v2, vcc, v1, v10
	v_addc_co_u32_e32 v3, vcc, 0, v3, vcc
	v_lshlrev_b64 v[2:3], 3, v[2:3]
	v_mov_b32_e32 v1, s11
	v_add_co_u32_e32 v4, vcc, s10, v2
	v_addc_co_u32_e32 v5, vcc, v1, v3, vcc
	global_load_dwordx2 v[4:5], v[4:5], off
	v_mov_b32_e32 v1, s13
	v_add_co_u32_e32 v2, vcc, s12, v2
	v_addc_co_u32_e32 v3, vcc, v1, v3, vcc
	v_mov_b32_e32 v12, s15
	global_load_dwordx2 v[2:3], v[2:3], off
	s_waitcnt vmcnt(1)
	v_subrev_co_u32_e32 v4, vcc, s18, v4
	v_subbrev_co_u32_e32 v5, vcc, 0, v5, vcc
	v_lshlrev_b64 v[4:5], 3, v[4:5]
	v_add_co_u32_e32 v4, vcc, s14, v4
	v_addc_co_u32_e32 v5, vcc, v12, v5, vcc
	global_load_dwordx2 v[4:5], v[4:5], off
	s_waitcnt vmcnt(1)
	v_mul_f64 v[2:3], v[8:9], v[2:3]
	s_waitcnt vmcnt(0)
	v_mul_f64 v[4:5], v[2:3], v[4:5]
.LBB39_8:
	s_or_b64 exec, exec, s[6:7]
	v_lshlrev_b32_e32 v1, 3, v0
	ds_write_b64 v1, v[4:5]
.LBB39_9:
	s_or_b64 exec, exec, s[0:1]
	v_or_b32_e32 v1, 0x100, v0
	v_lshrrev_b32_e32 v1, s2, v1
	v_add_u32_e32 v2, s4, v1
	v_cmp_gt_u32_e32 vcc, s5, v2
	s_and_saveexec_b64 s[0:1], vcc
	s_cbranch_execz .LBB39_13
; %bb.10:
	v_mov_b32_e32 v3, 0
	v_lshlrev_b64 v[2:3], 3, v[2:3]
	v_mov_b32_e32 v1, s20
	v_add_co_u32_e32 v2, vcc, s19, v2
	v_addc_co_u32_e32 v3, vcc, v1, v3, vcc
	global_load_dwordx2 v[2:3], v[2:3], off
	v_mov_b32_e32 v1, s9
	s_waitcnt vmcnt(0)
	v_lshlrev_b64 v[2:3], 3, v[2:3]
	v_add_co_u32_e32 v2, vcc, s8, v2
	v_addc_co_u32_e32 v3, vcc, v1, v3, vcc
	global_load_dwordx4 v[2:5], v[2:3], off
	s_waitcnt vmcnt(0)
	v_sub_co_u32_e32 v4, vcc, v4, v2
	v_subb_co_u32_e32 v5, vcc, v5, v3, vcc
	v_cmp_gt_i64_e32 vcc, v[4:5], v[10:11]
	v_pk_mov_b32 v[4:5], 0, 0
	s_and_saveexec_b64 s[6:7], vcc
	s_cbranch_execz .LBB39_12
; %bb.11:
	v_subrev_co_u32_e32 v1, vcc, s18, v2
	v_subbrev_co_u32_e32 v3, vcc, 0, v3, vcc
	v_add_co_u32_e32 v2, vcc, v1, v10
	v_addc_co_u32_e32 v3, vcc, 0, v3, vcc
	v_lshlrev_b64 v[2:3], 3, v[2:3]
	v_mov_b32_e32 v1, s11
	v_add_co_u32_e32 v4, vcc, s10, v2
	v_addc_co_u32_e32 v5, vcc, v1, v3, vcc
	global_load_dwordx2 v[4:5], v[4:5], off
	v_mov_b32_e32 v1, s13
	v_add_co_u32_e32 v2, vcc, s12, v2
	v_addc_co_u32_e32 v3, vcc, v1, v3, vcc
	v_mov_b32_e32 v12, s15
	global_load_dwordx2 v[2:3], v[2:3], off
	s_waitcnt vmcnt(1)
	v_subrev_co_u32_e32 v4, vcc, s18, v4
	v_subbrev_co_u32_e32 v5, vcc, 0, v5, vcc
	v_lshlrev_b64 v[4:5], 3, v[4:5]
	v_add_co_u32_e32 v4, vcc, s14, v4
	v_addc_co_u32_e32 v5, vcc, v12, v5, vcc
	global_load_dwordx2 v[4:5], v[4:5], off
	s_waitcnt vmcnt(1)
	v_mul_f64 v[2:3], v[8:9], v[2:3]
	s_waitcnt vmcnt(0)
	v_mul_f64 v[4:5], v[2:3], v[4:5]
.LBB39_12:
	s_or_b64 exec, exec, s[6:7]
	v_lshlrev_b32_e32 v1, 3, v0
	ds_write_b64 v1, v[4:5] offset:2048
.LBB39_13:
	s_or_b64 exec, exec, s[0:1]
	v_or_b32_e32 v1, 0x200, v0
	v_lshrrev_b32_e32 v1, s2, v1
	v_add_u32_e32 v2, s4, v1
	v_cmp_gt_u32_e32 vcc, s5, v2
	s_and_saveexec_b64 s[0:1], vcc
	s_cbranch_execz .LBB39_17
; %bb.14:
	v_mov_b32_e32 v3, 0
	v_lshlrev_b64 v[2:3], 3, v[2:3]
	v_mov_b32_e32 v1, s20
	v_add_co_u32_e32 v2, vcc, s19, v2
	v_addc_co_u32_e32 v3, vcc, v1, v3, vcc
	global_load_dwordx2 v[2:3], v[2:3], off
	v_mov_b32_e32 v1, s9
	s_waitcnt vmcnt(0)
	v_lshlrev_b64 v[2:3], 3, v[2:3]
	v_add_co_u32_e32 v2, vcc, s8, v2
	v_addc_co_u32_e32 v3, vcc, v1, v3, vcc
	global_load_dwordx4 v[2:5], v[2:3], off
	s_waitcnt vmcnt(0)
	v_sub_co_u32_e32 v4, vcc, v4, v2
	v_subb_co_u32_e32 v5, vcc, v5, v3, vcc
	v_cmp_gt_i64_e32 vcc, v[4:5], v[10:11]
	v_pk_mov_b32 v[4:5], 0, 0
	s_and_saveexec_b64 s[6:7], vcc
	s_cbranch_execz .LBB39_16
; %bb.15:
	v_subrev_co_u32_e32 v1, vcc, s18, v2
	v_subbrev_co_u32_e32 v3, vcc, 0, v3, vcc
	v_add_co_u32_e32 v2, vcc, v1, v10
	v_addc_co_u32_e32 v3, vcc, 0, v3, vcc
	v_lshlrev_b64 v[2:3], 3, v[2:3]
	v_mov_b32_e32 v1, s11
	v_add_co_u32_e32 v4, vcc, s10, v2
	v_addc_co_u32_e32 v5, vcc, v1, v3, vcc
	global_load_dwordx2 v[4:5], v[4:5], off
	v_mov_b32_e32 v1, s13
	v_add_co_u32_e32 v2, vcc, s12, v2
	v_addc_co_u32_e32 v3, vcc, v1, v3, vcc
	v_mov_b32_e32 v12, s15
	global_load_dwordx2 v[2:3], v[2:3], off
	s_waitcnt vmcnt(1)
	v_subrev_co_u32_e32 v4, vcc, s18, v4
	v_subbrev_co_u32_e32 v5, vcc, 0, v5, vcc
	v_lshlrev_b64 v[4:5], 3, v[4:5]
	v_add_co_u32_e32 v4, vcc, s14, v4
	v_addc_co_u32_e32 v5, vcc, v12, v5, vcc
	global_load_dwordx2 v[4:5], v[4:5], off
	s_waitcnt vmcnt(1)
	v_mul_f64 v[2:3], v[8:9], v[2:3]
	s_waitcnt vmcnt(0)
	v_mul_f64 v[4:5], v[2:3], v[4:5]
.LBB39_16:
	s_or_b64 exec, exec, s[6:7]
	v_lshlrev_b32_e32 v1, 3, v0
	ds_write_b64 v1, v[4:5] offset:4096
.LBB39_17:
	;; [unrolled: 58-line block ×3, first 2 shown]
	s_or_b64 exec, exec, s[0:1]
	s_cmp_lt_u32 s2, 11
	s_waitcnt lgkmcnt(0)
	s_barrier
	s_cbranch_scc0 .LBB39_30
; %bb.22:
	s_sub_i32 s10, s5, s4
	s_mov_b32 s5, 0
	s_lshl_b64 s[0:1], s[4:5], 3
	s_add_u32 s4, s19, s0
	s_addc_u32 s11, s20, s1
	v_cmp_neq_f64_e32 vcc, 0, v[6:7]
	v_mov_b32_e32 v3, 0
	s_branch .LBB39_25
.LBB39_23:                              ;   in Loop: Header=BB39_25 Depth=1
	s_or_b64 exec, exec, s[8:9]
	v_mov_b32_e32 v1, s17
	v_add_co_u32_e64 v8, s[0:1], s16, v8
	v_addc_co_u32_e64 v9, s[0:1], v1, v9, s[0:1]
	global_store_dwordx2 v[8:9], v[4:5], off
.LBB39_24:                              ;   in Loop: Header=BB39_25 Depth=1
	s_or_b64 exec, exec, s[6:7]
	s_addk_i32 s5, 0x100
	s_cmp_lt_u32 s5, s3
	s_cbranch_scc0 .LBB39_30
.LBB39_25:                              ; =>This Loop Header: Depth=1
                                        ;     Child Loop BB39_27 Depth 2
	v_add_u32_e32 v2, s5, v0
	v_cmp_gt_u32_e64 s[0:1], s10, v2
	s_and_saveexec_b64 s[6:7], s[0:1]
	s_cbranch_execz .LBB39_24
; %bb.26:                               ;   in Loop: Header=BB39_25 Depth=1
	v_lshlrev_b64 v[4:5], 3, v[2:3]
	v_mov_b32_e32 v1, s11
	v_add_co_u32_e64 v4, s[0:1], s4, v4
	v_addc_co_u32_e64 v5, s[0:1], v1, v5, s[0:1]
	global_load_dwordx2 v[8:9], v[4:5], off
	v_lshlrev_b32_e32 v1, s2, v2
	v_lshlrev_b32_e32 v1, 3, v1
	s_mov_b32 s0, 1
	v_pk_mov_b32 v[4:5], 0, 0
.LBB39_27:                              ;   Parent Loop BB39_25 Depth=1
                                        ; =>  This Inner Loop Header: Depth=2
	ds_read_b64 v[10:11], v1
	s_lshr_b32 s1, s0, s2
	s_add_i32 s0, s0, 1
	v_add_u32_e32 v1, 8, v1
	s_cmp_lg_u32 s1, 0
	s_waitcnt lgkmcnt(0)
	v_add_f64 v[4:5], v[4:5], v[10:11]
	s_cbranch_scc0 .LBB39_27
; %bb.28:                               ;   in Loop: Header=BB39_25 Depth=1
	s_waitcnt vmcnt(0)
	v_lshlrev_b64 v[8:9], 3, v[8:9]
	s_and_saveexec_b64 s[8:9], vcc
	s_cbranch_execz .LBB39_23
; %bb.29:                               ;   in Loop: Header=BB39_25 Depth=1
	v_mov_b32_e32 v1, s17
	v_add_co_u32_e64 v10, s[0:1], s16, v8
	v_addc_co_u32_e64 v11, s[0:1], v1, v9, s[0:1]
	global_load_dwordx2 v[10:11], v[10:11], off
	s_waitcnt vmcnt(0)
	v_fmac_f64_e32 v[4:5], v[6:7], v[10:11]
	s_branch .LBB39_23
.LBB39_30:
	s_endpgm
	.section	.rodata,"a",@progbits
	.p2align	6, 0x0
	.amdhsa_kernel _ZN9rocsparseL30csrmvn_lrb_short_rows_2_kernelIllddddEEvbT_PT0_S3_jNS_24const_host_device_scalarIT4_EEPKS1_PKS2_PKT1_PKT2_S6_PT3_21rocsparse_index_base_b
		.amdhsa_group_segment_fixed_size 8192
		.amdhsa_private_segment_fixed_size 0
		.amdhsa_kernarg_size 104
		.amdhsa_user_sgpr_count 6
		.amdhsa_user_sgpr_private_segment_buffer 1
		.amdhsa_user_sgpr_dispatch_ptr 0
		.amdhsa_user_sgpr_queue_ptr 0
		.amdhsa_user_sgpr_kernarg_segment_ptr 1
		.amdhsa_user_sgpr_dispatch_id 0
		.amdhsa_user_sgpr_flat_scratch_init 0
		.amdhsa_user_sgpr_kernarg_preload_length 0
		.amdhsa_user_sgpr_kernarg_preload_offset 0
		.amdhsa_user_sgpr_private_segment_size 0
		.amdhsa_uses_dynamic_stack 0
		.amdhsa_system_sgpr_private_segment_wavefront_offset 0
		.amdhsa_system_sgpr_workgroup_id_x 1
		.amdhsa_system_sgpr_workgroup_id_y 0
		.amdhsa_system_sgpr_workgroup_id_z 0
		.amdhsa_system_sgpr_workgroup_info 0
		.amdhsa_system_vgpr_workitem_id 0
		.amdhsa_next_free_vgpr 13
		.amdhsa_next_free_sgpr 26
		.amdhsa_accum_offset 16
		.amdhsa_reserve_vcc 1
		.amdhsa_reserve_flat_scratch 0
		.amdhsa_float_round_mode_32 0
		.amdhsa_float_round_mode_16_64 0
		.amdhsa_float_denorm_mode_32 3
		.amdhsa_float_denorm_mode_16_64 3
		.amdhsa_dx10_clamp 1
		.amdhsa_ieee_mode 1
		.amdhsa_fp16_overflow 0
		.amdhsa_tg_split 0
		.amdhsa_exception_fp_ieee_invalid_op 0
		.amdhsa_exception_fp_denorm_src 0
		.amdhsa_exception_fp_ieee_div_zero 0
		.amdhsa_exception_fp_ieee_overflow 0
		.amdhsa_exception_fp_ieee_underflow 0
		.amdhsa_exception_fp_ieee_inexact 0
		.amdhsa_exception_int_div_zero 0
	.end_amdhsa_kernel
	.section	.text._ZN9rocsparseL30csrmvn_lrb_short_rows_2_kernelIllddddEEvbT_PT0_S3_jNS_24const_host_device_scalarIT4_EEPKS1_PKS2_PKT1_PKT2_S6_PT3_21rocsparse_index_base_b,"axG",@progbits,_ZN9rocsparseL30csrmvn_lrb_short_rows_2_kernelIllddddEEvbT_PT0_S3_jNS_24const_host_device_scalarIT4_EEPKS1_PKS2_PKT1_PKT2_S6_PT3_21rocsparse_index_base_b,comdat
.Lfunc_end39:
	.size	_ZN9rocsparseL30csrmvn_lrb_short_rows_2_kernelIllddddEEvbT_PT0_S3_jNS_24const_host_device_scalarIT4_EEPKS1_PKS2_PKT1_PKT2_S6_PT3_21rocsparse_index_base_b, .Lfunc_end39-_ZN9rocsparseL30csrmvn_lrb_short_rows_2_kernelIllddddEEvbT_PT0_S3_jNS_24const_host_device_scalarIT4_EEPKS1_PKS2_PKT1_PKT2_S6_PT3_21rocsparse_index_base_b
                                        ; -- End function
	.section	.AMDGPU.csdata,"",@progbits
; Kernel info:
; codeLenInByte = 1628
; NumSgprs: 30
; NumVgprs: 13
; NumAgprs: 0
; TotalNumVgprs: 13
; ScratchSize: 0
; MemoryBound: 0
; FloatMode: 240
; IeeeMode: 1
; LDSByteSize: 8192 bytes/workgroup (compile time only)
; SGPRBlocks: 3
; VGPRBlocks: 1
; NumSGPRsForWavesPerEU: 30
; NumVGPRsForWavesPerEU: 13
; AccumOffset: 16
; Occupancy: 8
; WaveLimiterHint : 1
; COMPUTE_PGM_RSRC2:SCRATCH_EN: 0
; COMPUTE_PGM_RSRC2:USER_SGPR: 6
; COMPUTE_PGM_RSRC2:TRAP_HANDLER: 0
; COMPUTE_PGM_RSRC2:TGID_X_EN: 1
; COMPUTE_PGM_RSRC2:TGID_Y_EN: 0
; COMPUTE_PGM_RSRC2:TGID_Z_EN: 0
; COMPUTE_PGM_RSRC2:TIDIG_COMP_CNT: 0
; COMPUTE_PGM_RSRC3_GFX90A:ACCUM_OFFSET: 3
; COMPUTE_PGM_RSRC3_GFX90A:TG_SPLIT: 0
	.section	.text._ZN9rocsparseL41csrmvn_lrb_medium_rows_warp_reduce_kernelILj256ELj32EllddddEEvbT1_lPT2_S3_jNS_24const_host_device_scalarIT6_EEPKS1_PKS2_PKT3_PKT4_S6_PT5_21rocsparse_index_base_b,"axG",@progbits,_ZN9rocsparseL41csrmvn_lrb_medium_rows_warp_reduce_kernelILj256ELj32EllddddEEvbT1_lPT2_S3_jNS_24const_host_device_scalarIT6_EEPKS1_PKS2_PKT3_PKT4_S6_PT5_21rocsparse_index_base_b,comdat
	.globl	_ZN9rocsparseL41csrmvn_lrb_medium_rows_warp_reduce_kernelILj256ELj32EllddddEEvbT1_lPT2_S3_jNS_24const_host_device_scalarIT6_EEPKS1_PKS2_PKT3_PKT4_S6_PT5_21rocsparse_index_base_b ; -- Begin function _ZN9rocsparseL41csrmvn_lrb_medium_rows_warp_reduce_kernelILj256ELj32EllddddEEvbT1_lPT2_S3_jNS_24const_host_device_scalarIT6_EEPKS1_PKS2_PKT3_PKT4_S6_PT5_21rocsparse_index_base_b
	.p2align	8
	.type	_ZN9rocsparseL41csrmvn_lrb_medium_rows_warp_reduce_kernelILj256ELj32EllddddEEvbT1_lPT2_S3_jNS_24const_host_device_scalarIT6_EEPKS1_PKS2_PKT3_PKT4_S6_PT5_21rocsparse_index_base_b,@function
_ZN9rocsparseL41csrmvn_lrb_medium_rows_warp_reduce_kernelILj256ELj32EllddddEEvbT1_lPT2_S3_jNS_24const_host_device_scalarIT6_EEPKS1_PKS2_PKT3_PKT4_S6_PT5_21rocsparse_index_base_b: ; @_ZN9rocsparseL41csrmvn_lrb_medium_rows_warp_reduce_kernelILj256ELj32EllddddEEvbT1_lPT2_S3_jNS_24const_host_device_scalarIT6_EEPKS1_PKS2_PKT3_PKT4_S6_PT5_21rocsparse_index_base_b
; %bb.0:
	s_load_dwordx2 s[2:3], s[4:5], 0x68
	s_load_dwordx2 s[10:11], s[4:5], 0x30
	;; [unrolled: 1-line block ×3, first 2 shown]
	s_waitcnt lgkmcnt(0)
	s_bitcmp1_b32 s3, 0
	s_cselect_b64 s[12:13], -1, 0
	s_xor_b64 s[8:9], s[12:13], -1
	s_and_b64 vcc, exec, s[12:13]
	v_pk_mov_b32 v[4:5], s[10:11], s[10:11] op_sel:[0,1]
	s_cbranch_vccnz .LBB40_2
; %bb.1:
	v_pk_mov_b32 v[2:3], s[10:11], s[10:11] op_sel:[0,1]
	flat_load_dwordx2 v[4:5], v[2:3]
.LBB40_2:
	s_andn2_b64 vcc, exec, s[8:9]
	v_pk_mov_b32 v[2:3], s[0:1], s[0:1] op_sel:[0,1]
	s_cbranch_vccnz .LBB40_4
; %bb.3:
	v_pk_mov_b32 v[2:3], s[0:1], s[0:1] op_sel:[0,1]
	flat_load_dwordx2 v[2:3], v[2:3]
.LBB40_4:
	s_waitcnt vmcnt(0) lgkmcnt(0)
	v_cmp_neq_f64_e32 vcc, 0, v[4:5]
	v_cmp_neq_f64_e64 s[0:1], 1.0, v[2:3]
	s_or_b64 s[0:1], vcc, s[0:1]
	s_and_saveexec_b64 s[8:9], s[0:1]
	s_cbranch_execz .LBB40_14
; %bb.5:
	s_load_dwordx2 s[0:1], s[4:5], 0x10
	v_lshrrev_b32_e32 v1, 5, v0
	v_lshl_or_b32 v6, s6, 3, v1
	v_ashrrev_i32_e32 v7, 31, v6
	s_waitcnt lgkmcnt(0)
	v_cmp_gt_i64_e32 vcc, s[0:1], v[6:7]
	s_and_b64 exec, exec, vcc
	s_cbranch_execz .LBB40_14
; %bb.6:
	s_load_dword s0, s[4:5], 0x28
	s_load_dwordx4 s[8:11], s[4:5], 0x18
	s_mov_b32 s1, 0
	v_lshlrev_b64 v[6:7], 3, v[6:7]
	v_and_b32_e32 v16, 31, v0
	s_waitcnt lgkmcnt(0)
	s_lshl_b64 s[6:7], s[0:1], 3
	s_add_u32 s6, s10, s6
	s_addc_u32 s7, s11, s7
	s_load_dwordx2 s[6:7], s[6:7], 0x0
	s_waitcnt lgkmcnt(0)
	s_lshl_b64 s[6:7], s[6:7], 3
	s_add_u32 s0, s8, s6
	s_addc_u32 s3, s9, s7
	v_mov_b32_e32 v1, s3
	v_add_co_u32_e32 v6, vcc, s0, v6
	v_addc_co_u32_e32 v7, vcc, v1, v7, vcc
	global_load_dwordx2 v[6:7], v[6:7], off
	s_load_dwordx2 s[6:7], s[4:5], 0x38
	s_waitcnt lgkmcnt(0)
	v_mov_b32_e32 v1, s7
	s_waitcnt vmcnt(0)
	v_lshlrev_b64 v[6:7], 3, v[6:7]
	v_add_co_u32_e32 v8, vcc, s6, v6
	v_addc_co_u32_e32 v9, vcc, v1, v7, vcc
	global_load_dwordx4 v[8:11], v[8:9], off
	v_subrev_co_u32_e32 v12, vcc, s2, v16
	s_load_dwordx2 s[6:7], s[4:5], 0x60
	v_subb_co_u32_e64 v13, s[8:9], 0, 0, vcc
	s_waitcnt vmcnt(0)
	v_subrev_co_u32_e32 v0, vcc, s2, v10
	v_subbrev_co_u32_e32 v1, vcc, 0, v11, vcc
	v_add_co_u32_e32 v8, vcc, v8, v12
	v_addc_co_u32_e32 v9, vcc, v9, v13, vcc
	v_cmp_lt_i64_e32 vcc, v[8:9], v[0:1]
	v_pk_mov_b32 v[10:11], 0, 0
	s_and_saveexec_b64 s[8:9], vcc
	s_cbranch_execz .LBB40_10
; %bb.7:
	s_load_dwordx4 s[12:15], s[4:5], 0x40
	s_load_dwordx2 s[10:11], s[4:5], 0x50
	v_lshlrev_b64 v[10:11], 3, v[8:9]
	s_mov_b64 s[4:5], 0
	v_mov_b32_e32 v17, s1
	s_waitcnt lgkmcnt(0)
	v_mov_b32_e32 v13, s15
	v_add_co_u32_e32 v12, vcc, s14, v10
	v_addc_co_u32_e32 v13, vcc, v13, v11, vcc
	v_mov_b32_e32 v15, s13
	v_add_co_u32_e32 v14, vcc, s12, v10
	v_addc_co_u32_e32 v15, vcc, v15, v11, vcc
	v_pk_mov_b32 v[10:11], 0, 0
	v_mov_b32_e32 v18, s11
.LBB40_8:                               ; =>This Inner Loop Header: Depth=1
	global_load_dwordx2 v[20:21], v[14:15], off
	global_load_dwordx2 v[22:23], v[12:13], off
	s_waitcnt vmcnt(1)
	v_subrev_co_u32_e32 v20, vcc, s2, v20
	v_subb_co_u32_e32 v21, vcc, v21, v17, vcc
	v_lshlrev_b64 v[20:21], 3, v[20:21]
	v_add_co_u32_e32 v20, vcc, s10, v20
	v_addc_co_u32_e32 v21, vcc, v18, v21, vcc
	global_load_dwordx2 v[20:21], v[20:21], off
	v_add_co_u32_e32 v8, vcc, 32, v8
	v_addc_co_u32_e32 v9, vcc, 0, v9, vcc
	v_add_co_u32_e32 v12, vcc, 0x100, v12
	v_addc_co_u32_e32 v13, vcc, 0, v13, vcc
	v_add_co_u32_e32 v14, vcc, 0x100, v14
	v_cmp_ge_i64_e64 s[0:1], v[8:9], v[0:1]
	s_waitcnt vmcnt(1)
	v_mul_f64 v[22:23], v[4:5], v[22:23]
	v_addc_co_u32_e32 v15, vcc, 0, v15, vcc
	s_or_b64 s[4:5], s[0:1], s[4:5]
	s_waitcnt vmcnt(0)
	v_fmac_f64_e32 v[10:11], v[22:23], v[20:21]
	s_andn2_b64 exec, exec, s[4:5]
	s_cbranch_execnz .LBB40_8
; %bb.9:
	s_or_b64 exec, exec, s[4:5]
.LBB40_10:
	s_or_b64 exec, exec, s[8:9]
	v_mov_b32_dpp v0, v10 row_shr:1 row_mask:0xf bank_mask:0xf
	v_mov_b32_dpp v1, v11 row_shr:1 row_mask:0xf bank_mask:0xf
	v_add_f64 v[0:1], v[10:11], v[0:1]
	v_cmp_eq_u32_e32 vcc, 31, v16
	s_nop 0
	v_mov_b32_dpp v4, v0 row_shr:2 row_mask:0xf bank_mask:0xf
	v_mov_b32_dpp v5, v1 row_shr:2 row_mask:0xf bank_mask:0xf
	v_add_f64 v[0:1], v[0:1], v[4:5]
	s_nop 1
	v_mov_b32_dpp v4, v0 row_shr:4 row_mask:0xf bank_mask:0xe
	v_mov_b32_dpp v5, v1 row_shr:4 row_mask:0xf bank_mask:0xe
	v_add_f64 v[0:1], v[0:1], v[4:5]
	;; [unrolled: 4-line block ×3, first 2 shown]
	s_nop 1
	v_mov_b32_dpp v4, v0 row_bcast:15 row_mask:0xa bank_mask:0xf
	v_mov_b32_dpp v5, v1 row_bcast:15 row_mask:0xa bank_mask:0xf
	s_and_b64 exec, exec, vcc
	s_cbranch_execz .LBB40_14
; %bb.11:
	v_add_f64 v[0:1], v[0:1], v[4:5]
	v_cmp_neq_f64_e32 vcc, 0, v[2:3]
	s_and_saveexec_b64 s[0:1], vcc
	s_cbranch_execz .LBB40_13
; %bb.12:
	s_waitcnt lgkmcnt(0)
	v_mov_b32_e32 v5, s7
	v_add_co_u32_e32 v4, vcc, s6, v6
	v_addc_co_u32_e32 v5, vcc, v5, v7, vcc
	global_load_dwordx2 v[4:5], v[4:5], off
	s_waitcnt vmcnt(0)
	v_fmac_f64_e32 v[0:1], v[2:3], v[4:5]
.LBB40_13:
	s_or_b64 exec, exec, s[0:1]
	s_waitcnt lgkmcnt(0)
	v_mov_b32_e32 v3, s7
	v_add_co_u32_e32 v2, vcc, s6, v6
	v_addc_co_u32_e32 v3, vcc, v3, v7, vcc
	global_store_dwordx2 v[2:3], v[0:1], off
.LBB40_14:
	s_endpgm
	.section	.rodata,"a",@progbits
	.p2align	6, 0x0
	.amdhsa_kernel _ZN9rocsparseL41csrmvn_lrb_medium_rows_warp_reduce_kernelILj256ELj32EllddddEEvbT1_lPT2_S3_jNS_24const_host_device_scalarIT6_EEPKS1_PKS2_PKT3_PKT4_S6_PT5_21rocsparse_index_base_b
		.amdhsa_group_segment_fixed_size 0
		.amdhsa_private_segment_fixed_size 0
		.amdhsa_kernarg_size 112
		.amdhsa_user_sgpr_count 6
		.amdhsa_user_sgpr_private_segment_buffer 1
		.amdhsa_user_sgpr_dispatch_ptr 0
		.amdhsa_user_sgpr_queue_ptr 0
		.amdhsa_user_sgpr_kernarg_segment_ptr 1
		.amdhsa_user_sgpr_dispatch_id 0
		.amdhsa_user_sgpr_flat_scratch_init 0
		.amdhsa_user_sgpr_kernarg_preload_length 0
		.amdhsa_user_sgpr_kernarg_preload_offset 0
		.amdhsa_user_sgpr_private_segment_size 0
		.amdhsa_uses_dynamic_stack 0
		.amdhsa_system_sgpr_private_segment_wavefront_offset 0
		.amdhsa_system_sgpr_workgroup_id_x 1
		.amdhsa_system_sgpr_workgroup_id_y 0
		.amdhsa_system_sgpr_workgroup_id_z 0
		.amdhsa_system_sgpr_workgroup_info 0
		.amdhsa_system_vgpr_workitem_id 0
		.amdhsa_next_free_vgpr 24
		.amdhsa_next_free_sgpr 16
		.amdhsa_accum_offset 24
		.amdhsa_reserve_vcc 1
		.amdhsa_reserve_flat_scratch 0
		.amdhsa_float_round_mode_32 0
		.amdhsa_float_round_mode_16_64 0
		.amdhsa_float_denorm_mode_32 3
		.amdhsa_float_denorm_mode_16_64 3
		.amdhsa_dx10_clamp 1
		.amdhsa_ieee_mode 1
		.amdhsa_fp16_overflow 0
		.amdhsa_tg_split 0
		.amdhsa_exception_fp_ieee_invalid_op 0
		.amdhsa_exception_fp_denorm_src 0
		.amdhsa_exception_fp_ieee_div_zero 0
		.amdhsa_exception_fp_ieee_overflow 0
		.amdhsa_exception_fp_ieee_underflow 0
		.amdhsa_exception_fp_ieee_inexact 0
		.amdhsa_exception_int_div_zero 0
	.end_amdhsa_kernel
	.section	.text._ZN9rocsparseL41csrmvn_lrb_medium_rows_warp_reduce_kernelILj256ELj32EllddddEEvbT1_lPT2_S3_jNS_24const_host_device_scalarIT6_EEPKS1_PKS2_PKT3_PKT4_S6_PT5_21rocsparse_index_base_b,"axG",@progbits,_ZN9rocsparseL41csrmvn_lrb_medium_rows_warp_reduce_kernelILj256ELj32EllddddEEvbT1_lPT2_S3_jNS_24const_host_device_scalarIT6_EEPKS1_PKS2_PKT3_PKT4_S6_PT5_21rocsparse_index_base_b,comdat
.Lfunc_end40:
	.size	_ZN9rocsparseL41csrmvn_lrb_medium_rows_warp_reduce_kernelILj256ELj32EllddddEEvbT1_lPT2_S3_jNS_24const_host_device_scalarIT6_EEPKS1_PKS2_PKT3_PKT4_S6_PT5_21rocsparse_index_base_b, .Lfunc_end40-_ZN9rocsparseL41csrmvn_lrb_medium_rows_warp_reduce_kernelILj256ELj32EllddddEEvbT1_lPT2_S3_jNS_24const_host_device_scalarIT6_EEPKS1_PKS2_PKT3_PKT4_S6_PT5_21rocsparse_index_base_b
                                        ; -- End function
	.section	.AMDGPU.csdata,"",@progbits
; Kernel info:
; codeLenInByte = 796
; NumSgprs: 20
; NumVgprs: 24
; NumAgprs: 0
; TotalNumVgprs: 24
; ScratchSize: 0
; MemoryBound: 0
; FloatMode: 240
; IeeeMode: 1
; LDSByteSize: 0 bytes/workgroup (compile time only)
; SGPRBlocks: 2
; VGPRBlocks: 2
; NumSGPRsForWavesPerEU: 20
; NumVGPRsForWavesPerEU: 24
; AccumOffset: 24
; Occupancy: 8
; WaveLimiterHint : 1
; COMPUTE_PGM_RSRC2:SCRATCH_EN: 0
; COMPUTE_PGM_RSRC2:USER_SGPR: 6
; COMPUTE_PGM_RSRC2:TRAP_HANDLER: 0
; COMPUTE_PGM_RSRC2:TGID_X_EN: 1
; COMPUTE_PGM_RSRC2:TGID_Y_EN: 0
; COMPUTE_PGM_RSRC2:TGID_Z_EN: 0
; COMPUTE_PGM_RSRC2:TIDIG_COMP_CNT: 0
; COMPUTE_PGM_RSRC3_GFX90A:ACCUM_OFFSET: 5
; COMPUTE_PGM_RSRC3_GFX90A:TG_SPLIT: 0
	.section	.text._ZN9rocsparseL41csrmvn_lrb_medium_rows_warp_reduce_kernelILj256ELj64EllddddEEvbT1_lPT2_S3_jNS_24const_host_device_scalarIT6_EEPKS1_PKS2_PKT3_PKT4_S6_PT5_21rocsparse_index_base_b,"axG",@progbits,_ZN9rocsparseL41csrmvn_lrb_medium_rows_warp_reduce_kernelILj256ELj64EllddddEEvbT1_lPT2_S3_jNS_24const_host_device_scalarIT6_EEPKS1_PKS2_PKT3_PKT4_S6_PT5_21rocsparse_index_base_b,comdat
	.globl	_ZN9rocsparseL41csrmvn_lrb_medium_rows_warp_reduce_kernelILj256ELj64EllddddEEvbT1_lPT2_S3_jNS_24const_host_device_scalarIT6_EEPKS1_PKS2_PKT3_PKT4_S6_PT5_21rocsparse_index_base_b ; -- Begin function _ZN9rocsparseL41csrmvn_lrb_medium_rows_warp_reduce_kernelILj256ELj64EllddddEEvbT1_lPT2_S3_jNS_24const_host_device_scalarIT6_EEPKS1_PKS2_PKT3_PKT4_S6_PT5_21rocsparse_index_base_b
	.p2align	8
	.type	_ZN9rocsparseL41csrmvn_lrb_medium_rows_warp_reduce_kernelILj256ELj64EllddddEEvbT1_lPT2_S3_jNS_24const_host_device_scalarIT6_EEPKS1_PKS2_PKT3_PKT4_S6_PT5_21rocsparse_index_base_b,@function
_ZN9rocsparseL41csrmvn_lrb_medium_rows_warp_reduce_kernelILj256ELj64EllddddEEvbT1_lPT2_S3_jNS_24const_host_device_scalarIT6_EEPKS1_PKS2_PKT3_PKT4_S6_PT5_21rocsparse_index_base_b: ; @_ZN9rocsparseL41csrmvn_lrb_medium_rows_warp_reduce_kernelILj256ELj64EllddddEEvbT1_lPT2_S3_jNS_24const_host_device_scalarIT6_EEPKS1_PKS2_PKT3_PKT4_S6_PT5_21rocsparse_index_base_b
; %bb.0:
	s_load_dwordx2 s[2:3], s[4:5], 0x68
	s_load_dwordx2 s[10:11], s[4:5], 0x30
	;; [unrolled: 1-line block ×3, first 2 shown]
	s_waitcnt lgkmcnt(0)
	s_bitcmp1_b32 s3, 0
	s_cselect_b64 s[12:13], -1, 0
	s_xor_b64 s[8:9], s[12:13], -1
	s_and_b64 vcc, exec, s[12:13]
	v_pk_mov_b32 v[4:5], s[10:11], s[10:11] op_sel:[0,1]
	s_cbranch_vccnz .LBB41_2
; %bb.1:
	v_pk_mov_b32 v[2:3], s[10:11], s[10:11] op_sel:[0,1]
	flat_load_dwordx2 v[4:5], v[2:3]
.LBB41_2:
	s_andn2_b64 vcc, exec, s[8:9]
	v_pk_mov_b32 v[2:3], s[0:1], s[0:1] op_sel:[0,1]
	s_cbranch_vccnz .LBB41_4
; %bb.3:
	v_pk_mov_b32 v[2:3], s[0:1], s[0:1] op_sel:[0,1]
	flat_load_dwordx2 v[2:3], v[2:3]
.LBB41_4:
	s_waitcnt vmcnt(0) lgkmcnt(0)
	v_cmp_neq_f64_e32 vcc, 0, v[4:5]
	v_cmp_neq_f64_e64 s[0:1], 1.0, v[2:3]
	s_or_b64 s[0:1], vcc, s[0:1]
	s_and_saveexec_b64 s[8:9], s[0:1]
	s_cbranch_execz .LBB41_14
; %bb.5:
	s_load_dwordx2 s[0:1], s[4:5], 0x10
	v_lshrrev_b32_e32 v1, 6, v0
	v_lshl_or_b32 v6, s6, 2, v1
	v_ashrrev_i32_e32 v7, 31, v6
	s_waitcnt lgkmcnt(0)
	v_cmp_gt_i64_e32 vcc, s[0:1], v[6:7]
	s_and_b64 exec, exec, vcc
	s_cbranch_execz .LBB41_14
; %bb.6:
	s_load_dword s0, s[4:5], 0x28
	s_load_dwordx4 s[8:11], s[4:5], 0x18
	s_mov_b32 s1, 0
	v_lshlrev_b64 v[6:7], 3, v[6:7]
	v_and_b32_e32 v16, 63, v0
	s_waitcnt lgkmcnt(0)
	s_lshl_b64 s[6:7], s[0:1], 3
	s_add_u32 s6, s10, s6
	s_addc_u32 s7, s11, s7
	s_load_dwordx2 s[6:7], s[6:7], 0x0
	s_waitcnt lgkmcnt(0)
	s_lshl_b64 s[6:7], s[6:7], 3
	s_add_u32 s0, s8, s6
	s_addc_u32 s3, s9, s7
	v_mov_b32_e32 v1, s3
	v_add_co_u32_e32 v6, vcc, s0, v6
	v_addc_co_u32_e32 v7, vcc, v1, v7, vcc
	global_load_dwordx2 v[6:7], v[6:7], off
	s_load_dwordx2 s[6:7], s[4:5], 0x38
	s_waitcnt lgkmcnt(0)
	v_mov_b32_e32 v1, s7
	s_waitcnt vmcnt(0)
	v_lshlrev_b64 v[6:7], 3, v[6:7]
	v_add_co_u32_e32 v8, vcc, s6, v6
	v_addc_co_u32_e32 v9, vcc, v1, v7, vcc
	global_load_dwordx4 v[8:11], v[8:9], off
	v_subrev_co_u32_e32 v12, vcc, s2, v16
	s_load_dwordx2 s[6:7], s[4:5], 0x60
	v_subb_co_u32_e64 v13, s[8:9], 0, 0, vcc
	s_waitcnt vmcnt(0)
	v_subrev_co_u32_e32 v0, vcc, s2, v10
	v_subbrev_co_u32_e32 v1, vcc, 0, v11, vcc
	v_add_co_u32_e32 v8, vcc, v8, v12
	v_addc_co_u32_e32 v9, vcc, v9, v13, vcc
	v_cmp_lt_i64_e32 vcc, v[8:9], v[0:1]
	v_pk_mov_b32 v[10:11], 0, 0
	s_and_saveexec_b64 s[8:9], vcc
	s_cbranch_execz .LBB41_10
; %bb.7:
	s_load_dwordx4 s[12:15], s[4:5], 0x40
	s_load_dwordx2 s[10:11], s[4:5], 0x50
	v_lshlrev_b64 v[10:11], 3, v[8:9]
	s_mov_b64 s[4:5], 0
	v_mov_b32_e32 v17, s1
	s_waitcnt lgkmcnt(0)
	v_mov_b32_e32 v13, s15
	v_add_co_u32_e32 v12, vcc, s14, v10
	v_addc_co_u32_e32 v13, vcc, v13, v11, vcc
	v_mov_b32_e32 v15, s13
	v_add_co_u32_e32 v14, vcc, s12, v10
	v_addc_co_u32_e32 v15, vcc, v15, v11, vcc
	v_pk_mov_b32 v[10:11], 0, 0
	v_mov_b32_e32 v18, s11
.LBB41_8:                               ; =>This Inner Loop Header: Depth=1
	global_load_dwordx2 v[20:21], v[14:15], off
	global_load_dwordx2 v[22:23], v[12:13], off
	s_waitcnt vmcnt(1)
	v_subrev_co_u32_e32 v20, vcc, s2, v20
	v_subb_co_u32_e32 v21, vcc, v21, v17, vcc
	v_lshlrev_b64 v[20:21], 3, v[20:21]
	v_add_co_u32_e32 v20, vcc, s10, v20
	v_addc_co_u32_e32 v21, vcc, v18, v21, vcc
	global_load_dwordx2 v[20:21], v[20:21], off
	v_add_co_u32_e32 v8, vcc, 64, v8
	v_addc_co_u32_e32 v9, vcc, 0, v9, vcc
	v_add_co_u32_e32 v12, vcc, 0x200, v12
	v_addc_co_u32_e32 v13, vcc, 0, v13, vcc
	v_add_co_u32_e32 v14, vcc, 0x200, v14
	v_cmp_ge_i64_e64 s[0:1], v[8:9], v[0:1]
	s_waitcnt vmcnt(1)
	v_mul_f64 v[22:23], v[4:5], v[22:23]
	v_addc_co_u32_e32 v15, vcc, 0, v15, vcc
	s_or_b64 s[4:5], s[0:1], s[4:5]
	s_waitcnt vmcnt(0)
	v_fmac_f64_e32 v[10:11], v[22:23], v[20:21]
	s_andn2_b64 exec, exec, s[4:5]
	s_cbranch_execnz .LBB41_8
; %bb.9:
	s_or_b64 exec, exec, s[4:5]
.LBB41_10:
	s_or_b64 exec, exec, s[8:9]
	v_mov_b32_dpp v0, v10 row_shr:1 row_mask:0xf bank_mask:0xf
	v_mov_b32_dpp v1, v11 row_shr:1 row_mask:0xf bank_mask:0xf
	v_add_f64 v[0:1], v[10:11], v[0:1]
	v_cmp_eq_u32_e32 vcc, 63, v16
	s_nop 0
	v_mov_b32_dpp v4, v0 row_shr:2 row_mask:0xf bank_mask:0xf
	v_mov_b32_dpp v5, v1 row_shr:2 row_mask:0xf bank_mask:0xf
	v_add_f64 v[0:1], v[0:1], v[4:5]
	s_nop 1
	v_mov_b32_dpp v4, v0 row_shr:4 row_mask:0xf bank_mask:0xe
	v_mov_b32_dpp v5, v1 row_shr:4 row_mask:0xf bank_mask:0xe
	v_add_f64 v[0:1], v[0:1], v[4:5]
	;; [unrolled: 4-line block ×3, first 2 shown]
	s_nop 1
	v_mov_b32_dpp v4, v0 row_bcast:15 row_mask:0xa bank_mask:0xf
	v_mov_b32_dpp v5, v1 row_bcast:15 row_mask:0xa bank_mask:0xf
	v_add_f64 v[0:1], v[0:1], v[4:5]
	s_nop 1
	v_mov_b32_dpp v4, v0 row_bcast:31 row_mask:0xc bank_mask:0xf
	v_mov_b32_dpp v5, v1 row_bcast:31 row_mask:0xc bank_mask:0xf
	s_and_b64 exec, exec, vcc
	s_cbranch_execz .LBB41_14
; %bb.11:
	v_add_f64 v[0:1], v[0:1], v[4:5]
	v_cmp_neq_f64_e32 vcc, 0, v[2:3]
	s_and_saveexec_b64 s[0:1], vcc
	s_cbranch_execz .LBB41_13
; %bb.12:
	s_waitcnt lgkmcnt(0)
	v_mov_b32_e32 v5, s7
	v_add_co_u32_e32 v4, vcc, s6, v6
	v_addc_co_u32_e32 v5, vcc, v5, v7, vcc
	global_load_dwordx2 v[4:5], v[4:5], off
	s_waitcnt vmcnt(0)
	v_fmac_f64_e32 v[0:1], v[2:3], v[4:5]
.LBB41_13:
	s_or_b64 exec, exec, s[0:1]
	s_waitcnt lgkmcnt(0)
	v_mov_b32_e32 v3, s7
	v_add_co_u32_e32 v2, vcc, s6, v6
	v_addc_co_u32_e32 v3, vcc, v3, v7, vcc
	global_store_dwordx2 v[2:3], v[0:1], off
.LBB41_14:
	s_endpgm
	.section	.rodata,"a",@progbits
	.p2align	6, 0x0
	.amdhsa_kernel _ZN9rocsparseL41csrmvn_lrb_medium_rows_warp_reduce_kernelILj256ELj64EllddddEEvbT1_lPT2_S3_jNS_24const_host_device_scalarIT6_EEPKS1_PKS2_PKT3_PKT4_S6_PT5_21rocsparse_index_base_b
		.amdhsa_group_segment_fixed_size 0
		.amdhsa_private_segment_fixed_size 0
		.amdhsa_kernarg_size 112
		.amdhsa_user_sgpr_count 6
		.amdhsa_user_sgpr_private_segment_buffer 1
		.amdhsa_user_sgpr_dispatch_ptr 0
		.amdhsa_user_sgpr_queue_ptr 0
		.amdhsa_user_sgpr_kernarg_segment_ptr 1
		.amdhsa_user_sgpr_dispatch_id 0
		.amdhsa_user_sgpr_flat_scratch_init 0
		.amdhsa_user_sgpr_kernarg_preload_length 0
		.amdhsa_user_sgpr_kernarg_preload_offset 0
		.amdhsa_user_sgpr_private_segment_size 0
		.amdhsa_uses_dynamic_stack 0
		.amdhsa_system_sgpr_private_segment_wavefront_offset 0
		.amdhsa_system_sgpr_workgroup_id_x 1
		.amdhsa_system_sgpr_workgroup_id_y 0
		.amdhsa_system_sgpr_workgroup_id_z 0
		.amdhsa_system_sgpr_workgroup_info 0
		.amdhsa_system_vgpr_workitem_id 0
		.amdhsa_next_free_vgpr 24
		.amdhsa_next_free_sgpr 16
		.amdhsa_accum_offset 24
		.amdhsa_reserve_vcc 1
		.amdhsa_reserve_flat_scratch 0
		.amdhsa_float_round_mode_32 0
		.amdhsa_float_round_mode_16_64 0
		.amdhsa_float_denorm_mode_32 3
		.amdhsa_float_denorm_mode_16_64 3
		.amdhsa_dx10_clamp 1
		.amdhsa_ieee_mode 1
		.amdhsa_fp16_overflow 0
		.amdhsa_tg_split 0
		.amdhsa_exception_fp_ieee_invalid_op 0
		.amdhsa_exception_fp_denorm_src 0
		.amdhsa_exception_fp_ieee_div_zero 0
		.amdhsa_exception_fp_ieee_overflow 0
		.amdhsa_exception_fp_ieee_underflow 0
		.amdhsa_exception_fp_ieee_inexact 0
		.amdhsa_exception_int_div_zero 0
	.end_amdhsa_kernel
	.section	.text._ZN9rocsparseL41csrmvn_lrb_medium_rows_warp_reduce_kernelILj256ELj64EllddddEEvbT1_lPT2_S3_jNS_24const_host_device_scalarIT6_EEPKS1_PKS2_PKT3_PKT4_S6_PT5_21rocsparse_index_base_b,"axG",@progbits,_ZN9rocsparseL41csrmvn_lrb_medium_rows_warp_reduce_kernelILj256ELj64EllddddEEvbT1_lPT2_S3_jNS_24const_host_device_scalarIT6_EEPKS1_PKS2_PKT3_PKT4_S6_PT5_21rocsparse_index_base_b,comdat
.Lfunc_end41:
	.size	_ZN9rocsparseL41csrmvn_lrb_medium_rows_warp_reduce_kernelILj256ELj64EllddddEEvbT1_lPT2_S3_jNS_24const_host_device_scalarIT6_EEPKS1_PKS2_PKT3_PKT4_S6_PT5_21rocsparse_index_base_b, .Lfunc_end41-_ZN9rocsparseL41csrmvn_lrb_medium_rows_warp_reduce_kernelILj256ELj64EllddddEEvbT1_lPT2_S3_jNS_24const_host_device_scalarIT6_EEPKS1_PKS2_PKT3_PKT4_S6_PT5_21rocsparse_index_base_b
                                        ; -- End function
	.section	.AMDGPU.csdata,"",@progbits
; Kernel info:
; codeLenInByte = 824
; NumSgprs: 20
; NumVgprs: 24
; NumAgprs: 0
; TotalNumVgprs: 24
; ScratchSize: 0
; MemoryBound: 0
; FloatMode: 240
; IeeeMode: 1
; LDSByteSize: 0 bytes/workgroup (compile time only)
; SGPRBlocks: 2
; VGPRBlocks: 2
; NumSGPRsForWavesPerEU: 20
; NumVGPRsForWavesPerEU: 24
; AccumOffset: 24
; Occupancy: 8
; WaveLimiterHint : 1
; COMPUTE_PGM_RSRC2:SCRATCH_EN: 0
; COMPUTE_PGM_RSRC2:USER_SGPR: 6
; COMPUTE_PGM_RSRC2:TRAP_HANDLER: 0
; COMPUTE_PGM_RSRC2:TGID_X_EN: 1
; COMPUTE_PGM_RSRC2:TGID_Y_EN: 0
; COMPUTE_PGM_RSRC2:TGID_Z_EN: 0
; COMPUTE_PGM_RSRC2:TIDIG_COMP_CNT: 0
; COMPUTE_PGM_RSRC3_GFX90A:ACCUM_OFFSET: 5
; COMPUTE_PGM_RSRC3_GFX90A:TG_SPLIT: 0
	.section	.text._ZN9rocsparseL29csrmvn_lrb_medium_rows_kernelILj256EllddddEEvbT0_PT1_S3_jNS_24const_host_device_scalarIT5_EEPKS1_PKS2_PKT2_PKT3_S6_PT4_21rocsparse_index_base_b,"axG",@progbits,_ZN9rocsparseL29csrmvn_lrb_medium_rows_kernelILj256EllddddEEvbT0_PT1_S3_jNS_24const_host_device_scalarIT5_EEPKS1_PKS2_PKT2_PKT3_S6_PT4_21rocsparse_index_base_b,comdat
	.globl	_ZN9rocsparseL29csrmvn_lrb_medium_rows_kernelILj256EllddddEEvbT0_PT1_S3_jNS_24const_host_device_scalarIT5_EEPKS1_PKS2_PKT2_PKT3_S6_PT4_21rocsparse_index_base_b ; -- Begin function _ZN9rocsparseL29csrmvn_lrb_medium_rows_kernelILj256EllddddEEvbT0_PT1_S3_jNS_24const_host_device_scalarIT5_EEPKS1_PKS2_PKT2_PKT3_S6_PT4_21rocsparse_index_base_b
	.p2align	8
	.type	_ZN9rocsparseL29csrmvn_lrb_medium_rows_kernelILj256EllddddEEvbT0_PT1_S3_jNS_24const_host_device_scalarIT5_EEPKS1_PKS2_PKT2_PKT3_S6_PT4_21rocsparse_index_base_b,@function
_ZN9rocsparseL29csrmvn_lrb_medium_rows_kernelILj256EllddddEEvbT0_PT1_S3_jNS_24const_host_device_scalarIT5_EEPKS1_PKS2_PKT2_PKT3_S6_PT4_21rocsparse_index_base_b: ; @_ZN9rocsparseL29csrmvn_lrb_medium_rows_kernelILj256EllddddEEvbT0_PT1_S3_jNS_24const_host_device_scalarIT5_EEPKS1_PKS2_PKT2_PKT3_S6_PT4_21rocsparse_index_base_b
; %bb.0:
	s_load_dwordx2 s[8:9], s[4:5], 0x60
	s_load_dwordx2 s[10:11], s[4:5], 0x28
	;; [unrolled: 1-line block ×3, first 2 shown]
	s_waitcnt lgkmcnt(0)
	s_bitcmp1_b32 s9, 0
	s_cselect_b64 s[12:13], -1, 0
	s_xor_b64 s[2:3], s[12:13], -1
	s_and_b64 vcc, exec, s[12:13]
	v_pk_mov_b32 v[4:5], s[10:11], s[10:11] op_sel:[0,1]
	s_cbranch_vccnz .LBB42_2
; %bb.1:
	v_pk_mov_b32 v[2:3], s[10:11], s[10:11] op_sel:[0,1]
	flat_load_dwordx2 v[4:5], v[2:3]
.LBB42_2:
	s_andn2_b64 vcc, exec, s[2:3]
	v_pk_mov_b32 v[2:3], s[0:1], s[0:1] op_sel:[0,1]
	s_cbranch_vccnz .LBB42_4
; %bb.3:
	v_pk_mov_b32 v[2:3], s[0:1], s[0:1] op_sel:[0,1]
	flat_load_dwordx2 v[2:3], v[2:3]
.LBB42_4:
	s_waitcnt vmcnt(0) lgkmcnt(0)
	v_cmp_neq_f64_e32 vcc, 0, v[4:5]
	v_cmp_neq_f64_e64 s[0:1], 1.0, v[2:3]
	s_or_b64 s[0:1], vcc, s[0:1]
	s_and_saveexec_b64 s[2:3], s[0:1]
	s_cbranch_execz .LBB42_29
; %bb.5:
	s_load_dword s10, s[4:5], 0x20
	s_load_dwordx4 s[0:3], s[4:5], 0x10
	s_mov_b32 s11, 0
	v_subrev_co_u32_e32 v1, vcc, s8, v0
	s_waitcnt lgkmcnt(0)
	s_lshl_b64 s[12:13], s[10:11], 3
	s_add_u32 s2, s2, s12
	s_addc_u32 s3, s3, s13
	s_load_dwordx2 s[2:3], s[2:3], 0x0
	s_ashr_i32 s7, s6, 31
	s_waitcnt lgkmcnt(0)
	s_lshl_b64 s[2:3], s[2:3], 3
	s_add_u32 s2, s0, s2
	s_addc_u32 s3, s1, s3
	s_lshl_b64 s[0:1], s[6:7], 3
	s_add_u32 s0, s2, s0
	s_addc_u32 s1, s3, s1
	s_load_dwordx2 s[6:7], s[0:1], 0x0
	s_load_dwordx2 s[12:13], s[4:5], 0x30
	;; [unrolled: 1-line block ×3, first 2 shown]
	s_waitcnt lgkmcnt(0)
	s_lshl_b64 s[6:7], s[6:7], 3
	s_add_u32 s0, s12, s6
	s_addc_u32 s1, s13, s7
	s_load_dwordx4 s[12:15], s[0:1], 0x0
	v_subb_co_u32_e64 v7, s[0:1], 0, 0, vcc
	s_mov_b32 s0, s11
	s_waitcnt lgkmcnt(0)
	s_sub_u32 s10, s14, s8
	v_mov_b32_e32 v8, s13
	v_add_co_u32_e32 v6, vcc, s12, v1
	s_subb_u32 s11, s15, 0
	v_addc_co_u32_e32 v7, vcc, v8, v7, vcc
	v_cmp_gt_i64_e32 vcc, s[10:11], v[6:7]
	v_pk_mov_b32 v[8:9], 0, 0
	s_and_saveexec_b64 s[12:13], vcc
	s_cbranch_execz .LBB42_9
; %bb.6:
	s_load_dwordx4 s[16:19], s[4:5], 0x38
	s_load_dwordx2 s[14:15], s[4:5], 0x48
	v_lshlrev_b64 v[8:9], 3, v[6:7]
	s_mov_b64 s[4:5], 0
	s_movk_i32 s9, 0x100
	s_waitcnt lgkmcnt(0)
	v_mov_b32_e32 v1, s19
	v_add_co_u32_e32 v10, vcc, s18, v8
	v_addc_co_u32_e32 v11, vcc, v1, v9, vcc
	v_mov_b32_e32 v1, s17
	v_add_co_u32_e32 v12, vcc, s16, v8
	v_addc_co_u32_e32 v13, vcc, v1, v9, vcc
	v_pk_mov_b32 v[8:9], 0, 0
	v_mov_b32_e32 v1, s0
	v_mov_b32_e32 v14, s15
.LBB42_7:                               ; =>This Inner Loop Header: Depth=1
	global_load_dwordx2 v[16:17], v[12:13], off
	global_load_dwordx2 v[18:19], v[10:11], off
	s_waitcnt vmcnt(1)
	v_subrev_co_u32_e32 v16, vcc, s8, v16
	v_subb_co_u32_e32 v17, vcc, v17, v1, vcc
	v_lshlrev_b64 v[16:17], 3, v[16:17]
	v_add_co_u32_e32 v16, vcc, s14, v16
	v_addc_co_u32_e32 v17, vcc, v14, v17, vcc
	global_load_dwordx2 v[16:17], v[16:17], off
	v_add_co_u32_e32 v6, vcc, s9, v6
	v_addc_co_u32_e32 v7, vcc, 0, v7, vcc
	v_add_co_u32_e32 v10, vcc, 0x800, v10
	v_addc_co_u32_e32 v11, vcc, 0, v11, vcc
	v_add_co_u32_e32 v12, vcc, 0x800, v12
	v_cmp_le_i64_e64 s[0:1], s[10:11], v[6:7]
	s_waitcnt vmcnt(1)
	v_mul_f64 v[18:19], v[4:5], v[18:19]
	v_addc_co_u32_e32 v13, vcc, 0, v13, vcc
	s_or_b64 s[4:5], s[0:1], s[4:5]
	s_waitcnt vmcnt(0)
	v_fmac_f64_e32 v[8:9], v[18:19], v[16:17]
	s_andn2_b64 exec, exec, s[4:5]
	s_cbranch_execnz .LBB42_7
; %bb.8:
	s_or_b64 exec, exec, s[4:5]
.LBB42_9:
	s_or_b64 exec, exec, s[12:13]
	s_movk_i32 s0, 0x80
	v_lshlrev_b32_e32 v1, 3, v0
	v_cmp_gt_u32_e32 vcc, s0, v0
	ds_write_b64 v1, v[8:9]
	s_waitcnt lgkmcnt(0)
	s_barrier
	s_and_saveexec_b64 s[0:1], vcc
	s_cbranch_execz .LBB42_11
; %bb.10:
	ds_read2st64_b64 v[4:7], v1 offset1:2
	s_waitcnt lgkmcnt(0)
	v_add_f64 v[4:5], v[4:5], v[6:7]
	ds_write_b64 v1, v[4:5]
.LBB42_11:
	s_or_b64 exec, exec, s[0:1]
	v_cmp_gt_u32_e32 vcc, 64, v0
	s_waitcnt lgkmcnt(0)
	s_barrier
	s_and_saveexec_b64 s[0:1], vcc
	s_cbranch_execz .LBB42_13
; %bb.12:
	ds_read2st64_b64 v[4:7], v1 offset1:1
	s_waitcnt lgkmcnt(0)
	v_add_f64 v[4:5], v[4:5], v[6:7]
	ds_write_b64 v1, v[4:5]
.LBB42_13:
	s_or_b64 exec, exec, s[0:1]
	v_cmp_gt_u32_e32 vcc, 32, v0
	s_waitcnt lgkmcnt(0)
	s_barrier
	s_and_saveexec_b64 s[0:1], vcc
	s_cbranch_execz .LBB42_15
; %bb.14:
	ds_read2_b64 v[4:7], v1 offset1:32
	s_waitcnt lgkmcnt(0)
	v_add_f64 v[4:5], v[4:5], v[6:7]
	ds_write_b64 v1, v[4:5]
.LBB42_15:
	s_or_b64 exec, exec, s[0:1]
	v_cmp_gt_u32_e32 vcc, 16, v0
	s_waitcnt lgkmcnt(0)
	s_barrier
	s_and_saveexec_b64 s[0:1], vcc
	s_cbranch_execz .LBB42_17
; %bb.16:
	ds_read2_b64 v[4:7], v1 offset1:16
	s_waitcnt lgkmcnt(0)
	v_add_f64 v[4:5], v[4:5], v[6:7]
	ds_write_b64 v1, v[4:5]
.LBB42_17:
	;; [unrolled: 12-line block ×5, first 2 shown]
	s_or_b64 exec, exec, s[0:1]
	v_cmp_eq_u32_e32 vcc, 0, v0
	s_waitcnt lgkmcnt(0)
	s_barrier
	s_and_saveexec_b64 s[0:1], vcc
	s_cbranch_execz .LBB42_25
; %bb.24:
	v_mov_b32_e32 v8, 0
	ds_read_b128 v[4:7], v8
	s_waitcnt lgkmcnt(0)
	v_add_f64 v[0:1], v[4:5], v[6:7]
	ds_write_b64 v8, v[0:1]
.LBB42_25:
	s_or_b64 exec, exec, s[0:1]
	s_waitcnt lgkmcnt(0)
	s_barrier
	s_and_b64 exec, exec, vcc
	s_cbranch_execz .LBB42_29
; %bb.26:
	v_mov_b32_e32 v4, 0
	ds_read_b64 v[0:1], v4
	v_cmp_neq_f64_e32 vcc, 0, v[2:3]
	s_and_saveexec_b64 s[0:1], vcc
	s_cbranch_execz .LBB42_28
; %bb.27:
	s_add_u32 s4, s2, s6
	s_addc_u32 s5, s3, s7
	s_load_dwordx2 s[4:5], s[4:5], 0x0
	s_waitcnt lgkmcnt(0)
	v_fmac_f64_e32 v[0:1], s[4:5], v[2:3]
.LBB42_28:
	s_or_b64 exec, exec, s[0:1]
	s_add_u32 s0, s2, s6
	s_addc_u32 s1, s3, s7
	s_waitcnt lgkmcnt(0)
	global_store_dwordx2 v4, v[0:1], s[0:1]
.LBB42_29:
	s_endpgm
	.section	.rodata,"a",@progbits
	.p2align	6, 0x0
	.amdhsa_kernel _ZN9rocsparseL29csrmvn_lrb_medium_rows_kernelILj256EllddddEEvbT0_PT1_S3_jNS_24const_host_device_scalarIT5_EEPKS1_PKS2_PKT2_PKT3_S6_PT4_21rocsparse_index_base_b
		.amdhsa_group_segment_fixed_size 2048
		.amdhsa_private_segment_fixed_size 0
		.amdhsa_kernarg_size 104
		.amdhsa_user_sgpr_count 6
		.amdhsa_user_sgpr_private_segment_buffer 1
		.amdhsa_user_sgpr_dispatch_ptr 0
		.amdhsa_user_sgpr_queue_ptr 0
		.amdhsa_user_sgpr_kernarg_segment_ptr 1
		.amdhsa_user_sgpr_dispatch_id 0
		.amdhsa_user_sgpr_flat_scratch_init 0
		.amdhsa_user_sgpr_kernarg_preload_length 0
		.amdhsa_user_sgpr_kernarg_preload_offset 0
		.amdhsa_user_sgpr_private_segment_size 0
		.amdhsa_uses_dynamic_stack 0
		.amdhsa_system_sgpr_private_segment_wavefront_offset 0
		.amdhsa_system_sgpr_workgroup_id_x 1
		.amdhsa_system_sgpr_workgroup_id_y 0
		.amdhsa_system_sgpr_workgroup_id_z 0
		.amdhsa_system_sgpr_workgroup_info 0
		.amdhsa_system_vgpr_workitem_id 0
		.amdhsa_next_free_vgpr 20
		.amdhsa_next_free_sgpr 20
		.amdhsa_accum_offset 20
		.amdhsa_reserve_vcc 1
		.amdhsa_reserve_flat_scratch 0
		.amdhsa_float_round_mode_32 0
		.amdhsa_float_round_mode_16_64 0
		.amdhsa_float_denorm_mode_32 3
		.amdhsa_float_denorm_mode_16_64 3
		.amdhsa_dx10_clamp 1
		.amdhsa_ieee_mode 1
		.amdhsa_fp16_overflow 0
		.amdhsa_tg_split 0
		.amdhsa_exception_fp_ieee_invalid_op 0
		.amdhsa_exception_fp_denorm_src 0
		.amdhsa_exception_fp_ieee_div_zero 0
		.amdhsa_exception_fp_ieee_overflow 0
		.amdhsa_exception_fp_ieee_underflow 0
		.amdhsa_exception_fp_ieee_inexact 0
		.amdhsa_exception_int_div_zero 0
	.end_amdhsa_kernel
	.section	.text._ZN9rocsparseL29csrmvn_lrb_medium_rows_kernelILj256EllddddEEvbT0_PT1_S3_jNS_24const_host_device_scalarIT5_EEPKS1_PKS2_PKT2_PKT3_S6_PT4_21rocsparse_index_base_b,"axG",@progbits,_ZN9rocsparseL29csrmvn_lrb_medium_rows_kernelILj256EllddddEEvbT0_PT1_S3_jNS_24const_host_device_scalarIT5_EEPKS1_PKS2_PKT2_PKT3_S6_PT4_21rocsparse_index_base_b,comdat
.Lfunc_end42:
	.size	_ZN9rocsparseL29csrmvn_lrb_medium_rows_kernelILj256EllddddEEvbT0_PT1_S3_jNS_24const_host_device_scalarIT5_EEPKS1_PKS2_PKT2_PKT3_S6_PT4_21rocsparse_index_base_b, .Lfunc_end42-_ZN9rocsparseL29csrmvn_lrb_medium_rows_kernelILj256EllddddEEvbT0_PT1_S3_jNS_24const_host_device_scalarIT5_EEPKS1_PKS2_PKT2_PKT3_S6_PT4_21rocsparse_index_base_b
                                        ; -- End function
	.section	.AMDGPU.csdata,"",@progbits
; Kernel info:
; codeLenInByte = 1052
; NumSgprs: 24
; NumVgprs: 20
; NumAgprs: 0
; TotalNumVgprs: 20
; ScratchSize: 0
; MemoryBound: 0
; FloatMode: 240
; IeeeMode: 1
; LDSByteSize: 2048 bytes/workgroup (compile time only)
; SGPRBlocks: 2
; VGPRBlocks: 2
; NumSGPRsForWavesPerEU: 24
; NumVGPRsForWavesPerEU: 20
; AccumOffset: 20
; Occupancy: 8
; WaveLimiterHint : 1
; COMPUTE_PGM_RSRC2:SCRATCH_EN: 0
; COMPUTE_PGM_RSRC2:USER_SGPR: 6
; COMPUTE_PGM_RSRC2:TRAP_HANDLER: 0
; COMPUTE_PGM_RSRC2:TGID_X_EN: 1
; COMPUTE_PGM_RSRC2:TGID_Y_EN: 0
; COMPUTE_PGM_RSRC2:TGID_Z_EN: 0
; COMPUTE_PGM_RSRC2:TIDIG_COMP_CNT: 0
; COMPUTE_PGM_RSRC3_GFX90A:ACCUM_OFFSET: 4
; COMPUTE_PGM_RSRC3_GFX90A:TG_SPLIT: 0
	.section	.text._ZN9rocsparseL27csrmvn_lrb_long_rows_kernelIllddddEEvbT_PjPT0_S4_jNS_24const_host_device_scalarIT4_EEPKS1_PKS3_PKT1_PKT2_S7_PT3_21rocsparse_index_base_b,"axG",@progbits,_ZN9rocsparseL27csrmvn_lrb_long_rows_kernelIllddddEEvbT_PjPT0_S4_jNS_24const_host_device_scalarIT4_EEPKS1_PKS3_PKT1_PKT2_S7_PT3_21rocsparse_index_base_b,comdat
	.globl	_ZN9rocsparseL27csrmvn_lrb_long_rows_kernelIllddddEEvbT_PjPT0_S4_jNS_24const_host_device_scalarIT4_EEPKS1_PKS3_PKT1_PKT2_S7_PT3_21rocsparse_index_base_b ; -- Begin function _ZN9rocsparseL27csrmvn_lrb_long_rows_kernelIllddddEEvbT_PjPT0_S4_jNS_24const_host_device_scalarIT4_EEPKS1_PKS3_PKT1_PKT2_S7_PT3_21rocsparse_index_base_b
	.p2align	8
	.type	_ZN9rocsparseL27csrmvn_lrb_long_rows_kernelIllddddEEvbT_PjPT0_S4_jNS_24const_host_device_scalarIT4_EEPKS1_PKS3_PKT1_PKT2_S7_PT3_21rocsparse_index_base_b,@function
_ZN9rocsparseL27csrmvn_lrb_long_rows_kernelIllddddEEvbT_PjPT0_S4_jNS_24const_host_device_scalarIT4_EEPKS1_PKS3_PKT1_PKT2_S7_PT3_21rocsparse_index_base_b: ; @_ZN9rocsparseL27csrmvn_lrb_long_rows_kernelIllddddEEvbT_PjPT0_S4_jNS_24const_host_device_scalarIT4_EEPKS1_PKS3_PKT1_PKT2_S7_PT3_21rocsparse_index_base_b
; %bb.0:
	s_load_dwordx2 s[16:17], s[4:5], 0x68
	s_load_dwordx2 s[8:9], s[4:5], 0x30
	;; [unrolled: 1-line block ×3, first 2 shown]
	s_waitcnt lgkmcnt(0)
	s_bitcmp1_b32 s17, 0
	s_cselect_b64 s[10:11], -1, 0
	s_xor_b64 s[2:3], s[10:11], -1
	s_and_b64 vcc, exec, s[10:11]
	v_pk_mov_b32 v[2:3], s[8:9], s[8:9] op_sel:[0,1]
	s_cbranch_vccnz .LBB43_2
; %bb.1:
	v_pk_mov_b32 v[2:3], s[8:9], s[8:9] op_sel:[0,1]
	flat_load_dwordx2 v[2:3], v[2:3]
.LBB43_2:
	s_andn2_b64 vcc, exec, s[2:3]
	v_pk_mov_b32 v[6:7], s[0:1], s[0:1] op_sel:[0,1]
	s_cbranch_vccnz .LBB43_4
; %bb.3:
	v_pk_mov_b32 v[4:5], s[0:1], s[0:1] op_sel:[0,1]
	flat_load_dwordx2 v[6:7], v[4:5]
.LBB43_4:
	s_waitcnt vmcnt(0) lgkmcnt(0)
	v_cmp_neq_f64_e32 vcc, 0, v[2:3]
	v_cmp_neq_f64_e64 s[0:1], 1.0, v[6:7]
	s_or_b64 s[0:1], vcc, s[0:1]
	s_and_saveexec_b64 s[2:3], s[0:1]
	s_cbranch_execz .LBB43_39
; %bb.5:
	s_load_dword s0, s[4:5], 0x28
	s_load_dwordx2 s[2:3], s[4:5], 0x20
	s_mov_b32 s27, 0
	s_mov_b32 s1, s27
	v_pk_mov_b32 v[4:5], 0, 0
	s_waitcnt lgkmcnt(0)
	s_lshl_b64 s[8:9], s[0:1], 3
	s_add_u32 s2, s2, s8
	s_addc_u32 s3, s3, s9
	s_lshl_b32 s0, -1, s0
	s_not_b32 s0, s0
	s_mul_hi_u32 s0, s0, 0x2aaaaaab
	s_lshr_b32 s0, s0, 7
	s_add_i32 s7, s0, 1
	v_cvt_f32_u32_e32 v1, s7
	s_not_b32 s0, s0
	s_load_dwordx2 s[2:3], s[2:3], 0x0
	v_rcp_iflag_f32_e32 v1, v1
	s_load_dwordx4 s[8:11], s[4:5], 0x10
	v_mul_f32_e32 v1, 0x4f7ffffe, v1
	v_cvt_u32_f32_e32 v1, v1
	v_readfirstlane_b32 s12, v1
	s_mul_i32 s0, s0, s12
	s_mul_hi_u32 s0, s12, s0
	s_add_i32 s12, s12, s0
	s_mul_hi_u32 s0, s6, s12
	s_mul_i32 s12, s0, s7
	s_sub_i32 s12, s6, s12
	s_add_i32 s13, s0, 1
	s_sub_i32 s14, s12, s7
	s_cmp_ge_u32 s12, s7
	s_cselect_b32 s0, s13, s0
	s_cselect_b32 s12, s14, s12
	s_add_i32 s13, s0, 1
	s_cmp_ge_u32 s12, s7
	s_cselect_b32 s0, s13, s0
	s_mul_i32 s7, s0, s7
	s_waitcnt lgkmcnt(0)
	s_lshl_b64 s[2:3], s[2:3], 3
	s_sub_i32 s17, s6, s7
	s_add_u32 s2, s10, s2
	s_addc_u32 s3, s11, s3
	s_lshl_b64 s[0:1], s[0:1], 3
	s_add_u32 s0, s2, s0
	s_addc_u32 s1, s3, s1
	s_load_dwordx2 s[2:3], s[0:1], 0x0
	s_load_dwordx2 s[14:15], s[4:5], 0x38
	;; [unrolled: 1-line block ×3, first 2 shown]
	v_or_b32_e32 v1, s17, v0
	v_cmp_eq_u32_e32 vcc, 0, v1
	s_waitcnt lgkmcnt(0)
	s_lshl_b64 s[12:13], s[2:3], 3
	s_add_u32 s0, s14, s12
	s_addc_u32 s1, s15, s13
	s_ashr_i32 s7, s6, 31
	s_sub_u32 s14, s6, s17
	s_subb_u32 s15, s7, 0
	s_lshl_b64 s[6:7], s[6:7], 2
	s_add_u32 s6, s8, s6
	s_addc_u32 s7, s9, s7
	s_load_dwordx4 s[0:3], s[0:1], 0x0
	s_nop 0
	s_load_dword s26, s[6:7], 0x0
	s_and_saveexec_b64 s[18:19], vcc
	s_cbranch_execz .LBB43_9
; %bb.6:
	s_add_u32 s20, s10, s12
	s_addc_u32 s21, s11, s13
	s_load_dwordx2 s[20:21], s[20:21], 0x0
	s_mov_b64 s[22:23], exec
	v_mbcnt_lo_u32_b32 v1, s22, 0
	v_mbcnt_hi_u32_b32 v1, s23, v1
	v_add_f64 v[4:5], v[6:7], -1.0
	v_cmp_eq_u32_e32 vcc, 0, v1
	s_waitcnt vmcnt(0) expcnt(0) lgkmcnt(0)
	s_and_saveexec_b64 s[24:25], vcc
	s_cbranch_execz .LBB43_8
; %bb.7:
	s_lshl_b64 s[28:29], s[14:15], 2
	s_add_u32 s28, s8, s28
	s_addc_u32 s29, s9, s29
	s_bcnt1_i32_b64 s22, s[22:23]
	s_and_b32 s22, s22, 1
	v_mov_b32_e32 v1, 0
	v_mov_b32_e32 v6, s22
	global_atomic_xor v1, v6, s[28:29]
.LBB43_8:
	s_or_b64 exec, exec, s[24:25]
	v_mul_f64 v[4:5], v[4:5], s[20:21]
.LBB43_9:
	s_or_b64 exec, exec, s[18:19]
	s_waitcnt lgkmcnt(0)
	s_sub_u32 s0, s0, s16
	s_mul_i32 s19, s17, 0x300
	s_subb_u32 s1, s1, 0
	s_mul_hi_u32 s18, s17, 0x300
	s_add_u32 s20, s0, s19
	s_addc_u32 s21, s1, s18
	s_sub_u32 s0, s2, s16
	s_subb_u32 s1, s3, 0
	s_add_u32 s2, s20, 0x300
	s_addc_u32 s3, s21, 0
	v_pk_mov_b32 v[6:7], s[0:1], s[0:1] op_sel:[0,1]
	v_cmp_lt_i64_e32 vcc, s[2:3], v[6:7]
	s_and_b64 s[18:19], vcc, exec
	v_mov_b32_e32 v1, s21
	v_add_co_u32_e32 v6, vcc, s20, v0
	s_cselect_b32 s3, s3, s1
	s_cselect_b32 s2, s2, s0
	v_addc_co_u32_e32 v7, vcc, 0, v1, vcc
	v_cmp_gt_i64_e32 vcc, s[2:3], v[6:7]
	s_and_saveexec_b64 s[18:19], vcc
	s_cbranch_execz .LBB43_13
; %bb.10:
	s_load_dwordx4 s[28:31], s[4:5], 0x40
	s_load_dwordx2 s[20:21], s[4:5], 0x50
	v_lshlrev_b64 v[10:11], 3, v[6:7]
	s_mov_b64 s[4:5], 0
	s_waitcnt lgkmcnt(0)
	v_mov_b32_e32 v1, s31
	v_add_co_u32_e32 v8, vcc, s30, v10
	v_addc_co_u32_e32 v9, vcc, v1, v11, vcc
	v_mov_b32_e32 v1, s29
	v_add_co_u32_e32 v10, vcc, s28, v10
	v_addc_co_u32_e32 v11, vcc, v1, v11, vcc
	v_mov_b32_e32 v1, s27
	v_mov_b32_e32 v12, s21
	s_movk_i32 s21, 0x100
.LBB43_11:                              ; =>This Inner Loop Header: Depth=1
	global_load_dwordx2 v[14:15], v[10:11], off
	global_load_dwordx2 v[16:17], v[8:9], off
	s_waitcnt vmcnt(1)
	v_subrev_co_u32_e32 v14, vcc, s16, v14
	v_subb_co_u32_e32 v15, vcc, v15, v1, vcc
	v_lshlrev_b64 v[14:15], 3, v[14:15]
	v_add_co_u32_e32 v14, vcc, s20, v14
	v_addc_co_u32_e32 v15, vcc, v12, v15, vcc
	global_load_dwordx2 v[14:15], v[14:15], off
	v_add_co_u32_e32 v6, vcc, s21, v6
	v_addc_co_u32_e32 v7, vcc, 0, v7, vcc
	v_add_co_u32_e32 v8, vcc, 0x800, v8
	v_addc_co_u32_e32 v9, vcc, 0, v9, vcc
	v_add_co_u32_e32 v10, vcc, 0x800, v10
	v_cmp_le_i64_e64 s[0:1], s[2:3], v[6:7]
	s_waitcnt vmcnt(1)
	v_mul_f64 v[16:17], v[2:3], v[16:17]
	v_addc_co_u32_e32 v11, vcc, 0, v11, vcc
	s_or_b64 s[4:5], s[0:1], s[4:5]
	s_waitcnt vmcnt(0)
	v_fmac_f64_e32 v[4:5], v[16:17], v[14:15]
	s_andn2_b64 exec, exec, s[4:5]
	s_cbranch_execnz .LBB43_11
; %bb.12:
	s_or_b64 exec, exec, s[4:5]
.LBB43_13:
	s_or_b64 exec, exec, s[18:19]
	s_movk_i32 s0, 0x80
	v_lshlrev_b32_e32 v1, 3, v0
	v_cmp_gt_u32_e32 vcc, s0, v0
	ds_write_b64 v1, v[4:5]
	s_waitcnt lgkmcnt(0)
	s_barrier
	s_and_saveexec_b64 s[0:1], vcc
	s_cbranch_execz .LBB43_15
; %bb.14:
	ds_read2st64_b64 v[2:5], v1 offset1:2
	s_waitcnt lgkmcnt(0)
	v_add_f64 v[2:3], v[2:3], v[4:5]
	ds_write_b64 v1, v[2:3]
.LBB43_15:
	s_or_b64 exec, exec, s[0:1]
	v_cmp_gt_u32_e32 vcc, 64, v0
	s_waitcnt lgkmcnt(0)
	s_barrier
	s_and_saveexec_b64 s[0:1], vcc
	s_cbranch_execz .LBB43_17
; %bb.16:
	ds_read2st64_b64 v[2:5], v1 offset1:1
	s_waitcnt lgkmcnt(0)
	v_add_f64 v[2:3], v[2:3], v[4:5]
	ds_write_b64 v1, v[2:3]
.LBB43_17:
	s_or_b64 exec, exec, s[0:1]
	v_cmp_gt_u32_e32 vcc, 32, v0
	s_waitcnt lgkmcnt(0)
	s_barrier
	s_and_saveexec_b64 s[0:1], vcc
	s_cbranch_execz .LBB43_19
; %bb.18:
	ds_read2_b64 v[2:5], v1 offset1:32
	s_waitcnt lgkmcnt(0)
	v_add_f64 v[2:3], v[2:3], v[4:5]
	ds_write_b64 v1, v[2:3]
.LBB43_19:
	s_or_b64 exec, exec, s[0:1]
	v_cmp_gt_u32_e32 vcc, 16, v0
	s_waitcnt lgkmcnt(0)
	s_barrier
	s_and_saveexec_b64 s[0:1], vcc
	s_cbranch_execz .LBB43_21
; %bb.20:
	ds_read2_b64 v[2:5], v1 offset1:16
	s_waitcnt lgkmcnt(0)
	v_add_f64 v[2:3], v[2:3], v[4:5]
	ds_write_b64 v1, v[2:3]
.LBB43_21:
	;; [unrolled: 12-line block ×5, first 2 shown]
	s_or_b64 exec, exec, s[0:1]
	v_cmp_eq_u32_e32 vcc, 0, v0
	s_waitcnt lgkmcnt(0)
	s_barrier
	s_and_saveexec_b64 s[0:1], vcc
	s_cbranch_execz .LBB43_29
; %bb.28:
	v_mov_b32_e32 v4, 0
	ds_read_b128 v[0:3], v4
	s_waitcnt lgkmcnt(0)
	v_add_f64 v[0:1], v[0:1], v[2:3]
	ds_write_b64 v4, v[0:1]
.LBB43_29:
	s_or_b64 exec, exec, s[0:1]
	s_waitcnt lgkmcnt(0)
	s_barrier
	s_and_b64 exec, exec, vcc
	s_cbranch_execz .LBB43_39
; %bb.30:
	s_cmp_eq_u32 s17, 0
	s_cbranch_scc1 .LBB43_36
; %bb.31:
	s_lshl_b64 s[0:1], s[14:15], 2
	s_add_u32 s0, s8, s0
	s_addc_u32 s1, s9, s1
	v_mov_b32_e32 v0, 0
	s_branch .LBB43_33
.LBB43_32:                              ;   in Loop: Header=BB43_33 Depth=1
	s_or_b64 exec, exec, s[2:3]
	s_waitcnt vmcnt(0)
	v_readfirstlane_b32 s2, v1
	s_cmp_eq_u32 s2, s26
	s_cbranch_scc0 .LBB43_35
.LBB43_33:                              ; =>This Inner Loop Header: Depth=1
	v_mbcnt_lo_u32_b32 v1, exec_lo, 0
	v_mbcnt_hi_u32_b32 v1, exec_hi, v1
	v_cmp_eq_u32_e32 vcc, 0, v1
                                        ; implicit-def: $vgpr1
	s_and_saveexec_b64 s[2:3], vcc
	s_cbranch_execz .LBB43_32
; %bb.34:                               ;   in Loop: Header=BB43_33 Depth=1
	global_load_dword v1, v0, s[0:1] glc
	s_branch .LBB43_32
.LBB43_35:
	v_mov_b32_e32 v0, 0
	global_load_dword v1, v0, s[6:7]
	s_waitcnt vmcnt(0)
	v_xor_b32_e32 v1, 1, v1
	global_store_dword v0, v1, s[6:7]
.LBB43_36:
	s_mov_b64 s[2:3], exec
	v_mbcnt_lo_u32_b32 v0, s2, 0
	v_mbcnt_hi_u32_b32 v0, s3, v0
	v_cmp_eq_u32_e32 vcc, 0, v0
	s_and_b64 s[0:1], exec, vcc
	s_mov_b64 exec, s[0:1]
	s_cbranch_execz .LBB43_39
; %bb.37:
	s_add_u32 s0, s10, s12
	s_addc_u32 s1, s11, s13
	v_mov_b32_e32 v6, 0
	global_load_dwordx2 v[2:3], v6, s[0:1]
	ds_read_b64 v[0:1], v6
	s_bcnt1_i32_b64 s2, s[2:3]
	v_cvt_f64_u32_e32 v[4:5], s2
	s_mov_b64 s[2:3], 0
	s_waitcnt lgkmcnt(0)
	v_mul_f64 v[4:5], v[0:1], v[4:5]
.LBB43_38:                              ; =>This Inner Loop Header: Depth=1
	s_waitcnt vmcnt(0)
	v_add_f64 v[0:1], v[2:3], v[4:5]
	global_atomic_cmpswap_x2 v[0:1], v6, v[0:3], s[0:1] glc
	s_waitcnt vmcnt(0)
	v_cmp_eq_u64_e32 vcc, v[0:1], v[2:3]
	s_or_b64 s[2:3], vcc, s[2:3]
	v_pk_mov_b32 v[2:3], v[0:1], v[0:1] op_sel:[0,1]
	s_andn2_b64 exec, exec, s[2:3]
	s_cbranch_execnz .LBB43_38
.LBB43_39:
	s_endpgm
	.section	.rodata,"a",@progbits
	.p2align	6, 0x0
	.amdhsa_kernel _ZN9rocsparseL27csrmvn_lrb_long_rows_kernelIllddddEEvbT_PjPT0_S4_jNS_24const_host_device_scalarIT4_EEPKS1_PKS3_PKT1_PKT2_S7_PT3_21rocsparse_index_base_b
		.amdhsa_group_segment_fixed_size 2048
		.amdhsa_private_segment_fixed_size 0
		.amdhsa_kernarg_size 112
		.amdhsa_user_sgpr_count 6
		.amdhsa_user_sgpr_private_segment_buffer 1
		.amdhsa_user_sgpr_dispatch_ptr 0
		.amdhsa_user_sgpr_queue_ptr 0
		.amdhsa_user_sgpr_kernarg_segment_ptr 1
		.amdhsa_user_sgpr_dispatch_id 0
		.amdhsa_user_sgpr_flat_scratch_init 0
		.amdhsa_user_sgpr_kernarg_preload_length 0
		.amdhsa_user_sgpr_kernarg_preload_offset 0
		.amdhsa_user_sgpr_private_segment_size 0
		.amdhsa_uses_dynamic_stack 0
		.amdhsa_system_sgpr_private_segment_wavefront_offset 0
		.amdhsa_system_sgpr_workgroup_id_x 1
		.amdhsa_system_sgpr_workgroup_id_y 0
		.amdhsa_system_sgpr_workgroup_id_z 0
		.amdhsa_system_sgpr_workgroup_info 0
		.amdhsa_system_vgpr_workitem_id 0
		.amdhsa_next_free_vgpr 18
		.amdhsa_next_free_sgpr 32
		.amdhsa_accum_offset 20
		.amdhsa_reserve_vcc 1
		.amdhsa_reserve_flat_scratch 0
		.amdhsa_float_round_mode_32 0
		.amdhsa_float_round_mode_16_64 0
		.amdhsa_float_denorm_mode_32 3
		.amdhsa_float_denorm_mode_16_64 3
		.amdhsa_dx10_clamp 1
		.amdhsa_ieee_mode 1
		.amdhsa_fp16_overflow 0
		.amdhsa_tg_split 0
		.amdhsa_exception_fp_ieee_invalid_op 0
		.amdhsa_exception_fp_denorm_src 0
		.amdhsa_exception_fp_ieee_div_zero 0
		.amdhsa_exception_fp_ieee_overflow 0
		.amdhsa_exception_fp_ieee_underflow 0
		.amdhsa_exception_fp_ieee_inexact 0
		.amdhsa_exception_int_div_zero 0
	.end_amdhsa_kernel
	.section	.text._ZN9rocsparseL27csrmvn_lrb_long_rows_kernelIllddddEEvbT_PjPT0_S4_jNS_24const_host_device_scalarIT4_EEPKS1_PKS3_PKT1_PKT2_S7_PT3_21rocsparse_index_base_b,"axG",@progbits,_ZN9rocsparseL27csrmvn_lrb_long_rows_kernelIllddddEEvbT_PjPT0_S4_jNS_24const_host_device_scalarIT4_EEPKS1_PKS3_PKT1_PKT2_S7_PT3_21rocsparse_index_base_b,comdat
.Lfunc_end43:
	.size	_ZN9rocsparseL27csrmvn_lrb_long_rows_kernelIllddddEEvbT_PjPT0_S4_jNS_24const_host_device_scalarIT4_EEPKS1_PKS3_PKT1_PKT2_S7_PT3_21rocsparse_index_base_b, .Lfunc_end43-_ZN9rocsparseL27csrmvn_lrb_long_rows_kernelIllddddEEvbT_PjPT0_S4_jNS_24const_host_device_scalarIT4_EEPKS1_PKS3_PKT1_PKT2_S7_PT3_21rocsparse_index_base_b
                                        ; -- End function
	.section	.AMDGPU.csdata,"",@progbits
; Kernel info:
; codeLenInByte = 1564
; NumSgprs: 36
; NumVgprs: 18
; NumAgprs: 0
; TotalNumVgprs: 18
; ScratchSize: 0
; MemoryBound: 0
; FloatMode: 240
; IeeeMode: 1
; LDSByteSize: 2048 bytes/workgroup (compile time only)
; SGPRBlocks: 4
; VGPRBlocks: 2
; NumSGPRsForWavesPerEU: 36
; NumVGPRsForWavesPerEU: 18
; AccumOffset: 20
; Occupancy: 8
; WaveLimiterHint : 1
; COMPUTE_PGM_RSRC2:SCRATCH_EN: 0
; COMPUTE_PGM_RSRC2:USER_SGPR: 6
; COMPUTE_PGM_RSRC2:TRAP_HANDLER: 0
; COMPUTE_PGM_RSRC2:TGID_X_EN: 1
; COMPUTE_PGM_RSRC2:TGID_Y_EN: 0
; COMPUTE_PGM_RSRC2:TGID_Z_EN: 0
; COMPUTE_PGM_RSRC2:TIDIG_COMP_CNT: 0
; COMPUTE_PGM_RSRC3_GFX90A:ACCUM_OFFSET: 4
; COMPUTE_PGM_RSRC3_GFX90A:TG_SPLIT: 0
	.section	.text._ZN9rocsparseL28csrmvn_lrb_short_rows_kernelIii21rocsparse_complex_numIfES2_S2_S2_EEvbT_PT0_S5_jNS_24const_host_device_scalarIT4_EEPKS3_PKS4_PKT1_PKT2_S8_PT3_21rocsparse_index_base_b,"axG",@progbits,_ZN9rocsparseL28csrmvn_lrb_short_rows_kernelIii21rocsparse_complex_numIfES2_S2_S2_EEvbT_PT0_S5_jNS_24const_host_device_scalarIT4_EEPKS3_PKS4_PKT1_PKT2_S8_PT3_21rocsparse_index_base_b,comdat
	.globl	_ZN9rocsparseL28csrmvn_lrb_short_rows_kernelIii21rocsparse_complex_numIfES2_S2_S2_EEvbT_PT0_S5_jNS_24const_host_device_scalarIT4_EEPKS3_PKS4_PKT1_PKT2_S8_PT3_21rocsparse_index_base_b ; -- Begin function _ZN9rocsparseL28csrmvn_lrb_short_rows_kernelIii21rocsparse_complex_numIfES2_S2_S2_EEvbT_PT0_S5_jNS_24const_host_device_scalarIT4_EEPKS3_PKS4_PKT1_PKT2_S8_PT3_21rocsparse_index_base_b
	.p2align	8
	.type	_ZN9rocsparseL28csrmvn_lrb_short_rows_kernelIii21rocsparse_complex_numIfES2_S2_S2_EEvbT_PT0_S5_jNS_24const_host_device_scalarIT4_EEPKS3_PKS4_PKT1_PKT2_S8_PT3_21rocsparse_index_base_b,@function
_ZN9rocsparseL28csrmvn_lrb_short_rows_kernelIii21rocsparse_complex_numIfES2_S2_S2_EEvbT_PT0_S5_jNS_24const_host_device_scalarIT4_EEPKS3_PKS4_PKT1_PKT2_S8_PT3_21rocsparse_index_base_b: ; @_ZN9rocsparseL28csrmvn_lrb_short_rows_kernelIii21rocsparse_complex_numIfES2_S2_S2_EEvbT_PT0_S5_jNS_24const_host_device_scalarIT4_EEPKS3_PKS4_PKT1_PKT2_S8_PT3_21rocsparse_index_base_b
; %bb.0:
	s_load_dwordx2 s[16:17], s[4:5], 0x58
	s_load_dwordx2 s[8:9], s[4:5], 0x20
	;; [unrolled: 1-line block ×3, first 2 shown]
	s_waitcnt lgkmcnt(0)
	s_bitcmp1_b32 s17, 0
	s_cselect_b64 s[0:1], -1, 0
	s_xor_b64 s[10:11], s[0:1], -1
	s_and_b64 vcc, exec, s[0:1]
	v_mov_b32_e32 v4, s8
	s_cbranch_vccnz .LBB44_2
; %bb.1:
	v_pk_mov_b32 v[2:3], s[8:9], s[8:9] op_sel:[0,1]
	flat_load_dword v4, v[2:3]
.LBB44_2:
	v_cndmask_b32_e64 v1, 0, 1, s[10:11]
	v_cmp_ne_u32_e64 s[0:1], 1, v1
	s_andn2_b64 vcc, exec, s[10:11]
	v_mov_b32_e32 v5, s9
	s_cbranch_vccz .LBB44_17
; %bb.3:
	s_and_b64 vcc, exec, s[0:1]
	v_mov_b32_e32 v2, s2
	s_cbranch_vccz .LBB44_18
.LBB44_4:
	s_and_b64 vcc, exec, s[0:1]
	v_mov_b32_e32 v3, s3
	s_cbranch_vccnz .LBB44_6
.LBB44_5:
	v_pk_mov_b32 v[6:7], s[2:3], s[2:3] op_sel:[0,1]
	flat_load_dword v3, v[6:7] offset:4
.LBB44_6:
	s_waitcnt vmcnt(0) lgkmcnt(0)
	v_and_b32_e32 v1, 0x7fffffff, v4
	v_cmp_eq_u32_e32 vcc, 0, v1
	v_cmp_eq_f32_e64 s[0:1], 0, v5
	s_and_b64 s[8:9], vcc, s[0:1]
	s_mov_b64 s[0:1], -1
	s_and_saveexec_b64 s[2:3], s[8:9]
; %bb.7:
	v_and_b32_e32 v1, 0x7fffffff, v3
	v_cmp_neq_f32_e32 vcc, 1.0, v2
	v_cmp_ne_u32_e64 s[0:1], 0, v1
	s_or_b64 s[0:1], vcc, s[0:1]
	s_orn2_b64 s[0:1], s[0:1], exec
; %bb.8:
	s_or_b64 exec, exec, s[2:3]
	s_and_saveexec_b64 s[2:3], s[0:1]
	s_cbranch_execz .LBB44_25
; %bb.9:
	s_load_dword s18, s[4:5], 0x18
	s_load_dwordx4 s[0:3], s[4:5], 0x8
	s_mov_b32 s19, 0
	s_mov_b32 s9, s19
	s_waitcnt lgkmcnt(0)
	s_lshl_b64 s[10:11], s[18:19], 2
	s_add_u32 s10, s2, s10
	s_addc_u32 s11, s3, s11
	s_add_i32 s8, s18, 1
	s_lshl_b64 s[8:9], s[8:9], 2
	s_add_u32 s2, s2, s8
	s_addc_u32 s3, s3, s9
	s_load_dword s17, s[10:11], 0x0
	s_load_dword s7, s[2:3], 0x0
	s_lshl_b32 s22, s6, 8
	s_add_i32 s3, s22, 0x100
	s_waitcnt lgkmcnt(0)
	s_sub_i32 s2, s7, s17
	s_min_u32 s23, s2, s3
	s_cmp_gt_u32 s18, 23
	s_cbranch_scc1 .LBB44_19
; %bb.10:
	s_load_dword s2, s[4:5], 0x0
	s_load_dwordx8 s[8:15], s[4:5], 0x28
	s_lshl_b32 s24, 0x100, s18
	v_bfe_u32 v1, v0, 0, s18
	v_subrev_u32_e32 v12, s16, v1
	s_waitcnt lgkmcnt(0)
	s_bitcmp1_b32 s2, 0
	s_cselect_b64 s[2:3], -1, 0
	v_xor_b32_e32 v6, 0x80000000, v5
	v_mov_b32_e32 v7, v4
	v_lshl_add_u32 v13, v0, 3, 0
	v_mov_b32_e32 v9, 0
	s_branch .LBB44_12
.LBB44_11:                              ;   in Loop: Header=BB44_12 Depth=1
	s_or_b64 exec, exec, s[6:7]
	s_addk_i32 s19, 0x100
	s_cmp_ge_u32 s19, s24
	v_add_u32_e32 v13, 0x800, v13
	s_cbranch_scc1 .LBB44_19
.LBB44_12:                              ; =>This Inner Loop Header: Depth=1
	v_add_u32_e32 v8, s19, v0
	v_lshrrev_b32_e32 v8, s18, v8
	v_add_u32_e32 v8, s22, v8
	v_cmp_gt_u32_e32 vcc, s23, v8
	s_and_saveexec_b64 s[6:7], vcc
	s_cbranch_execz .LBB44_11
; %bb.13:                               ;   in Loop: Header=BB44_12 Depth=1
	v_add_u32_e32 v8, s17, v8
	v_lshlrev_b64 v[10:11], 2, v[8:9]
	v_mov_b32_e32 v8, s1
	v_add_co_u32_e32 v10, vcc, s0, v10
	v_addc_co_u32_e32 v11, vcc, v8, v11, vcc
	global_load_dword v10, v[10:11], off
	v_mov_b32_e32 v8, s9
	s_waitcnt vmcnt(0)
	v_ashrrev_i32_e32 v11, 31, v10
	v_lshlrev_b64 v[10:11], 2, v[10:11]
	v_add_co_u32_e32 v10, vcc, s8, v10
	v_addc_co_u32_e32 v11, vcc, v8, v11, vcc
	global_load_dwordx2 v[10:11], v[10:11], off
	s_waitcnt vmcnt(0)
	v_sub_u32_e32 v8, v11, v10
	v_cmp_ge_u32_e32 vcc, v1, v8
	s_and_saveexec_b64 s[20:21], vcc
	s_xor_b64 s[20:21], exec, s[20:21]
	s_cbranch_execz .LBB44_15
; %bb.14:                               ;   in Loop: Header=BB44_12 Depth=1
	ds_write2_b32 v13, v9, v9 offset1:1
                                        ; implicit-def: $vgpr10_vgpr11
.LBB44_15:                              ;   in Loop: Header=BB44_12 Depth=1
	s_andn2_saveexec_b64 s[20:21], s[20:21]
	s_cbranch_execz .LBB44_11
; %bb.16:                               ;   in Loop: Header=BB44_12 Depth=1
	v_add_u32_e32 v8, v12, v10
	v_lshlrev_b64 v[10:11], 2, v[8:9]
	v_mov_b32_e32 v14, s11
	v_add_co_u32_e32 v10, vcc, s10, v10
	v_addc_co_u32_e32 v11, vcc, v14, v11, vcc
	global_load_dword v14, v[10:11], off
	v_lshlrev_b64 v[10:11], 3, v[8:9]
	v_mov_b32_e32 v15, s13
	v_add_co_u32_e32 v10, vcc, s12, v10
	v_addc_co_u32_e32 v11, vcc, v15, v11, vcc
	global_load_dwordx2 v[10:11], v[10:11], off
	v_mov_b32_e32 v16, s15
	s_waitcnt vmcnt(1)
	v_subrev_u32_e32 v14, s16, v14
	v_ashrrev_i32_e32 v15, 31, v14
	v_lshlrev_b64 v[14:15], 3, v[14:15]
	v_add_co_u32_e32 v14, vcc, s14, v14
	v_addc_co_u32_e32 v15, vcc, v16, v15, vcc
	global_load_dwordx2 v[14:15], v[14:15], off
	s_waitcnt vmcnt(1)
	v_cndmask_b32_e64 v8, v11, -v11, s[2:3]
	v_pk_mul_f32 v[16:17], v[8:9], v[6:7] op_sel_hi:[0,1]
	v_pk_fma_f32 v[10:11], v[4:5], v[10:11], v[16:17] op_sel_hi:[1,0,1]
	s_waitcnt vmcnt(0)
	v_pk_mul_f32 v[16:17], v[14:15], v[10:11] op_sel:[1,1] op_sel_hi:[1,0] neg_lo:[0,1]
	v_pk_fma_f32 v[10:11], v[10:11], v[14:15], v[16:17] op_sel_hi:[1,0,1]
	ds_write2_b32 v13, v10, v11 offset1:1
	s_branch .LBB44_11
.LBB44_17:
	v_pk_mov_b32 v[2:3], s[8:9], s[8:9] op_sel:[0,1]
	flat_load_dword v5, v[2:3] offset:4
	s_and_b64 vcc, exec, s[0:1]
	v_mov_b32_e32 v2, s2
	s_cbranch_vccnz .LBB44_4
.LBB44_18:
	v_pk_mov_b32 v[2:3], s[2:3], s[2:3] op_sel:[0,1]
	flat_load_dword v2, v[2:3]
	s_and_b64 vcc, exec, s[0:1]
	v_mov_b32_e32 v3, s3
	s_cbranch_vccz .LBB44_5
	s_branch .LBB44_6
.LBB44_19:
	s_sub_i32 s2, s23, s22
	v_cmp_gt_u32_e32 vcc, s2, v0
	s_waitcnt lgkmcnt(0)
	s_barrier
	s_and_b64 exec, exec, vcc
	s_cbranch_execz .LBB44_25
; %bb.20:
	s_add_i32 s17, s17, s22
	v_add_u32_e32 v4, s17, v0
	v_mov_b32_e32 v5, 0
	v_lshlrev_b64 v[6:7], 2, v[4:5]
	v_mov_b32_e32 v1, s1
	v_add_co_u32_e32 v6, vcc, s0, v6
	v_addc_co_u32_e32 v7, vcc, v1, v7, vcc
	global_load_dword v6, v[6:7], off
	s_load_dwordx2 s[2:3], s[4:5], 0x50
	v_lshlrev_b32_e32 v0, s18, v0
	v_lshl_add_u32 v0, v0, 3, 0
	s_mov_b32 s0, 1
	v_mov_b32_e32 v4, v5
.LBB44_21:                              ; =>This Inner Loop Header: Depth=1
	ds_read2_b32 v[8:9], v0 offset1:1
	s_lshr_b32 s1, s0, s18
	s_add_i32 s0, s0, 1
	v_add_u32_e32 v0, 8, v0
	s_cmp_lg_u32 s1, 0
	s_waitcnt lgkmcnt(0)
	v_pk_add_f32 v[4:5], v[4:5], v[8:9]
	s_cbranch_scc0 .LBB44_21
; %bb.22:
	v_and_b32_e32 v0, 0x7fffffff, v2
	v_cmp_ne_u32_e32 vcc, 0, v0
	v_cmp_neq_f32_e64 s[0:1], 0, v3
	s_waitcnt vmcnt(0)
	v_ashrrev_i32_e32 v7, 31, v6
	s_or_b64 s[4:5], vcc, s[0:1]
	v_lshlrev_b64 v[0:1], 3, v[6:7]
	s_and_saveexec_b64 s[0:1], s[4:5]
	s_cbranch_execz .LBB44_24
; %bb.23:
	v_mov_b32_e32 v7, s3
	v_add_co_u32_e32 v6, vcc, s2, v0
	v_addc_co_u32_e32 v7, vcc, v7, v1, vcc
	global_load_dwordx2 v[6:7], v[6:7], off
	v_xor_b32_e32 v8, 0x80000000, v3
	v_mov_b32_e32 v9, v2
	s_waitcnt vmcnt(0)
	v_pk_fma_f32 v[4:5], v[2:3], v[6:7], v[4:5] op_sel_hi:[1,0,1]
	v_pk_fma_f32 v[4:5], v[8:9], v[6:7], v[4:5] op_sel:[0,1,0]
.LBB44_24:
	s_or_b64 exec, exec, s[0:1]
	v_mov_b32_e32 v2, s3
	v_add_co_u32_e32 v0, vcc, s2, v0
	v_addc_co_u32_e32 v1, vcc, v2, v1, vcc
	global_store_dwordx2 v[0:1], v[4:5], off
.LBB44_25:
	s_endpgm
	.section	.rodata,"a",@progbits
	.p2align	6, 0x0
	.amdhsa_kernel _ZN9rocsparseL28csrmvn_lrb_short_rows_kernelIii21rocsparse_complex_numIfES2_S2_S2_EEvbT_PT0_S5_jNS_24const_host_device_scalarIT4_EEPKS3_PKS4_PKT1_PKT2_S8_PT3_21rocsparse_index_base_b
		.amdhsa_group_segment_fixed_size 0
		.amdhsa_private_segment_fixed_size 0
		.amdhsa_kernarg_size 96
		.amdhsa_user_sgpr_count 6
		.amdhsa_user_sgpr_private_segment_buffer 1
		.amdhsa_user_sgpr_dispatch_ptr 0
		.amdhsa_user_sgpr_queue_ptr 0
		.amdhsa_user_sgpr_kernarg_segment_ptr 1
		.amdhsa_user_sgpr_dispatch_id 0
		.amdhsa_user_sgpr_flat_scratch_init 0
		.amdhsa_user_sgpr_kernarg_preload_length 0
		.amdhsa_user_sgpr_kernarg_preload_offset 0
		.amdhsa_user_sgpr_private_segment_size 0
		.amdhsa_uses_dynamic_stack 0
		.amdhsa_system_sgpr_private_segment_wavefront_offset 0
		.amdhsa_system_sgpr_workgroup_id_x 1
		.amdhsa_system_sgpr_workgroup_id_y 0
		.amdhsa_system_sgpr_workgroup_id_z 0
		.amdhsa_system_sgpr_workgroup_info 0
		.amdhsa_system_vgpr_workitem_id 0
		.amdhsa_next_free_vgpr 18
		.amdhsa_next_free_sgpr 25
		.amdhsa_accum_offset 20
		.amdhsa_reserve_vcc 1
		.amdhsa_reserve_flat_scratch 0
		.amdhsa_float_round_mode_32 0
		.amdhsa_float_round_mode_16_64 0
		.amdhsa_float_denorm_mode_32 3
		.amdhsa_float_denorm_mode_16_64 3
		.amdhsa_dx10_clamp 1
		.amdhsa_ieee_mode 1
		.amdhsa_fp16_overflow 0
		.amdhsa_tg_split 0
		.amdhsa_exception_fp_ieee_invalid_op 0
		.amdhsa_exception_fp_denorm_src 0
		.amdhsa_exception_fp_ieee_div_zero 0
		.amdhsa_exception_fp_ieee_overflow 0
		.amdhsa_exception_fp_ieee_underflow 0
		.amdhsa_exception_fp_ieee_inexact 0
		.amdhsa_exception_int_div_zero 0
	.end_amdhsa_kernel
	.section	.text._ZN9rocsparseL28csrmvn_lrb_short_rows_kernelIii21rocsparse_complex_numIfES2_S2_S2_EEvbT_PT0_S5_jNS_24const_host_device_scalarIT4_EEPKS3_PKS4_PKT1_PKT2_S8_PT3_21rocsparse_index_base_b,"axG",@progbits,_ZN9rocsparseL28csrmvn_lrb_short_rows_kernelIii21rocsparse_complex_numIfES2_S2_S2_EEvbT_PT0_S5_jNS_24const_host_device_scalarIT4_EEPKS3_PKS4_PKT1_PKT2_S8_PT3_21rocsparse_index_base_b,comdat
.Lfunc_end44:
	.size	_ZN9rocsparseL28csrmvn_lrb_short_rows_kernelIii21rocsparse_complex_numIfES2_S2_S2_EEvbT_PT0_S5_jNS_24const_host_device_scalarIT4_EEPKS3_PKS4_PKT1_PKT2_S8_PT3_21rocsparse_index_base_b, .Lfunc_end44-_ZN9rocsparseL28csrmvn_lrb_short_rows_kernelIii21rocsparse_complex_numIfES2_S2_S2_EEvbT_PT0_S5_jNS_24const_host_device_scalarIT4_EEPKS3_PKS4_PKT1_PKT2_S8_PT3_21rocsparse_index_base_b
                                        ; -- End function
	.section	.AMDGPU.csdata,"",@progbits
; Kernel info:
; codeLenInByte = 1028
; NumSgprs: 29
; NumVgprs: 18
; NumAgprs: 0
; TotalNumVgprs: 18
; ScratchSize: 0
; MemoryBound: 0
; FloatMode: 240
; IeeeMode: 1
; LDSByteSize: 0 bytes/workgroup (compile time only)
; SGPRBlocks: 3
; VGPRBlocks: 2
; NumSGPRsForWavesPerEU: 29
; NumVGPRsForWavesPerEU: 18
; AccumOffset: 20
; Occupancy: 8
; WaveLimiterHint : 1
; COMPUTE_PGM_RSRC2:SCRATCH_EN: 0
; COMPUTE_PGM_RSRC2:USER_SGPR: 6
; COMPUTE_PGM_RSRC2:TRAP_HANDLER: 0
; COMPUTE_PGM_RSRC2:TGID_X_EN: 1
; COMPUTE_PGM_RSRC2:TGID_Y_EN: 0
; COMPUTE_PGM_RSRC2:TGID_Z_EN: 0
; COMPUTE_PGM_RSRC2:TIDIG_COMP_CNT: 0
; COMPUTE_PGM_RSRC3_GFX90A:ACCUM_OFFSET: 4
; COMPUTE_PGM_RSRC3_GFX90A:TG_SPLIT: 0
	.section	.text._ZN9rocsparseL30csrmvn_lrb_short_rows_2_kernelIii21rocsparse_complex_numIfES2_S2_S2_EEvbT_PT0_S5_jNS_24const_host_device_scalarIT4_EEPKS3_PKS4_PKT1_PKT2_S8_PT3_21rocsparse_index_base_b,"axG",@progbits,_ZN9rocsparseL30csrmvn_lrb_short_rows_2_kernelIii21rocsparse_complex_numIfES2_S2_S2_EEvbT_PT0_S5_jNS_24const_host_device_scalarIT4_EEPKS3_PKS4_PKT1_PKT2_S8_PT3_21rocsparse_index_base_b,comdat
	.globl	_ZN9rocsparseL30csrmvn_lrb_short_rows_2_kernelIii21rocsparse_complex_numIfES2_S2_S2_EEvbT_PT0_S5_jNS_24const_host_device_scalarIT4_EEPKS3_PKS4_PKT1_PKT2_S8_PT3_21rocsparse_index_base_b ; -- Begin function _ZN9rocsparseL30csrmvn_lrb_short_rows_2_kernelIii21rocsparse_complex_numIfES2_S2_S2_EEvbT_PT0_S5_jNS_24const_host_device_scalarIT4_EEPKS3_PKS4_PKT1_PKT2_S8_PT3_21rocsparse_index_base_b
	.p2align	8
	.type	_ZN9rocsparseL30csrmvn_lrb_short_rows_2_kernelIii21rocsparse_complex_numIfES2_S2_S2_EEvbT_PT0_S5_jNS_24const_host_device_scalarIT4_EEPKS3_PKS4_PKT1_PKT2_S8_PT3_21rocsparse_index_base_b,@function
_ZN9rocsparseL30csrmvn_lrb_short_rows_2_kernelIii21rocsparse_complex_numIfES2_S2_S2_EEvbT_PT0_S5_jNS_24const_host_device_scalarIT4_EEPKS3_PKS4_PKT1_PKT2_S8_PT3_21rocsparse_index_base_b: ; @_ZN9rocsparseL30csrmvn_lrb_short_rows_2_kernelIii21rocsparse_complex_numIfES2_S2_S2_EEvbT_PT0_S5_jNS_24const_host_device_scalarIT4_EEPKS3_PKS4_PKT1_PKT2_S8_PT3_21rocsparse_index_base_b
; %bb.0:
	s_load_dwordx2 s[20:21], s[4:5], 0x58
	s_load_dwordx2 s[8:9], s[4:5], 0x20
	;; [unrolled: 1-line block ×3, first 2 shown]
	s_waitcnt lgkmcnt(0)
	s_bitcmp1_b32 s21, 0
	s_cselect_b64 s[0:1], -1, 0
	s_xor_b64 s[10:11], s[0:1], -1
	s_and_b64 vcc, exec, s[0:1]
	v_mov_b32_e32 v4, s8
	s_cbranch_vccnz .LBB45_2
; %bb.1:
	v_pk_mov_b32 v[2:3], s[8:9], s[8:9] op_sel:[0,1]
	flat_load_dword v4, v[2:3]
.LBB45_2:
	v_cndmask_b32_e64 v1, 0, 1, s[10:11]
	v_cmp_ne_u32_e64 s[0:1], 1, v1
	s_andn2_b64 vcc, exec, s[10:11]
	v_mov_b32_e32 v5, s9
	s_cbranch_vccz .LBB45_39
; %bb.3:
	s_and_b64 vcc, exec, s[0:1]
	v_mov_b32_e32 v2, s2
	s_cbranch_vccz .LBB45_40
.LBB45_4:
	s_and_b64 vcc, exec, s[0:1]
	v_mov_b32_e32 v3, s3
	s_cbranch_vccnz .LBB45_6
.LBB45_5:
	v_pk_mov_b32 v[6:7], s[2:3], s[2:3] op_sel:[0,1]
	flat_load_dword v3, v[6:7] offset:4
.LBB45_6:
	s_waitcnt vmcnt(0) lgkmcnt(0)
	v_and_b32_e32 v1, 0x7fffffff, v4
	v_cmp_eq_u32_e32 vcc, 0, v1
	v_cmp_eq_f32_e64 s[0:1], 0, v5
	s_and_b64 s[8:9], vcc, s[0:1]
	s_mov_b64 s[0:1], -1
	s_and_saveexec_b64 s[2:3], s[8:9]
; %bb.7:
	v_and_b32_e32 v1, 0x7fffffff, v3
	v_cmp_neq_f32_e32 vcc, 1.0, v2
	v_cmp_ne_u32_e64 s[0:1], 0, v1
	s_or_b64 s[0:1], vcc, s[0:1]
	s_orn2_b64 s[0:1], s[0:1], exec
; %bb.8:
	s_or_b64 exec, exec, s[2:3]
	s_and_saveexec_b64 s[2:3], s[0:1]
	s_cbranch_execz .LBB45_38
; %bb.9:
	s_load_dword s2, s[4:5], 0x18
	s_load_dword s0, s[4:5], 0x0
	s_load_dwordx4 s[16:19], s[4:5], 0x8
	s_mov_b32 s3, 0
	s_waitcnt lgkmcnt(0)
	v_lshrrev_b32_e32 v6, s2, v0
	s_bitcmp1_b32 s0, 0
	s_cselect_b64 s[0:1], -1, 0
	s_lshl_b64 s[8:9], s[2:3], 2
	s_add_u32 s22, s18, s8
	s_addc_u32 s23, s19, s9
	s_add_i32 s8, s2, 1
	s_mov_b32 s9, s3
	s_lshl_b64 s[8:9], s[8:9], 2
	s_add_u32 s18, s18, s8
	s_addc_u32 s19, s19, s9
	s_load_dword s21, s[22:23], 0x0
	s_load_dword s3, s[18:19], 0x0
	s_load_dwordx8 s[8:15], s[4:5], 0x28
	v_bfe_u32 v10, v0, 0, s2
	v_subrev_u32_e32 v1, s20, v10
	s_waitcnt lgkmcnt(0)
	s_sub_i32 s7, s3, s21
	s_lshr_b32 s3, 0x400, s2
	s_mul_i32 s22, s3, s6
	s_add_i32 s6, s22, s3
	s_min_u32 s23, s7, s6
	v_add_u32_e32 v6, s22, v6
	v_cmp_gt_u32_e32 vcc, s23, v6
	s_and_saveexec_b64 s[6:7], vcc
	s_cbranch_execz .LBB45_14
; %bb.10:
	v_add_u32_e32 v6, s21, v6
	v_mov_b32_e32 v7, 0
	v_lshlrev_b64 v[8:9], 2, v[6:7]
	v_mov_b32_e32 v6, s17
	v_add_co_u32_e32 v8, vcc, s16, v8
	v_addc_co_u32_e32 v9, vcc, v6, v9, vcc
	global_load_dword v8, v[8:9], off
	v_mov_b32_e32 v6, s9
	s_waitcnt vmcnt(0)
	v_ashrrev_i32_e32 v9, 31, v8
	v_lshlrev_b64 v[8:9], 2, v[8:9]
	v_add_co_u32_e32 v8, vcc, s8, v8
	v_addc_co_u32_e32 v9, vcc, v6, v9, vcc
	global_load_dwordx2 v[8:9], v[8:9], off
	s_waitcnt vmcnt(0)
	v_sub_u32_e32 v6, v9, v8
	v_cmp_ge_u32_e32 vcc, v10, v6
	s_and_saveexec_b64 s[18:19], vcc
	s_xor_b64 s[18:19], exec, s[18:19]
	s_cbranch_execz .LBB45_12
; %bb.11:
	v_lshlrev_b32_e32 v8, 3, v0
	v_mov_b32_e32 v6, v7
	ds_write_b64 v8, v[6:7]
                                        ; implicit-def: $vgpr8_vgpr9
.LBB45_12:
	s_andn2_saveexec_b64 s[18:19], s[18:19]
	s_cbranch_execz .LBB45_14
; %bb.13:
	v_add_u32_e32 v6, v8, v1
	v_mov_b32_e32 v7, 0
	v_lshlrev_b64 v[8:9], 2, v[6:7]
	v_mov_b32_e32 v11, s11
	v_add_co_u32_e32 v8, vcc, s10, v8
	v_addc_co_u32_e32 v9, vcc, v11, v9, vcc
	global_load_dword v8, v[8:9], off
	v_lshlrev_b64 v[6:7], 3, v[6:7]
	v_mov_b32_e32 v9, s13
	v_add_co_u32_e32 v6, vcc, s12, v6
	v_addc_co_u32_e32 v7, vcc, v9, v7, vcc
	global_load_dwordx2 v[6:7], v[6:7], off
	v_mov_b32_e32 v11, s15
	v_xor_b32_e32 v14, 0x80000000, v5
	v_mov_b32_e32 v15, v4
	s_waitcnt vmcnt(1)
	v_subrev_u32_e32 v8, s20, v8
	v_ashrrev_i32_e32 v9, 31, v8
	v_lshlrev_b64 v[8:9], 3, v[8:9]
	v_add_co_u32_e32 v8, vcc, s14, v8
	v_addc_co_u32_e32 v9, vcc, v11, v9, vcc
	global_load_dwordx2 v[8:9], v[8:9], off
	s_waitcnt vmcnt(1)
	v_cndmask_b32_e64 v12, v7, -v7, s[0:1]
	v_pk_mul_f32 v[12:13], v[12:13], v[14:15] op_sel_hi:[0,1]
	v_pk_fma_f32 v[6:7], v[4:5], v[6:7], v[12:13] op_sel_hi:[1,0,1]
	v_lshlrev_b32_e32 v11, 3, v0
	s_waitcnt vmcnt(0)
	v_pk_mul_f32 v[12:13], v[8:9], v[6:7] op_sel:[1,1] op_sel_hi:[1,0] neg_lo:[0,1]
	v_pk_fma_f32 v[6:7], v[6:7], v[8:9], v[12:13] op_sel_hi:[1,0,1]
	ds_write_b64 v11, v[6:7]
.LBB45_14:
	s_or_b64 exec, exec, s[6:7]
	v_or_b32_e32 v6, 0x100, v0
	v_lshrrev_b32_e32 v6, s2, v6
	v_add_u32_e32 v6, s22, v6
	v_cmp_gt_u32_e32 vcc, s23, v6
	s_and_saveexec_b64 s[6:7], vcc
	s_cbranch_execz .LBB45_19
; %bb.15:
	v_add_u32_e32 v6, s21, v6
	v_mov_b32_e32 v7, 0
	v_lshlrev_b64 v[8:9], 2, v[6:7]
	v_mov_b32_e32 v6, s17
	v_add_co_u32_e32 v8, vcc, s16, v8
	v_addc_co_u32_e32 v9, vcc, v6, v9, vcc
	global_load_dword v8, v[8:9], off
	v_mov_b32_e32 v6, s9
	s_waitcnt vmcnt(0)
	v_ashrrev_i32_e32 v9, 31, v8
	v_lshlrev_b64 v[8:9], 2, v[8:9]
	v_add_co_u32_e32 v8, vcc, s8, v8
	v_addc_co_u32_e32 v9, vcc, v6, v9, vcc
	global_load_dwordx2 v[8:9], v[8:9], off
	s_waitcnt vmcnt(0)
	v_sub_u32_e32 v6, v9, v8
	v_cmp_ge_u32_e32 vcc, v10, v6
	s_and_saveexec_b64 s[18:19], vcc
	s_xor_b64 s[18:19], exec, s[18:19]
	s_cbranch_execz .LBB45_17
; %bb.16:
	v_lshlrev_b32_e32 v8, 3, v0
	v_mov_b32_e32 v6, v7
	ds_write_b64 v8, v[6:7] offset:2048
                                        ; implicit-def: $vgpr8_vgpr9
.LBB45_17:
	s_andn2_saveexec_b64 s[18:19], s[18:19]
	s_cbranch_execz .LBB45_19
; %bb.18:
	v_add_u32_e32 v6, v8, v1
	v_mov_b32_e32 v7, 0
	v_lshlrev_b64 v[8:9], 2, v[6:7]
	v_mov_b32_e32 v11, s11
	v_add_co_u32_e32 v8, vcc, s10, v8
	v_addc_co_u32_e32 v9, vcc, v11, v9, vcc
	global_load_dword v8, v[8:9], off
	v_lshlrev_b64 v[6:7], 3, v[6:7]
	v_mov_b32_e32 v9, s13
	v_add_co_u32_e32 v6, vcc, s12, v6
	v_addc_co_u32_e32 v7, vcc, v9, v7, vcc
	global_load_dwordx2 v[6:7], v[6:7], off
	v_mov_b32_e32 v11, s15
	v_xor_b32_e32 v14, 0x80000000, v5
	v_mov_b32_e32 v15, v4
	s_waitcnt vmcnt(1)
	v_subrev_u32_e32 v8, s20, v8
	v_ashrrev_i32_e32 v9, 31, v8
	v_lshlrev_b64 v[8:9], 3, v[8:9]
	v_add_co_u32_e32 v8, vcc, s14, v8
	v_addc_co_u32_e32 v9, vcc, v11, v9, vcc
	global_load_dwordx2 v[8:9], v[8:9], off
	s_waitcnt vmcnt(1)
	v_cndmask_b32_e64 v12, v7, -v7, s[0:1]
	v_pk_mul_f32 v[12:13], v[12:13], v[14:15] op_sel_hi:[0,1]
	v_pk_fma_f32 v[6:7], v[4:5], v[6:7], v[12:13] op_sel_hi:[1,0,1]
	v_lshlrev_b32_e32 v11, 3, v0
	s_waitcnt vmcnt(0)
	v_pk_mul_f32 v[12:13], v[8:9], v[6:7] op_sel:[1,1] op_sel_hi:[1,0] neg_lo:[0,1]
	v_pk_fma_f32 v[6:7], v[6:7], v[8:9], v[12:13] op_sel_hi:[1,0,1]
	ds_write_b64 v11, v[6:7] offset:2048
.LBB45_19:
	s_or_b64 exec, exec, s[6:7]
	v_or_b32_e32 v6, 0x200, v0
	v_lshrrev_b32_e32 v6, s2, v6
	v_add_u32_e32 v6, s22, v6
	v_cmp_gt_u32_e32 vcc, s23, v6
	s_and_saveexec_b64 s[6:7], vcc
	s_cbranch_execz .LBB45_24
; %bb.20:
	v_add_u32_e32 v6, s21, v6
	v_mov_b32_e32 v7, 0
	v_lshlrev_b64 v[8:9], 2, v[6:7]
	v_mov_b32_e32 v6, s17
	v_add_co_u32_e32 v8, vcc, s16, v8
	v_addc_co_u32_e32 v9, vcc, v6, v9, vcc
	global_load_dword v8, v[8:9], off
	v_mov_b32_e32 v6, s9
	s_waitcnt vmcnt(0)
	v_ashrrev_i32_e32 v9, 31, v8
	v_lshlrev_b64 v[8:9], 2, v[8:9]
	v_add_co_u32_e32 v8, vcc, s8, v8
	v_addc_co_u32_e32 v9, vcc, v6, v9, vcc
	global_load_dwordx2 v[8:9], v[8:9], off
	s_waitcnt vmcnt(0)
	v_sub_u32_e32 v6, v9, v8
	v_cmp_ge_u32_e32 vcc, v10, v6
	s_and_saveexec_b64 s[18:19], vcc
	s_xor_b64 s[18:19], exec, s[18:19]
	s_cbranch_execz .LBB45_22
; %bb.21:
	v_lshlrev_b32_e32 v8, 3, v0
	v_mov_b32_e32 v6, v7
	ds_write_b64 v8, v[6:7] offset:4096
                                        ; implicit-def: $vgpr8_vgpr9
.LBB45_22:
	s_andn2_saveexec_b64 s[18:19], s[18:19]
	s_cbranch_execz .LBB45_24
; %bb.23:
	v_add_u32_e32 v6, v8, v1
	v_mov_b32_e32 v7, 0
	v_lshlrev_b64 v[8:9], 2, v[6:7]
	v_mov_b32_e32 v11, s11
	v_add_co_u32_e32 v8, vcc, s10, v8
	v_addc_co_u32_e32 v9, vcc, v11, v9, vcc
	global_load_dword v8, v[8:9], off
	v_lshlrev_b64 v[6:7], 3, v[6:7]
	v_mov_b32_e32 v9, s13
	v_add_co_u32_e32 v6, vcc, s12, v6
	v_addc_co_u32_e32 v7, vcc, v9, v7, vcc
	global_load_dwordx2 v[6:7], v[6:7], off
	v_mov_b32_e32 v11, s15
	v_xor_b32_e32 v14, 0x80000000, v5
	v_mov_b32_e32 v15, v4
	s_waitcnt vmcnt(1)
	v_subrev_u32_e32 v8, s20, v8
	v_ashrrev_i32_e32 v9, 31, v8
	v_lshlrev_b64 v[8:9], 3, v[8:9]
	v_add_co_u32_e32 v8, vcc, s14, v8
	v_addc_co_u32_e32 v9, vcc, v11, v9, vcc
	global_load_dwordx2 v[8:9], v[8:9], off
	s_waitcnt vmcnt(1)
	v_cndmask_b32_e64 v12, v7, -v7, s[0:1]
	v_pk_mul_f32 v[12:13], v[12:13], v[14:15] op_sel_hi:[0,1]
	v_pk_fma_f32 v[6:7], v[4:5], v[6:7], v[12:13] op_sel_hi:[1,0,1]
	v_lshlrev_b32_e32 v11, 3, v0
	s_waitcnt vmcnt(0)
	v_pk_mul_f32 v[12:13], v[8:9], v[6:7] op_sel:[1,1] op_sel_hi:[1,0] neg_lo:[0,1]
	v_pk_fma_f32 v[6:7], v[6:7], v[8:9], v[12:13] op_sel_hi:[1,0,1]
	ds_write_b64 v11, v[6:7] offset:4096
.LBB45_24:
	s_or_b64 exec, exec, s[6:7]
	v_or_b32_e32 v6, 0x300, v0
	v_lshrrev_b32_e32 v6, s2, v6
	v_add_u32_e32 v6, s22, v6
	v_cmp_gt_u32_e32 vcc, s23, v6
	s_and_saveexec_b64 s[6:7], vcc
	s_cbranch_execz .LBB45_29
; %bb.25:
	v_add_u32_e32 v6, s21, v6
	v_mov_b32_e32 v7, 0
	v_lshlrev_b64 v[8:9], 2, v[6:7]
	v_mov_b32_e32 v6, s17
	v_add_co_u32_e32 v8, vcc, s16, v8
	v_addc_co_u32_e32 v9, vcc, v6, v9, vcc
	global_load_dword v8, v[8:9], off
	v_mov_b32_e32 v6, s9
	s_waitcnt vmcnt(0)
	v_ashrrev_i32_e32 v9, 31, v8
	v_lshlrev_b64 v[8:9], 2, v[8:9]
	v_add_co_u32_e32 v8, vcc, s8, v8
	v_addc_co_u32_e32 v9, vcc, v6, v9, vcc
	global_load_dwordx2 v[8:9], v[8:9], off
	s_waitcnt vmcnt(0)
	v_sub_u32_e32 v6, v9, v8
	v_cmp_ge_u32_e32 vcc, v10, v6
	v_lshlrev_b32_e32 v9, 3, v0
	s_and_saveexec_b64 s[8:9], vcc
	s_xor_b64 s[8:9], exec, s[8:9]
	s_cbranch_execz .LBB45_27
; %bb.26:
	v_mov_b32_e32 v6, v7
	ds_write_b64 v9, v[6:7] offset:6144
                                        ; implicit-def: $vgpr8_vgpr9
                                        ; implicit-def: $vgpr1
                                        ; implicit-def: $vgpr5
                                        ; implicit-def: $vgpr9
.LBB45_27:
	s_andn2_saveexec_b64 s[8:9], s[8:9]
	s_cbranch_execz .LBB45_29
; %bb.28:
	v_add_u32_e32 v6, v8, v1
	v_mov_b32_e32 v7, 0
	v_lshlrev_b64 v[10:11], 2, v[6:7]
	v_mov_b32_e32 v1, s11
	v_add_co_u32_e32 v10, vcc, s10, v10
	v_addc_co_u32_e32 v11, vcc, v1, v11, vcc
	global_load_dword v1, v[10:11], off
	v_lshlrev_b64 v[6:7], 3, v[6:7]
	v_mov_b32_e32 v8, s13
	v_add_co_u32_e32 v6, vcc, s12, v6
	v_addc_co_u32_e32 v7, vcc, v8, v7, vcc
	global_load_dwordx2 v[6:7], v[6:7], off
	v_mov_b32_e32 v12, s15
	v_mov_b32_e32 v13, v4
	s_waitcnt vmcnt(1)
	v_subrev_u32_e32 v10, s20, v1
	v_ashrrev_i32_e32 v11, 31, v10
	v_lshlrev_b64 v[10:11], 3, v[10:11]
	v_add_co_u32_e32 v10, vcc, s14, v10
	v_addc_co_u32_e32 v11, vcc, v12, v11, vcc
	global_load_dwordx2 v[10:11], v[10:11], off
	s_waitcnt vmcnt(1)
	v_cndmask_b32_e64 v8, v7, -v7, s[0:1]
	v_xor_b32_e32 v12, 0x80000000, v5
	v_pk_mul_f32 v[12:13], v[8:9], v[12:13] op_sel_hi:[0,1]
	v_pk_fma_f32 v[4:5], v[4:5], v[6:7], v[12:13] op_sel_hi:[1,0,1]
	s_waitcnt vmcnt(0)
	v_pk_mul_f32 v[6:7], v[10:11], v[4:5] op_sel:[1,1] op_sel_hi:[1,0] neg_lo:[0,1]
	v_pk_fma_f32 v[4:5], v[4:5], v[10:11], v[6:7] op_sel_hi:[1,0,1]
	ds_write_b64 v9, v[4:5] offset:6144
.LBB45_29:
	s_or_b64 exec, exec, s[6:7]
	s_cmp_lt_u32 s2, 11
	s_waitcnt lgkmcnt(0)
	s_barrier
	s_cbranch_scc0 .LBB45_38
; %bb.30:
	s_load_dwordx2 s[4:5], s[4:5], 0x50
	v_and_b32_e32 v1, 0x7fffffff, v2
	v_cmp_ne_u32_e32 vcc, 0, v1
	v_cmp_neq_f32_e64 s[0:1], 0, v3
	s_sub_i32 s10, s23, s22
	s_add_i32 s21, s21, s22
	s_mov_b32 s11, 0
	s_or_b64 s[0:1], vcc, s[0:1]
	v_xor_b32_e32 v4, 0x80000000, v3
	v_mov_b32_e32 v5, v2
	v_mov_b32_e32 v7, 0
	s_branch .LBB45_33
.LBB45_31:                              ;   in Loop: Header=BB45_33 Depth=1
	s_or_b64 exec, exec, s[8:9]
	v_mov_b32_e32 v1, s5
	v_add_co_u32_e32 v10, vcc, s4, v10
	v_addc_co_u32_e32 v11, vcc, v1, v11, vcc
	global_store_dwordx2 v[10:11], v[8:9], off
.LBB45_32:                              ;   in Loop: Header=BB45_33 Depth=1
	s_or_b64 exec, exec, s[6:7]
	s_addk_i32 s11, 0x100
	s_cmp_lt_u32 s11, s3
	s_cbranch_scc0 .LBB45_38
.LBB45_33:                              ; =>This Loop Header: Depth=1
                                        ;     Child Loop BB45_35 Depth 2
	v_add_u32_e32 v1, s11, v0
	v_cmp_gt_u32_e32 vcc, s10, v1
	s_and_saveexec_b64 s[6:7], vcc
	s_cbranch_execz .LBB45_32
; %bb.34:                               ;   in Loop: Header=BB45_33 Depth=1
	v_add_u32_e32 v6, s21, v1
	v_lshlrev_b64 v[8:9], 2, v[6:7]
	v_mov_b32_e32 v6, s17
	v_add_co_u32_e32 v8, vcc, s16, v8
	v_addc_co_u32_e32 v9, vcc, v6, v9, vcc
	global_load_dword v10, v[8:9], off
	v_lshlrev_b32_e32 v1, s2, v1
	v_mov_b32_e32 v8, 0
	v_lshlrev_b32_e32 v1, 3, v1
	s_mov_b32 s8, 1
	v_mov_b32_e32 v9, v8
.LBB45_35:                              ;   Parent Loop BB45_33 Depth=1
                                        ; =>  This Inner Loop Header: Depth=2
	ds_read_b64 v[12:13], v1
	s_lshr_b32 s9, s8, s2
	s_add_i32 s8, s8, 1
	v_add_u32_e32 v1, 8, v1
	s_cmp_lg_u32 s9, 0
	s_waitcnt lgkmcnt(0)
	v_pk_add_f32 v[8:9], v[8:9], v[12:13]
	s_cbranch_scc0 .LBB45_35
; %bb.36:                               ;   in Loop: Header=BB45_33 Depth=1
	s_waitcnt vmcnt(0)
	v_ashrrev_i32_e32 v11, 31, v10
	v_lshlrev_b64 v[10:11], 3, v[10:11]
	s_and_saveexec_b64 s[8:9], s[0:1]
	s_cbranch_execz .LBB45_31
; %bb.37:                               ;   in Loop: Header=BB45_33 Depth=1
	v_mov_b32_e32 v1, s5
	v_add_co_u32_e32 v12, vcc, s4, v10
	v_addc_co_u32_e32 v13, vcc, v1, v11, vcc
	global_load_dwordx2 v[12:13], v[12:13], off
	s_waitcnt vmcnt(0)
	v_pk_fma_f32 v[8:9], v[2:3], v[12:13], v[8:9] op_sel_hi:[1,0,1]
	v_pk_fma_f32 v[8:9], v[4:5], v[12:13], v[8:9] op_sel:[0,1,0]
	s_branch .LBB45_31
.LBB45_38:
	s_endpgm
.LBB45_39:
	v_pk_mov_b32 v[2:3], s[8:9], s[8:9] op_sel:[0,1]
	flat_load_dword v5, v[2:3] offset:4
	s_and_b64 vcc, exec, s[0:1]
	v_mov_b32_e32 v2, s2
	s_cbranch_vccnz .LBB45_4
.LBB45_40:
	v_pk_mov_b32 v[2:3], s[2:3], s[2:3] op_sel:[0,1]
	flat_load_dword v2, v[2:3]
	s_and_b64 vcc, exec, s[0:1]
	v_mov_b32_e32 v3, s3
	s_cbranch_vccz .LBB45_5
	s_branch .LBB45_6
	.section	.rodata,"a",@progbits
	.p2align	6, 0x0
	.amdhsa_kernel _ZN9rocsparseL30csrmvn_lrb_short_rows_2_kernelIii21rocsparse_complex_numIfES2_S2_S2_EEvbT_PT0_S5_jNS_24const_host_device_scalarIT4_EEPKS3_PKS4_PKT1_PKT2_S8_PT3_21rocsparse_index_base_b
		.amdhsa_group_segment_fixed_size 8192
		.amdhsa_private_segment_fixed_size 0
		.amdhsa_kernarg_size 96
		.amdhsa_user_sgpr_count 6
		.amdhsa_user_sgpr_private_segment_buffer 1
		.amdhsa_user_sgpr_dispatch_ptr 0
		.amdhsa_user_sgpr_queue_ptr 0
		.amdhsa_user_sgpr_kernarg_segment_ptr 1
		.amdhsa_user_sgpr_dispatch_id 0
		.amdhsa_user_sgpr_flat_scratch_init 0
		.amdhsa_user_sgpr_kernarg_preload_length 0
		.amdhsa_user_sgpr_kernarg_preload_offset 0
		.amdhsa_user_sgpr_private_segment_size 0
		.amdhsa_uses_dynamic_stack 0
		.amdhsa_system_sgpr_private_segment_wavefront_offset 0
		.amdhsa_system_sgpr_workgroup_id_x 1
		.amdhsa_system_sgpr_workgroup_id_y 0
		.amdhsa_system_sgpr_workgroup_id_z 0
		.amdhsa_system_sgpr_workgroup_info 0
		.amdhsa_system_vgpr_workitem_id 0
		.amdhsa_next_free_vgpr 16
		.amdhsa_next_free_sgpr 24
		.amdhsa_accum_offset 16
		.amdhsa_reserve_vcc 1
		.amdhsa_reserve_flat_scratch 0
		.amdhsa_float_round_mode_32 0
		.amdhsa_float_round_mode_16_64 0
		.amdhsa_float_denorm_mode_32 3
		.amdhsa_float_denorm_mode_16_64 3
		.amdhsa_dx10_clamp 1
		.amdhsa_ieee_mode 1
		.amdhsa_fp16_overflow 0
		.amdhsa_tg_split 0
		.amdhsa_exception_fp_ieee_invalid_op 0
		.amdhsa_exception_fp_denorm_src 0
		.amdhsa_exception_fp_ieee_div_zero 0
		.amdhsa_exception_fp_ieee_overflow 0
		.amdhsa_exception_fp_ieee_underflow 0
		.amdhsa_exception_fp_ieee_inexact 0
		.amdhsa_exception_int_div_zero 0
	.end_amdhsa_kernel
	.section	.text._ZN9rocsparseL30csrmvn_lrb_short_rows_2_kernelIii21rocsparse_complex_numIfES2_S2_S2_EEvbT_PT0_S5_jNS_24const_host_device_scalarIT4_EEPKS3_PKS4_PKT1_PKT2_S8_PT3_21rocsparse_index_base_b,"axG",@progbits,_ZN9rocsparseL30csrmvn_lrb_short_rows_2_kernelIii21rocsparse_complex_numIfES2_S2_S2_EEvbT_PT0_S5_jNS_24const_host_device_scalarIT4_EEPKS3_PKS4_PKT1_PKT2_S8_PT3_21rocsparse_index_base_b,comdat
.Lfunc_end45:
	.size	_ZN9rocsparseL30csrmvn_lrb_short_rows_2_kernelIii21rocsparse_complex_numIfES2_S2_S2_EEvbT_PT0_S5_jNS_24const_host_device_scalarIT4_EEPKS3_PKS4_PKT1_PKT2_S8_PT3_21rocsparse_index_base_b, .Lfunc_end45-_ZN9rocsparseL30csrmvn_lrb_short_rows_2_kernelIii21rocsparse_complex_numIfES2_S2_S2_EEvbT_PT0_S5_jNS_24const_host_device_scalarIT4_EEPKS3_PKS4_PKT1_PKT2_S8_PT3_21rocsparse_index_base_b
                                        ; -- End function
	.section	.AMDGPU.csdata,"",@progbits
; Kernel info:
; codeLenInByte = 2008
; NumSgprs: 28
; NumVgprs: 16
; NumAgprs: 0
; TotalNumVgprs: 16
; ScratchSize: 0
; MemoryBound: 0
; FloatMode: 240
; IeeeMode: 1
; LDSByteSize: 8192 bytes/workgroup (compile time only)
; SGPRBlocks: 3
; VGPRBlocks: 1
; NumSGPRsForWavesPerEU: 28
; NumVGPRsForWavesPerEU: 16
; AccumOffset: 16
; Occupancy: 8
; WaveLimiterHint : 1
; COMPUTE_PGM_RSRC2:SCRATCH_EN: 0
; COMPUTE_PGM_RSRC2:USER_SGPR: 6
; COMPUTE_PGM_RSRC2:TRAP_HANDLER: 0
; COMPUTE_PGM_RSRC2:TGID_X_EN: 1
; COMPUTE_PGM_RSRC2:TGID_Y_EN: 0
; COMPUTE_PGM_RSRC2:TGID_Z_EN: 0
; COMPUTE_PGM_RSRC2:TIDIG_COMP_CNT: 0
; COMPUTE_PGM_RSRC3_GFX90A:ACCUM_OFFSET: 3
; COMPUTE_PGM_RSRC3_GFX90A:TG_SPLIT: 0
	.section	.text._ZN9rocsparseL41csrmvn_lrb_medium_rows_warp_reduce_kernelILj256ELj32Eii21rocsparse_complex_numIfES2_S2_S2_EEvbT1_lPT2_S5_jNS_24const_host_device_scalarIT6_EEPKS3_PKS4_PKT3_PKT4_S8_PT5_21rocsparse_index_base_b,"axG",@progbits,_ZN9rocsparseL41csrmvn_lrb_medium_rows_warp_reduce_kernelILj256ELj32Eii21rocsparse_complex_numIfES2_S2_S2_EEvbT1_lPT2_S5_jNS_24const_host_device_scalarIT6_EEPKS3_PKS4_PKT3_PKT4_S8_PT5_21rocsparse_index_base_b,comdat
	.globl	_ZN9rocsparseL41csrmvn_lrb_medium_rows_warp_reduce_kernelILj256ELj32Eii21rocsparse_complex_numIfES2_S2_S2_EEvbT1_lPT2_S5_jNS_24const_host_device_scalarIT6_EEPKS3_PKS4_PKT3_PKT4_S8_PT5_21rocsparse_index_base_b ; -- Begin function _ZN9rocsparseL41csrmvn_lrb_medium_rows_warp_reduce_kernelILj256ELj32Eii21rocsparse_complex_numIfES2_S2_S2_EEvbT1_lPT2_S5_jNS_24const_host_device_scalarIT6_EEPKS3_PKS4_PKT3_PKT4_S8_PT5_21rocsparse_index_base_b
	.p2align	8
	.type	_ZN9rocsparseL41csrmvn_lrb_medium_rows_warp_reduce_kernelILj256ELj32Eii21rocsparse_complex_numIfES2_S2_S2_EEvbT1_lPT2_S5_jNS_24const_host_device_scalarIT6_EEPKS3_PKS4_PKT3_PKT4_S8_PT5_21rocsparse_index_base_b,@function
_ZN9rocsparseL41csrmvn_lrb_medium_rows_warp_reduce_kernelILj256ELj32Eii21rocsparse_complex_numIfES2_S2_S2_EEvbT1_lPT2_S5_jNS_24const_host_device_scalarIT6_EEPKS3_PKS4_PKT3_PKT4_S8_PT5_21rocsparse_index_base_b: ; @_ZN9rocsparseL41csrmvn_lrb_medium_rows_warp_reduce_kernelILj256ELj32Eii21rocsparse_complex_numIfES2_S2_S2_EEvbT1_lPT2_S5_jNS_24const_host_device_scalarIT6_EEPKS3_PKS4_PKT3_PKT4_S8_PT5_21rocsparse_index_base_b
; %bb.0:
	s_load_dwordx2 s[8:9], s[4:5], 0x60
	s_load_dwordx2 s[10:11], s[4:5], 0x28
	;; [unrolled: 1-line block ×3, first 2 shown]
	s_waitcnt lgkmcnt(0)
	s_bitcmp1_b32 s9, 0
	s_cselect_b64 s[0:1], -1, 0
	s_xor_b64 s[12:13], s[0:1], -1
	s_and_b64 vcc, exec, s[0:1]
	v_mov_b32_e32 v4, s10
	s_cbranch_vccnz .LBB46_2
; %bb.1:
	v_pk_mov_b32 v[2:3], s[10:11], s[10:11] op_sel:[0,1]
	flat_load_dword v4, v[2:3]
.LBB46_2:
	v_cndmask_b32_e64 v1, 0, 1, s[12:13]
	v_cmp_ne_u32_e64 s[0:1], 1, v1
	s_andn2_b64 vcc, exec, s[12:13]
	v_mov_b32_e32 v5, s11
	s_cbranch_vccz .LBB46_19
; %bb.3:
	s_and_b64 vcc, exec, s[0:1]
	v_mov_b32_e32 v2, s2
	s_cbranch_vccz .LBB46_20
.LBB46_4:
	s_and_b64 vcc, exec, s[0:1]
	v_mov_b32_e32 v3, s3
	s_cbranch_vccnz .LBB46_6
.LBB46_5:
	v_pk_mov_b32 v[6:7], s[2:3], s[2:3] op_sel:[0,1]
	flat_load_dword v3, v[6:7] offset:4
.LBB46_6:
	s_waitcnt vmcnt(0) lgkmcnt(0)
	v_and_b32_e32 v1, 0x7fffffff, v4
	v_cmp_eq_u32_e32 vcc, 0, v1
	v_cmp_eq_f32_e64 s[0:1], 0, v5
	s_and_b64 s[10:11], vcc, s[0:1]
	s_mov_b64 s[0:1], -1
	s_and_saveexec_b64 s[2:3], s[10:11]
; %bb.7:
	v_and_b32_e32 v1, 0x7fffffff, v3
	v_cmp_neq_f32_e32 vcc, 1.0, v2
	v_cmp_ne_u32_e64 s[0:1], 0, v1
	s_or_b64 s[0:1], vcc, s[0:1]
	s_orn2_b64 s[0:1], s[0:1], exec
; %bb.8:
	s_or_b64 exec, exec, s[2:3]
	s_and_saveexec_b64 s[2:3], s[0:1]
	s_cbranch_execz .LBB46_18
; %bb.9:
	s_load_dwordx2 s[0:1], s[4:5], 0x8
	v_lshrrev_b32_e32 v1, 5, v0
	v_lshl_or_b32 v6, s6, 3, v1
	v_ashrrev_i32_e32 v7, 31, v6
	s_waitcnt lgkmcnt(0)
	v_cmp_gt_i64_e32 vcc, s[0:1], v[6:7]
	s_and_b64 exec, exec, vcc
	s_cbranch_execz .LBB46_18
; %bb.10:
	s_load_dword s6, s[4:5], 0x20
	s_load_dwordx4 s[0:3], s[4:5], 0x10
	s_mov_b32 s7, 0
	v_and_b32_e32 v12, 31, v0
	v_subrev_u32_e32 v0, s8, v12
	s_waitcnt lgkmcnt(0)
	s_lshl_b64 s[6:7], s[6:7], 2
	s_add_u32 s2, s2, s6
	s_addc_u32 s3, s3, s7
	s_load_dword s2, s[2:3], 0x0
	v_mov_b32_e32 v1, s1
	s_load_dwordx2 s[6:7], s[4:5], 0x58
	s_waitcnt lgkmcnt(0)
	v_add_u32_e32 v6, s2, v6
	v_ashrrev_i32_e32 v7, 31, v6
	v_lshlrev_b64 v[6:7], 2, v[6:7]
	v_add_co_u32_e32 v6, vcc, s0, v6
	v_addc_co_u32_e32 v7, vcc, v1, v7, vcc
	global_load_dword v6, v[6:7], off
	s_load_dwordx2 s[0:1], s[4:5], 0x30
	s_waitcnt lgkmcnt(0)
	v_mov_b32_e32 v1, s1
	s_waitcnt vmcnt(0)
	v_ashrrev_i32_e32 v7, 31, v6
	v_lshlrev_b64 v[8:9], 2, v[6:7]
	v_add_co_u32_e32 v8, vcc, s0, v8
	v_addc_co_u32_e32 v9, vcc, v1, v9, vcc
	global_load_dwordx2 v[10:11], v[8:9], off
	v_mov_b32_e32 v9, 0
	v_mov_b32_e32 v8, v9
	s_waitcnt vmcnt(0)
	v_subrev_u32_e32 v13, s8, v11
	v_add_u32_e32 v0, v10, v0
	v_cmp_lt_i32_e32 vcc, v0, v13
	s_and_saveexec_b64 s[10:11], vcc
	s_cbranch_execz .LBB46_14
; %bb.11:
	s_load_dword s9, s[4:5], 0x0
	s_load_dwordx4 s[0:3], s[4:5], 0x38
	s_load_dwordx2 s[12:13], s[4:5], 0x48
	v_mov_b32_e32 v9, 0
	v_xor_b32_e32 v10, 0x80000000, v5
	s_waitcnt lgkmcnt(0)
	s_bitcmp1_b32 s9, 0
	v_mov_b32_e32 v11, v4
	s_cselect_b64 s[14:15], -1, 0
	s_mov_b64 s[4:5], 0
	v_mov_b32_e32 v14, s3
	v_mov_b32_e32 v15, s1
	;; [unrolled: 1-line block ×4, first 2 shown]
.LBB46_12:                              ; =>This Inner Loop Header: Depth=1
	v_ashrrev_i32_e32 v1, 31, v0
	v_lshlrev_b64 v[18:19], 2, v[0:1]
	v_add_co_u32_e32 v18, vcc, s0, v18
	v_addc_co_u32_e32 v19, vcc, v15, v19, vcc
	global_load_dword v17, v[18:19], off
	v_lshlrev_b64 v[18:19], 3, v[0:1]
	v_add_co_u32_e32 v18, vcc, s2, v18
	v_addc_co_u32_e32 v19, vcc, v14, v19, vcc
	global_load_dwordx2 v[18:19], v[18:19], off
	v_add_u32_e32 v0, 32, v0
	s_waitcnt vmcnt(1)
	v_subrev_u32_e32 v20, s8, v17
	v_ashrrev_i32_e32 v21, 31, v20
	v_lshlrev_b64 v[20:21], 3, v[20:21]
	v_add_co_u32_e32 v20, vcc, s12, v20
	v_addc_co_u32_e32 v21, vcc, v16, v21, vcc
	global_load_dwordx2 v[20:21], v[20:21], off
	s_waitcnt vmcnt(1)
	v_cndmask_b32_e64 v22, v19, -v19, s[14:15]
	v_pk_mul_f32 v[22:23], v[22:23], v[10:11] op_sel_hi:[0,1]
	v_pk_fma_f32 v[18:19], v[4:5], v[18:19], v[22:23] op_sel_hi:[1,0,1]
	v_cmp_ge_i32_e32 vcc, v0, v13
	s_or_b64 s[4:5], vcc, s[4:5]
	s_waitcnt vmcnt(0)
	v_pk_fma_f32 v[8:9], v[18:19], v[20:21], v[8:9] op_sel_hi:[1,0,1]
	v_pk_fma_f32 v[8:9], v[18:19], v[20:21], v[8:9] op_sel:[1,1,0] op_sel_hi:[0,1,1] neg_lo:[1,0,0]
	s_andn2_b64 exec, exec, s[4:5]
	s_cbranch_execnz .LBB46_12
; %bb.13:
	s_or_b64 exec, exec, s[4:5]
.LBB46_14:
	s_or_b64 exec, exec, s[10:11]
	v_mov_b32_dpp v0, v8 row_shr:1 row_mask:0xf bank_mask:0xf
	v_mov_b32_dpp v1, v9 row_shr:1 row_mask:0xf bank_mask:0xf
	v_pk_add_f32 v[0:1], v[8:9], v[0:1]
	v_cmp_eq_u32_e32 vcc, 31, v12
	s_nop 0
	v_mov_b32_dpp v4, v0 row_shr:2 row_mask:0xf bank_mask:0xf
	v_mov_b32_dpp v5, v1 row_shr:2 row_mask:0xf bank_mask:0xf
	v_pk_add_f32 v[0:1], v[0:1], v[4:5]
	s_nop 1
	v_mov_b32_dpp v4, v0 row_shr:4 row_mask:0xf bank_mask:0xe
	v_mov_b32_dpp v5, v1 row_shr:4 row_mask:0xf bank_mask:0xe
	v_pk_add_f32 v[0:1], v[0:1], v[4:5]
	;; [unrolled: 4-line block ×3, first 2 shown]
	s_nop 1
	v_mov_b32_dpp v4, v0 row_bcast:15 row_mask:0xa bank_mask:0xf
	v_mov_b32_dpp v5, v1 row_bcast:15 row_mask:0xa bank_mask:0xf
	s_and_b64 exec, exec, vcc
	s_cbranch_execz .LBB46_18
; %bb.15:
	v_pk_add_f32 v[0:1], v[0:1], v[4:5]
	v_and_b32_e32 v4, 0x7fffffff, v2
	v_cmp_ne_u32_e32 vcc, 0, v4
	v_cmp_neq_f32_e64 s[0:1], 0, v3
	s_or_b64 s[2:3], vcc, s[0:1]
	v_lshlrev_b64 v[4:5], 3, v[6:7]
	s_and_saveexec_b64 s[0:1], s[2:3]
	s_cbranch_execz .LBB46_17
; %bb.16:
	v_mov_b32_e32 v7, s7
	v_add_co_u32_e32 v6, vcc, s6, v4
	v_addc_co_u32_e32 v7, vcc, v7, v5, vcc
	global_load_dwordx2 v[6:7], v[6:7], off
	v_xor_b32_e32 v8, 0x80000000, v3
	v_mov_b32_e32 v9, v2
	s_waitcnt vmcnt(0)
	v_pk_fma_f32 v[0:1], v[2:3], v[6:7], v[0:1] op_sel_hi:[1,0,1]
	v_pk_fma_f32 v[0:1], v[8:9], v[6:7], v[0:1] op_sel:[0,1,0]
.LBB46_17:
	s_or_b64 exec, exec, s[0:1]
	v_mov_b32_e32 v3, s7
	v_add_co_u32_e32 v2, vcc, s6, v4
	v_addc_co_u32_e32 v3, vcc, v3, v5, vcc
	global_store_dwordx2 v[2:3], v[0:1], off
.LBB46_18:
	s_endpgm
.LBB46_19:
	v_pk_mov_b32 v[2:3], s[10:11], s[10:11] op_sel:[0,1]
	flat_load_dword v5, v[2:3] offset:4
	s_and_b64 vcc, exec, s[0:1]
	v_mov_b32_e32 v2, s2
	s_cbranch_vccnz .LBB46_4
.LBB46_20:
	v_pk_mov_b32 v[2:3], s[2:3], s[2:3] op_sel:[0,1]
	flat_load_dword v2, v[2:3]
	s_and_b64 vcc, exec, s[0:1]
	v_mov_b32_e32 v3, s3
	s_cbranch_vccz .LBB46_5
	s_branch .LBB46_6
	.section	.rodata,"a",@progbits
	.p2align	6, 0x0
	.amdhsa_kernel _ZN9rocsparseL41csrmvn_lrb_medium_rows_warp_reduce_kernelILj256ELj32Eii21rocsparse_complex_numIfES2_S2_S2_EEvbT1_lPT2_S5_jNS_24const_host_device_scalarIT6_EEPKS3_PKS4_PKT3_PKT4_S8_PT5_21rocsparse_index_base_b
		.amdhsa_group_segment_fixed_size 0
		.amdhsa_private_segment_fixed_size 0
		.amdhsa_kernarg_size 104
		.amdhsa_user_sgpr_count 6
		.amdhsa_user_sgpr_private_segment_buffer 1
		.amdhsa_user_sgpr_dispatch_ptr 0
		.amdhsa_user_sgpr_queue_ptr 0
		.amdhsa_user_sgpr_kernarg_segment_ptr 1
		.amdhsa_user_sgpr_dispatch_id 0
		.amdhsa_user_sgpr_flat_scratch_init 0
		.amdhsa_user_sgpr_kernarg_preload_length 0
		.amdhsa_user_sgpr_kernarg_preload_offset 0
		.amdhsa_user_sgpr_private_segment_size 0
		.amdhsa_uses_dynamic_stack 0
		.amdhsa_system_sgpr_private_segment_wavefront_offset 0
		.amdhsa_system_sgpr_workgroup_id_x 1
		.amdhsa_system_sgpr_workgroup_id_y 0
		.amdhsa_system_sgpr_workgroup_id_z 0
		.amdhsa_system_sgpr_workgroup_info 0
		.amdhsa_system_vgpr_workitem_id 0
		.amdhsa_next_free_vgpr 24
		.amdhsa_next_free_sgpr 16
		.amdhsa_accum_offset 24
		.amdhsa_reserve_vcc 1
		.amdhsa_reserve_flat_scratch 0
		.amdhsa_float_round_mode_32 0
		.amdhsa_float_round_mode_16_64 0
		.amdhsa_float_denorm_mode_32 3
		.amdhsa_float_denorm_mode_16_64 3
		.amdhsa_dx10_clamp 1
		.amdhsa_ieee_mode 1
		.amdhsa_fp16_overflow 0
		.amdhsa_tg_split 0
		.amdhsa_exception_fp_ieee_invalid_op 0
		.amdhsa_exception_fp_denorm_src 0
		.amdhsa_exception_fp_ieee_div_zero 0
		.amdhsa_exception_fp_ieee_overflow 0
		.amdhsa_exception_fp_ieee_underflow 0
		.amdhsa_exception_fp_ieee_inexact 0
		.amdhsa_exception_int_div_zero 0
	.end_amdhsa_kernel
	.section	.text._ZN9rocsparseL41csrmvn_lrb_medium_rows_warp_reduce_kernelILj256ELj32Eii21rocsparse_complex_numIfES2_S2_S2_EEvbT1_lPT2_S5_jNS_24const_host_device_scalarIT6_EEPKS3_PKS4_PKT3_PKT4_S8_PT5_21rocsparse_index_base_b,"axG",@progbits,_ZN9rocsparseL41csrmvn_lrb_medium_rows_warp_reduce_kernelILj256ELj32Eii21rocsparse_complex_numIfES2_S2_S2_EEvbT1_lPT2_S5_jNS_24const_host_device_scalarIT6_EEPKS3_PKS4_PKT3_PKT4_S8_PT5_21rocsparse_index_base_b,comdat
.Lfunc_end46:
	.size	_ZN9rocsparseL41csrmvn_lrb_medium_rows_warp_reduce_kernelILj256ELj32Eii21rocsparse_complex_numIfES2_S2_S2_EEvbT1_lPT2_S5_jNS_24const_host_device_scalarIT6_EEPKS3_PKS4_PKT3_PKT4_S8_PT5_21rocsparse_index_base_b, .Lfunc_end46-_ZN9rocsparseL41csrmvn_lrb_medium_rows_warp_reduce_kernelILj256ELj32Eii21rocsparse_complex_numIfES2_S2_S2_EEvbT1_lPT2_S5_jNS_24const_host_device_scalarIT6_EEPKS3_PKS4_PKT3_PKT4_S8_PT5_21rocsparse_index_base_b
                                        ; -- End function
	.section	.AMDGPU.csdata,"",@progbits
; Kernel info:
; codeLenInByte = 996
; NumSgprs: 20
; NumVgprs: 24
; NumAgprs: 0
; TotalNumVgprs: 24
; ScratchSize: 0
; MemoryBound: 0
; FloatMode: 240
; IeeeMode: 1
; LDSByteSize: 0 bytes/workgroup (compile time only)
; SGPRBlocks: 2
; VGPRBlocks: 2
; NumSGPRsForWavesPerEU: 20
; NumVGPRsForWavesPerEU: 24
; AccumOffset: 24
; Occupancy: 8
; WaveLimiterHint : 1
; COMPUTE_PGM_RSRC2:SCRATCH_EN: 0
; COMPUTE_PGM_RSRC2:USER_SGPR: 6
; COMPUTE_PGM_RSRC2:TRAP_HANDLER: 0
; COMPUTE_PGM_RSRC2:TGID_X_EN: 1
; COMPUTE_PGM_RSRC2:TGID_Y_EN: 0
; COMPUTE_PGM_RSRC2:TGID_Z_EN: 0
; COMPUTE_PGM_RSRC2:TIDIG_COMP_CNT: 0
; COMPUTE_PGM_RSRC3_GFX90A:ACCUM_OFFSET: 5
; COMPUTE_PGM_RSRC3_GFX90A:TG_SPLIT: 0
	.section	.text._ZN9rocsparseL41csrmvn_lrb_medium_rows_warp_reduce_kernelILj256ELj64Eii21rocsparse_complex_numIfES2_S2_S2_EEvbT1_lPT2_S5_jNS_24const_host_device_scalarIT6_EEPKS3_PKS4_PKT3_PKT4_S8_PT5_21rocsparse_index_base_b,"axG",@progbits,_ZN9rocsparseL41csrmvn_lrb_medium_rows_warp_reduce_kernelILj256ELj64Eii21rocsparse_complex_numIfES2_S2_S2_EEvbT1_lPT2_S5_jNS_24const_host_device_scalarIT6_EEPKS3_PKS4_PKT3_PKT4_S8_PT5_21rocsparse_index_base_b,comdat
	.globl	_ZN9rocsparseL41csrmvn_lrb_medium_rows_warp_reduce_kernelILj256ELj64Eii21rocsparse_complex_numIfES2_S2_S2_EEvbT1_lPT2_S5_jNS_24const_host_device_scalarIT6_EEPKS3_PKS4_PKT3_PKT4_S8_PT5_21rocsparse_index_base_b ; -- Begin function _ZN9rocsparseL41csrmvn_lrb_medium_rows_warp_reduce_kernelILj256ELj64Eii21rocsparse_complex_numIfES2_S2_S2_EEvbT1_lPT2_S5_jNS_24const_host_device_scalarIT6_EEPKS3_PKS4_PKT3_PKT4_S8_PT5_21rocsparse_index_base_b
	.p2align	8
	.type	_ZN9rocsparseL41csrmvn_lrb_medium_rows_warp_reduce_kernelILj256ELj64Eii21rocsparse_complex_numIfES2_S2_S2_EEvbT1_lPT2_S5_jNS_24const_host_device_scalarIT6_EEPKS3_PKS4_PKT3_PKT4_S8_PT5_21rocsparse_index_base_b,@function
_ZN9rocsparseL41csrmvn_lrb_medium_rows_warp_reduce_kernelILj256ELj64Eii21rocsparse_complex_numIfES2_S2_S2_EEvbT1_lPT2_S5_jNS_24const_host_device_scalarIT6_EEPKS3_PKS4_PKT3_PKT4_S8_PT5_21rocsparse_index_base_b: ; @_ZN9rocsparseL41csrmvn_lrb_medium_rows_warp_reduce_kernelILj256ELj64Eii21rocsparse_complex_numIfES2_S2_S2_EEvbT1_lPT2_S5_jNS_24const_host_device_scalarIT6_EEPKS3_PKS4_PKT3_PKT4_S8_PT5_21rocsparse_index_base_b
; %bb.0:
	s_load_dwordx2 s[8:9], s[4:5], 0x60
	s_load_dwordx2 s[10:11], s[4:5], 0x28
	s_load_dwordx2 s[2:3], s[4:5], 0x50
	s_waitcnt lgkmcnt(0)
	s_bitcmp1_b32 s9, 0
	s_cselect_b64 s[0:1], -1, 0
	s_xor_b64 s[12:13], s[0:1], -1
	s_and_b64 vcc, exec, s[0:1]
	v_mov_b32_e32 v4, s10
	s_cbranch_vccnz .LBB47_2
; %bb.1:
	v_pk_mov_b32 v[2:3], s[10:11], s[10:11] op_sel:[0,1]
	flat_load_dword v4, v[2:3]
.LBB47_2:
	v_cndmask_b32_e64 v1, 0, 1, s[12:13]
	v_cmp_ne_u32_e64 s[0:1], 1, v1
	s_andn2_b64 vcc, exec, s[12:13]
	v_mov_b32_e32 v5, s11
	s_cbranch_vccz .LBB47_19
; %bb.3:
	s_and_b64 vcc, exec, s[0:1]
	v_mov_b32_e32 v2, s2
	s_cbranch_vccz .LBB47_20
.LBB47_4:
	s_and_b64 vcc, exec, s[0:1]
	v_mov_b32_e32 v3, s3
	s_cbranch_vccnz .LBB47_6
.LBB47_5:
	v_pk_mov_b32 v[6:7], s[2:3], s[2:3] op_sel:[0,1]
	flat_load_dword v3, v[6:7] offset:4
.LBB47_6:
	s_waitcnt vmcnt(0) lgkmcnt(0)
	v_and_b32_e32 v1, 0x7fffffff, v4
	v_cmp_eq_u32_e32 vcc, 0, v1
	v_cmp_eq_f32_e64 s[0:1], 0, v5
	s_and_b64 s[10:11], vcc, s[0:1]
	s_mov_b64 s[0:1], -1
	s_and_saveexec_b64 s[2:3], s[10:11]
; %bb.7:
	v_and_b32_e32 v1, 0x7fffffff, v3
	v_cmp_neq_f32_e32 vcc, 1.0, v2
	v_cmp_ne_u32_e64 s[0:1], 0, v1
	s_or_b64 s[0:1], vcc, s[0:1]
	s_orn2_b64 s[0:1], s[0:1], exec
; %bb.8:
	s_or_b64 exec, exec, s[2:3]
	s_and_saveexec_b64 s[2:3], s[0:1]
	s_cbranch_execz .LBB47_18
; %bb.9:
	s_load_dwordx2 s[0:1], s[4:5], 0x8
	v_lshrrev_b32_e32 v1, 6, v0
	v_lshl_or_b32 v6, s6, 2, v1
	v_ashrrev_i32_e32 v7, 31, v6
	s_waitcnt lgkmcnt(0)
	v_cmp_gt_i64_e32 vcc, s[0:1], v[6:7]
	s_and_b64 exec, exec, vcc
	s_cbranch_execz .LBB47_18
; %bb.10:
	s_load_dword s6, s[4:5], 0x20
	s_load_dwordx4 s[0:3], s[4:5], 0x10
	s_mov_b32 s7, 0
	v_and_b32_e32 v12, 63, v0
	v_subrev_u32_e32 v0, s8, v12
	s_waitcnt lgkmcnt(0)
	s_lshl_b64 s[6:7], s[6:7], 2
	s_add_u32 s2, s2, s6
	s_addc_u32 s3, s3, s7
	s_load_dword s2, s[2:3], 0x0
	v_mov_b32_e32 v1, s1
	s_load_dwordx2 s[6:7], s[4:5], 0x58
	s_waitcnt lgkmcnt(0)
	v_add_u32_e32 v6, s2, v6
	v_ashrrev_i32_e32 v7, 31, v6
	v_lshlrev_b64 v[6:7], 2, v[6:7]
	v_add_co_u32_e32 v6, vcc, s0, v6
	v_addc_co_u32_e32 v7, vcc, v1, v7, vcc
	global_load_dword v6, v[6:7], off
	s_load_dwordx2 s[0:1], s[4:5], 0x30
	s_waitcnt lgkmcnt(0)
	v_mov_b32_e32 v1, s1
	s_waitcnt vmcnt(0)
	v_ashrrev_i32_e32 v7, 31, v6
	v_lshlrev_b64 v[8:9], 2, v[6:7]
	v_add_co_u32_e32 v8, vcc, s0, v8
	v_addc_co_u32_e32 v9, vcc, v1, v9, vcc
	global_load_dwordx2 v[10:11], v[8:9], off
	v_mov_b32_e32 v9, 0
	v_mov_b32_e32 v8, v9
	s_waitcnt vmcnt(0)
	v_subrev_u32_e32 v13, s8, v11
	v_add_u32_e32 v0, v10, v0
	v_cmp_lt_i32_e32 vcc, v0, v13
	s_and_saveexec_b64 s[10:11], vcc
	s_cbranch_execz .LBB47_14
; %bb.11:
	s_load_dword s9, s[4:5], 0x0
	s_load_dwordx4 s[0:3], s[4:5], 0x38
	s_load_dwordx2 s[12:13], s[4:5], 0x48
	v_mov_b32_e32 v8, 0
	v_xor_b32_e32 v10, 0x80000000, v5
	s_waitcnt lgkmcnt(0)
	s_bitcmp1_b32 s9, 0
	v_mov_b32_e32 v11, v4
	s_cselect_b64 s[14:15], -1, 0
	s_mov_b64 s[4:5], 0
	v_mov_b32_e32 v14, s3
	v_mov_b32_e32 v15, s1
	;; [unrolled: 1-line block ×4, first 2 shown]
.LBB47_12:                              ; =>This Inner Loop Header: Depth=1
	v_ashrrev_i32_e32 v1, 31, v0
	v_lshlrev_b64 v[18:19], 2, v[0:1]
	v_add_co_u32_e32 v18, vcc, s0, v18
	v_addc_co_u32_e32 v19, vcc, v15, v19, vcc
	global_load_dword v17, v[18:19], off
	v_lshlrev_b64 v[18:19], 3, v[0:1]
	v_add_co_u32_e32 v18, vcc, s2, v18
	v_addc_co_u32_e32 v19, vcc, v14, v19, vcc
	global_load_dwordx2 v[18:19], v[18:19], off
	v_add_u32_e32 v0, 64, v0
	s_waitcnt vmcnt(1)
	v_subrev_u32_e32 v20, s8, v17
	v_ashrrev_i32_e32 v21, 31, v20
	v_lshlrev_b64 v[20:21], 3, v[20:21]
	v_add_co_u32_e32 v20, vcc, s12, v20
	v_addc_co_u32_e32 v21, vcc, v16, v21, vcc
	global_load_dwordx2 v[20:21], v[20:21], off
	s_waitcnt vmcnt(1)
	v_cndmask_b32_e64 v22, v19, -v19, s[14:15]
	v_pk_mul_f32 v[22:23], v[22:23], v[10:11] op_sel_hi:[0,1]
	v_pk_fma_f32 v[18:19], v[4:5], v[18:19], v[22:23] op_sel_hi:[1,0,1]
	v_cmp_ge_i32_e32 vcc, v0, v13
	s_or_b64 s[4:5], vcc, s[4:5]
	s_waitcnt vmcnt(0)
	v_pk_fma_f32 v[8:9], v[18:19], v[20:21], v[8:9] op_sel_hi:[1,0,1]
	v_pk_fma_f32 v[8:9], v[18:19], v[20:21], v[8:9] op_sel:[1,1,0] op_sel_hi:[0,1,1] neg_lo:[1,0,0]
	s_andn2_b64 exec, exec, s[4:5]
	s_cbranch_execnz .LBB47_12
; %bb.13:
	s_or_b64 exec, exec, s[4:5]
.LBB47_14:
	s_or_b64 exec, exec, s[10:11]
	v_mov_b32_dpp v0, v8 row_shr:1 row_mask:0xf bank_mask:0xf
	v_mov_b32_dpp v1, v9 row_shr:1 row_mask:0xf bank_mask:0xf
	v_pk_add_f32 v[0:1], v[8:9], v[0:1]
	v_cmp_eq_u32_e32 vcc, 63, v12
	s_nop 0
	v_mov_b32_dpp v4, v0 row_shr:2 row_mask:0xf bank_mask:0xf
	v_mov_b32_dpp v5, v1 row_shr:2 row_mask:0xf bank_mask:0xf
	v_pk_add_f32 v[0:1], v[0:1], v[4:5]
	s_nop 1
	v_mov_b32_dpp v4, v0 row_shr:4 row_mask:0xf bank_mask:0xe
	v_mov_b32_dpp v5, v1 row_shr:4 row_mask:0xf bank_mask:0xe
	v_pk_add_f32 v[0:1], v[0:1], v[4:5]
	;; [unrolled: 4-line block ×3, first 2 shown]
	s_nop 1
	v_mov_b32_dpp v4, v0 row_bcast:15 row_mask:0xa bank_mask:0xf
	v_mov_b32_dpp v5, v1 row_bcast:15 row_mask:0xa bank_mask:0xf
	v_pk_add_f32 v[0:1], v[0:1], v[4:5]
	s_nop 1
	v_mov_b32_dpp v4, v0 row_bcast:31 row_mask:0xc bank_mask:0xf
	v_mov_b32_dpp v5, v1 row_bcast:31 row_mask:0xc bank_mask:0xf
	s_and_b64 exec, exec, vcc
	s_cbranch_execz .LBB47_18
; %bb.15:
	v_pk_add_f32 v[0:1], v[0:1], v[4:5]
	v_and_b32_e32 v4, 0x7fffffff, v2
	v_cmp_ne_u32_e32 vcc, 0, v4
	v_cmp_neq_f32_e64 s[0:1], 0, v3
	s_or_b64 s[2:3], vcc, s[0:1]
	v_lshlrev_b64 v[4:5], 3, v[6:7]
	s_and_saveexec_b64 s[0:1], s[2:3]
	s_cbranch_execz .LBB47_17
; %bb.16:
	v_mov_b32_e32 v7, s7
	v_add_co_u32_e32 v6, vcc, s6, v4
	v_addc_co_u32_e32 v7, vcc, v7, v5, vcc
	global_load_dwordx2 v[6:7], v[6:7], off
	v_xor_b32_e32 v8, 0x80000000, v3
	v_mov_b32_e32 v9, v2
	s_waitcnt vmcnt(0)
	v_pk_fma_f32 v[0:1], v[2:3], v[6:7], v[0:1] op_sel_hi:[1,0,1]
	v_pk_fma_f32 v[0:1], v[8:9], v[6:7], v[0:1] op_sel:[0,1,0]
.LBB47_17:
	s_or_b64 exec, exec, s[0:1]
	v_mov_b32_e32 v3, s7
	v_add_co_u32_e32 v2, vcc, s6, v4
	v_addc_co_u32_e32 v3, vcc, v3, v5, vcc
	global_store_dwordx2 v[2:3], v[0:1], off
.LBB47_18:
	s_endpgm
.LBB47_19:
	v_pk_mov_b32 v[2:3], s[10:11], s[10:11] op_sel:[0,1]
	flat_load_dword v5, v[2:3] offset:4
	s_and_b64 vcc, exec, s[0:1]
	v_mov_b32_e32 v2, s2
	s_cbranch_vccnz .LBB47_4
.LBB47_20:
	v_pk_mov_b32 v[2:3], s[2:3], s[2:3] op_sel:[0,1]
	flat_load_dword v2, v[2:3]
	s_and_b64 vcc, exec, s[0:1]
	v_mov_b32_e32 v3, s3
	s_cbranch_vccz .LBB47_5
	s_branch .LBB47_6
	.section	.rodata,"a",@progbits
	.p2align	6, 0x0
	.amdhsa_kernel _ZN9rocsparseL41csrmvn_lrb_medium_rows_warp_reduce_kernelILj256ELj64Eii21rocsparse_complex_numIfES2_S2_S2_EEvbT1_lPT2_S5_jNS_24const_host_device_scalarIT6_EEPKS3_PKS4_PKT3_PKT4_S8_PT5_21rocsparse_index_base_b
		.amdhsa_group_segment_fixed_size 0
		.amdhsa_private_segment_fixed_size 0
		.amdhsa_kernarg_size 104
		.amdhsa_user_sgpr_count 6
		.amdhsa_user_sgpr_private_segment_buffer 1
		.amdhsa_user_sgpr_dispatch_ptr 0
		.amdhsa_user_sgpr_queue_ptr 0
		.amdhsa_user_sgpr_kernarg_segment_ptr 1
		.amdhsa_user_sgpr_dispatch_id 0
		.amdhsa_user_sgpr_flat_scratch_init 0
		.amdhsa_user_sgpr_kernarg_preload_length 0
		.amdhsa_user_sgpr_kernarg_preload_offset 0
		.amdhsa_user_sgpr_private_segment_size 0
		.amdhsa_uses_dynamic_stack 0
		.amdhsa_system_sgpr_private_segment_wavefront_offset 0
		.amdhsa_system_sgpr_workgroup_id_x 1
		.amdhsa_system_sgpr_workgroup_id_y 0
		.amdhsa_system_sgpr_workgroup_id_z 0
		.amdhsa_system_sgpr_workgroup_info 0
		.amdhsa_system_vgpr_workitem_id 0
		.amdhsa_next_free_vgpr 24
		.amdhsa_next_free_sgpr 16
		.amdhsa_accum_offset 24
		.amdhsa_reserve_vcc 1
		.amdhsa_reserve_flat_scratch 0
		.amdhsa_float_round_mode_32 0
		.amdhsa_float_round_mode_16_64 0
		.amdhsa_float_denorm_mode_32 3
		.amdhsa_float_denorm_mode_16_64 3
		.amdhsa_dx10_clamp 1
		.amdhsa_ieee_mode 1
		.amdhsa_fp16_overflow 0
		.amdhsa_tg_split 0
		.amdhsa_exception_fp_ieee_invalid_op 0
		.amdhsa_exception_fp_denorm_src 0
		.amdhsa_exception_fp_ieee_div_zero 0
		.amdhsa_exception_fp_ieee_overflow 0
		.amdhsa_exception_fp_ieee_underflow 0
		.amdhsa_exception_fp_ieee_inexact 0
		.amdhsa_exception_int_div_zero 0
	.end_amdhsa_kernel
	.section	.text._ZN9rocsparseL41csrmvn_lrb_medium_rows_warp_reduce_kernelILj256ELj64Eii21rocsparse_complex_numIfES2_S2_S2_EEvbT1_lPT2_S5_jNS_24const_host_device_scalarIT6_EEPKS3_PKS4_PKT3_PKT4_S8_PT5_21rocsparse_index_base_b,"axG",@progbits,_ZN9rocsparseL41csrmvn_lrb_medium_rows_warp_reduce_kernelILj256ELj64Eii21rocsparse_complex_numIfES2_S2_S2_EEvbT1_lPT2_S5_jNS_24const_host_device_scalarIT6_EEPKS3_PKS4_PKT3_PKT4_S8_PT5_21rocsparse_index_base_b,comdat
.Lfunc_end47:
	.size	_ZN9rocsparseL41csrmvn_lrb_medium_rows_warp_reduce_kernelILj256ELj64Eii21rocsparse_complex_numIfES2_S2_S2_EEvbT1_lPT2_S5_jNS_24const_host_device_scalarIT6_EEPKS3_PKS4_PKT3_PKT4_S8_PT5_21rocsparse_index_base_b, .Lfunc_end47-_ZN9rocsparseL41csrmvn_lrb_medium_rows_warp_reduce_kernelILj256ELj64Eii21rocsparse_complex_numIfES2_S2_S2_EEvbT1_lPT2_S5_jNS_24const_host_device_scalarIT6_EEPKS3_PKS4_PKT3_PKT4_S8_PT5_21rocsparse_index_base_b
                                        ; -- End function
	.section	.AMDGPU.csdata,"",@progbits
; Kernel info:
; codeLenInByte = 1024
; NumSgprs: 20
; NumVgprs: 24
; NumAgprs: 0
; TotalNumVgprs: 24
; ScratchSize: 0
; MemoryBound: 0
; FloatMode: 240
; IeeeMode: 1
; LDSByteSize: 0 bytes/workgroup (compile time only)
; SGPRBlocks: 2
; VGPRBlocks: 2
; NumSGPRsForWavesPerEU: 20
; NumVGPRsForWavesPerEU: 24
; AccumOffset: 24
; Occupancy: 8
; WaveLimiterHint : 1
; COMPUTE_PGM_RSRC2:SCRATCH_EN: 0
; COMPUTE_PGM_RSRC2:USER_SGPR: 6
; COMPUTE_PGM_RSRC2:TRAP_HANDLER: 0
; COMPUTE_PGM_RSRC2:TGID_X_EN: 1
; COMPUTE_PGM_RSRC2:TGID_Y_EN: 0
; COMPUTE_PGM_RSRC2:TGID_Z_EN: 0
; COMPUTE_PGM_RSRC2:TIDIG_COMP_CNT: 0
; COMPUTE_PGM_RSRC3_GFX90A:ACCUM_OFFSET: 5
; COMPUTE_PGM_RSRC3_GFX90A:TG_SPLIT: 0
	.section	.text._ZN9rocsparseL29csrmvn_lrb_medium_rows_kernelILj256Eii21rocsparse_complex_numIfES2_S2_S2_EEvbT0_PT1_S5_jNS_24const_host_device_scalarIT5_EEPKS3_PKS4_PKT2_PKT3_S8_PT4_21rocsparse_index_base_b,"axG",@progbits,_ZN9rocsparseL29csrmvn_lrb_medium_rows_kernelILj256Eii21rocsparse_complex_numIfES2_S2_S2_EEvbT0_PT1_S5_jNS_24const_host_device_scalarIT5_EEPKS3_PKS4_PKT2_PKT3_S8_PT4_21rocsparse_index_base_b,comdat
	.globl	_ZN9rocsparseL29csrmvn_lrb_medium_rows_kernelILj256Eii21rocsparse_complex_numIfES2_S2_S2_EEvbT0_PT1_S5_jNS_24const_host_device_scalarIT5_EEPKS3_PKS4_PKT2_PKT3_S8_PT4_21rocsparse_index_base_b ; -- Begin function _ZN9rocsparseL29csrmvn_lrb_medium_rows_kernelILj256Eii21rocsparse_complex_numIfES2_S2_S2_EEvbT0_PT1_S5_jNS_24const_host_device_scalarIT5_EEPKS3_PKS4_PKT2_PKT3_S8_PT4_21rocsparse_index_base_b
	.p2align	8
	.type	_ZN9rocsparseL29csrmvn_lrb_medium_rows_kernelILj256Eii21rocsparse_complex_numIfES2_S2_S2_EEvbT0_PT1_S5_jNS_24const_host_device_scalarIT5_EEPKS3_PKS4_PKT2_PKT3_S8_PT4_21rocsparse_index_base_b,@function
_ZN9rocsparseL29csrmvn_lrb_medium_rows_kernelILj256Eii21rocsparse_complex_numIfES2_S2_S2_EEvbT0_PT1_S5_jNS_24const_host_device_scalarIT5_EEPKS3_PKS4_PKT2_PKT3_S8_PT4_21rocsparse_index_base_b: ; @_ZN9rocsparseL29csrmvn_lrb_medium_rows_kernelILj256Eii21rocsparse_complex_numIfES2_S2_S2_EEvbT0_PT1_S5_jNS_24const_host_device_scalarIT5_EEPKS3_PKS4_PKT2_PKT3_S8_PT4_21rocsparse_index_base_b
; %bb.0:
	s_load_dwordx2 s[10:11], s[4:5], 0x58
	s_load_dwordx2 s[8:9], s[4:5], 0x20
	;; [unrolled: 1-line block ×3, first 2 shown]
	s_waitcnt lgkmcnt(0)
	s_bitcmp1_b32 s11, 0
	s_cselect_b64 s[0:1], -1, 0
	s_xor_b64 s[12:13], s[0:1], -1
	s_and_b64 vcc, exec, s[0:1]
	v_mov_b32_e32 v4, s8
	s_cbranch_vccnz .LBB48_2
; %bb.1:
	v_pk_mov_b32 v[2:3], s[8:9], s[8:9] op_sel:[0,1]
	flat_load_dword v4, v[2:3]
.LBB48_2:
	v_cndmask_b32_e64 v1, 0, 1, s[12:13]
	v_cmp_ne_u32_e64 s[0:1], 1, v1
	s_andn2_b64 vcc, exec, s[12:13]
	v_mov_b32_e32 v5, s9
	s_cbranch_vccz .LBB48_34
; %bb.3:
	s_and_b64 vcc, exec, s[0:1]
	v_mov_b32_e32 v2, s2
	s_cbranch_vccz .LBB48_35
.LBB48_4:
	s_and_b64 vcc, exec, s[0:1]
	v_mov_b32_e32 v3, s3
	s_cbranch_vccnz .LBB48_6
.LBB48_5:
	v_pk_mov_b32 v[6:7], s[2:3], s[2:3] op_sel:[0,1]
	flat_load_dword v3, v[6:7] offset:4
.LBB48_6:
	s_waitcnt vmcnt(0) lgkmcnt(0)
	v_and_b32_e32 v1, 0x7fffffff, v4
	v_cmp_eq_u32_e32 vcc, 0, v1
	v_cmp_eq_f32_e64 s[0:1], 0, v5
	s_and_b64 s[8:9], vcc, s[0:1]
	s_mov_b64 s[0:1], -1
	s_and_saveexec_b64 s[2:3], s[8:9]
; %bb.7:
	v_and_b32_e32 v1, 0x7fffffff, v3
	v_cmp_neq_f32_e32 vcc, 1.0, v2
	v_cmp_ne_u32_e64 s[0:1], 0, v1
	s_or_b64 s[0:1], vcc, s[0:1]
	s_orn2_b64 s[0:1], s[0:1], exec
; %bb.8:
	s_or_b64 exec, exec, s[2:3]
	s_and_saveexec_b64 s[2:3], s[0:1]
	s_cbranch_execz .LBB48_33
; %bb.9:
	s_load_dword s8, s[4:5], 0x18
	s_load_dwordx4 s[0:3], s[4:5], 0x8
	s_mov_b32 s9, 0
	v_subrev_u32_e32 v1, s10, v0
	v_mov_b32_e32 v9, 0
	s_waitcnt lgkmcnt(0)
	s_lshl_b64 s[8:9], s[8:9], 2
	s_add_u32 s2, s2, s8
	s_addc_u32 s3, s3, s9
	s_load_dword s2, s[2:3], 0x0
	v_mov_b32_e32 v8, v9
	s_waitcnt lgkmcnt(0)
	s_add_i32 s2, s2, s6
	s_ashr_i32 s3, s2, 31
	s_lshl_b64 s[2:3], s[2:3], 2
	s_add_u32 s0, s0, s2
	s_addc_u32 s1, s1, s3
	s_load_dword s6, s[0:1], 0x0
	s_load_dwordx2 s[2:3], s[4:5], 0x28
	s_waitcnt lgkmcnt(0)
	s_ashr_i32 s7, s6, 31
	s_lshl_b64 s[0:1], s[6:7], 2
	s_add_u32 s0, s2, s0
	s_addc_u32 s1, s3, s1
	s_load_dwordx2 s[2:3], s[0:1], 0x0
	s_load_dwordx2 s[8:9], s[4:5], 0x50
	s_waitcnt lgkmcnt(0)
	s_sub_i32 s11, s3, s10
	v_add_u32_e32 v6, s2, v1
	v_cmp_gt_i32_e32 vcc, s11, v6
	s_and_saveexec_b64 s[12:13], vcc
	s_cbranch_execz .LBB48_13
; %bb.10:
	s_load_dword s16, s[4:5], 0x0
	s_load_dwordx4 s[0:3], s[4:5], 0x30
	s_load_dwordx2 s[14:15], s[4:5], 0x40
	v_mov_b32_e32 v8, 0
	v_xor_b32_e32 v10, 0x80000000, v5
	s_waitcnt lgkmcnt(0)
	s_bitcmp1_b32 s16, 0
	v_mov_b32_e32 v11, v4
	s_cselect_b64 s[16:17], -1, 0
	s_mov_b64 s[4:5], 0
	v_mov_b32_e32 v1, s3
	v_mov_b32_e32 v12, s1
	;; [unrolled: 1-line block ×4, first 2 shown]
.LBB48_11:                              ; =>This Inner Loop Header: Depth=1
	v_ashrrev_i32_e32 v7, 31, v6
	v_lshlrev_b64 v[14:15], 2, v[6:7]
	v_add_co_u32_e32 v14, vcc, s0, v14
	v_addc_co_u32_e32 v15, vcc, v12, v15, vcc
	global_load_dword v16, v[14:15], off
	v_lshlrev_b64 v[14:15], 3, v[6:7]
	v_add_co_u32_e32 v14, vcc, s2, v14
	v_addc_co_u32_e32 v15, vcc, v1, v15, vcc
	global_load_dwordx2 v[14:15], v[14:15], off
	v_add_u32_e32 v6, 0x100, v6
	s_waitcnt vmcnt(1)
	v_subrev_u32_e32 v16, s10, v16
	v_ashrrev_i32_e32 v17, 31, v16
	v_lshlrev_b64 v[16:17], 3, v[16:17]
	v_add_co_u32_e32 v16, vcc, s14, v16
	v_addc_co_u32_e32 v17, vcc, v13, v17, vcc
	global_load_dwordx2 v[16:17], v[16:17], off
	s_waitcnt vmcnt(1)
	v_cndmask_b32_e64 v18, v15, -v15, s[16:17]
	v_pk_mul_f32 v[18:19], v[18:19], v[10:11] op_sel_hi:[0,1]
	v_pk_fma_f32 v[14:15], v[4:5], v[14:15], v[18:19] op_sel_hi:[1,0,1]
	v_cmp_le_i32_e32 vcc, s11, v6
	s_or_b64 s[4:5], vcc, s[4:5]
	s_waitcnt vmcnt(0)
	v_pk_fma_f32 v[8:9], v[14:15], v[16:17], v[8:9] op_sel_hi:[1,0,1]
	v_pk_fma_f32 v[8:9], v[14:15], v[16:17], v[8:9] op_sel:[1,1,0] op_sel_hi:[0,1,1] neg_lo:[1,0,0]
	s_andn2_b64 exec, exec, s[4:5]
	s_cbranch_execnz .LBB48_11
; %bb.12:
	s_or_b64 exec, exec, s[4:5]
.LBB48_13:
	s_or_b64 exec, exec, s[12:13]
	s_movk_i32 s0, 0x80
	v_lshlrev_b32_e32 v1, 3, v0
	v_cmp_gt_u32_e32 vcc, s0, v0
	ds_write_b64 v1, v[8:9]
	s_waitcnt lgkmcnt(0)
	s_barrier
	s_and_saveexec_b64 s[0:1], vcc
	s_cbranch_execz .LBB48_15
; %bb.14:
	ds_read2st64_b64 v[4:7], v1 offset1:2
	s_waitcnt lgkmcnt(0)
	v_pk_add_f32 v[4:5], v[6:7], v[4:5]
	ds_write_b64 v1, v[4:5]
.LBB48_15:
	s_or_b64 exec, exec, s[0:1]
	v_cmp_gt_u32_e32 vcc, 64, v0
	s_waitcnt lgkmcnt(0)
	s_barrier
	s_and_saveexec_b64 s[0:1], vcc
	s_cbranch_execz .LBB48_17
; %bb.16:
	ds_read2st64_b64 v[4:7], v1 offset1:1
	s_waitcnt lgkmcnt(0)
	v_pk_add_f32 v[4:5], v[6:7], v[4:5]
	ds_write_b64 v1, v[4:5]
.LBB48_17:
	s_or_b64 exec, exec, s[0:1]
	v_cmp_gt_u32_e32 vcc, 32, v0
	s_waitcnt lgkmcnt(0)
	s_barrier
	s_and_saveexec_b64 s[0:1], vcc
	s_cbranch_execz .LBB48_19
; %bb.18:
	ds_read2_b64 v[4:7], v1 offset1:32
	s_waitcnt lgkmcnt(0)
	v_pk_add_f32 v[4:5], v[6:7], v[4:5]
	ds_write_b64 v1, v[4:5]
.LBB48_19:
	s_or_b64 exec, exec, s[0:1]
	v_cmp_gt_u32_e32 vcc, 16, v0
	s_waitcnt lgkmcnt(0)
	s_barrier
	s_and_saveexec_b64 s[0:1], vcc
	s_cbranch_execz .LBB48_21
; %bb.20:
	ds_read2_b64 v[4:7], v1 offset1:16
	s_waitcnt lgkmcnt(0)
	v_pk_add_f32 v[4:5], v[6:7], v[4:5]
	ds_write_b64 v1, v[4:5]
.LBB48_21:
	;; [unrolled: 12-line block ×5, first 2 shown]
	s_or_b64 exec, exec, s[0:1]
	v_cmp_eq_u32_e32 vcc, 0, v0
	s_waitcnt lgkmcnt(0)
	s_barrier
	s_and_saveexec_b64 s[0:1], vcc
	s_cbranch_execz .LBB48_29
; %bb.28:
	v_mov_b32_e32 v8, 0
	ds_read2_b64 v[4:7], v8 offset1:1
	s_waitcnt lgkmcnt(0)
	v_pk_add_f32 v[0:1], v[6:7], v[4:5]
	ds_write_b64 v8, v[0:1]
.LBB48_29:
	s_or_b64 exec, exec, s[0:1]
	s_waitcnt lgkmcnt(0)
	s_barrier
	s_and_b64 exec, exec, vcc
	s_cbranch_execz .LBB48_33
; %bb.30:
	v_mov_b32_e32 v4, 0
	ds_read_b64 v[0:1], v4
	v_and_b32_e32 v5, 0x7fffffff, v2
	v_cmp_ne_u32_e32 vcc, 0, v5
	v_cmp_neq_f32_e64 s[0:1], 0, v3
	s_or_b64 s[2:3], vcc, s[0:1]
	s_and_saveexec_b64 s[0:1], s[2:3]
	s_cbranch_execz .LBB48_32
; %bb.31:
	s_lshl_b64 s[2:3], s[6:7], 3
	s_add_u32 s2, s8, s2
	s_addc_u32 s3, s9, s3
	s_load_dwordx2 s[2:3], s[2:3], 0x0
	v_xor_b32_e32 v6, 0x80000000, v3
	v_mov_b32_e32 v7, v2
	s_waitcnt lgkmcnt(0)
	v_pk_fma_f32 v[0:1], v[2:3], s[2:3], v[0:1] op_sel_hi:[1,0,1]
	v_pk_fma_f32 v[0:1], v[6:7], s[2:3], v[0:1] op_sel:[0,1,0]
.LBB48_32:
	s_or_b64 exec, exec, s[0:1]
	s_lshl_b64 s[0:1], s[6:7], 3
	s_add_u32 s0, s8, s0
	s_addc_u32 s1, s9, s1
	s_waitcnt lgkmcnt(0)
	global_store_dwordx2 v4, v[0:1], s[0:1]
.LBB48_33:
	s_endpgm
.LBB48_34:
	v_pk_mov_b32 v[2:3], s[8:9], s[8:9] op_sel:[0,1]
	flat_load_dword v5, v[2:3] offset:4
	s_and_b64 vcc, exec, s[0:1]
	v_mov_b32_e32 v2, s2
	s_cbranch_vccnz .LBB48_4
.LBB48_35:
	v_pk_mov_b32 v[2:3], s[2:3], s[2:3] op_sel:[0,1]
	flat_load_dword v2, v[2:3]
	s_and_b64 vcc, exec, s[0:1]
	v_mov_b32_e32 v3, s3
	s_cbranch_vccz .LBB48_5
	s_branch .LBB48_6
	.section	.rodata,"a",@progbits
	.p2align	6, 0x0
	.amdhsa_kernel _ZN9rocsparseL29csrmvn_lrb_medium_rows_kernelILj256Eii21rocsparse_complex_numIfES2_S2_S2_EEvbT0_PT1_S5_jNS_24const_host_device_scalarIT5_EEPKS3_PKS4_PKT2_PKT3_S8_PT4_21rocsparse_index_base_b
		.amdhsa_group_segment_fixed_size 2048
		.amdhsa_private_segment_fixed_size 0
		.amdhsa_kernarg_size 96
		.amdhsa_user_sgpr_count 6
		.amdhsa_user_sgpr_private_segment_buffer 1
		.amdhsa_user_sgpr_dispatch_ptr 0
		.amdhsa_user_sgpr_queue_ptr 0
		.amdhsa_user_sgpr_kernarg_segment_ptr 1
		.amdhsa_user_sgpr_dispatch_id 0
		.amdhsa_user_sgpr_flat_scratch_init 0
		.amdhsa_user_sgpr_kernarg_preload_length 0
		.amdhsa_user_sgpr_kernarg_preload_offset 0
		.amdhsa_user_sgpr_private_segment_size 0
		.amdhsa_uses_dynamic_stack 0
		.amdhsa_system_sgpr_private_segment_wavefront_offset 0
		.amdhsa_system_sgpr_workgroup_id_x 1
		.amdhsa_system_sgpr_workgroup_id_y 0
		.amdhsa_system_sgpr_workgroup_id_z 0
		.amdhsa_system_sgpr_workgroup_info 0
		.amdhsa_system_vgpr_workitem_id 0
		.amdhsa_next_free_vgpr 20
		.amdhsa_next_free_sgpr 18
		.amdhsa_accum_offset 20
		.amdhsa_reserve_vcc 1
		.amdhsa_reserve_flat_scratch 0
		.amdhsa_float_round_mode_32 0
		.amdhsa_float_round_mode_16_64 0
		.amdhsa_float_denorm_mode_32 3
		.amdhsa_float_denorm_mode_16_64 3
		.amdhsa_dx10_clamp 1
		.amdhsa_ieee_mode 1
		.amdhsa_fp16_overflow 0
		.amdhsa_tg_split 0
		.amdhsa_exception_fp_ieee_invalid_op 0
		.amdhsa_exception_fp_denorm_src 0
		.amdhsa_exception_fp_ieee_div_zero 0
		.amdhsa_exception_fp_ieee_overflow 0
		.amdhsa_exception_fp_ieee_underflow 0
		.amdhsa_exception_fp_ieee_inexact 0
		.amdhsa_exception_int_div_zero 0
	.end_amdhsa_kernel
	.section	.text._ZN9rocsparseL29csrmvn_lrb_medium_rows_kernelILj256Eii21rocsparse_complex_numIfES2_S2_S2_EEvbT0_PT1_S5_jNS_24const_host_device_scalarIT5_EEPKS3_PKS4_PKT2_PKT3_S8_PT4_21rocsparse_index_base_b,"axG",@progbits,_ZN9rocsparseL29csrmvn_lrb_medium_rows_kernelILj256Eii21rocsparse_complex_numIfES2_S2_S2_EEvbT0_PT1_S5_jNS_24const_host_device_scalarIT5_EEPKS3_PKS4_PKT2_PKT3_S8_PT4_21rocsparse_index_base_b,comdat
.Lfunc_end48:
	.size	_ZN9rocsparseL29csrmvn_lrb_medium_rows_kernelILj256Eii21rocsparse_complex_numIfES2_S2_S2_EEvbT0_PT1_S5_jNS_24const_host_device_scalarIT5_EEPKS3_PKS4_PKT2_PKT3_S8_PT4_21rocsparse_index_base_b, .Lfunc_end48-_ZN9rocsparseL29csrmvn_lrb_medium_rows_kernelILj256Eii21rocsparse_complex_numIfES2_S2_S2_EEvbT0_PT1_S5_jNS_24const_host_device_scalarIT5_EEPKS3_PKS4_PKT2_PKT3_S8_PT4_21rocsparse_index_base_b
                                        ; -- End function
	.section	.AMDGPU.csdata,"",@progbits
; Kernel info:
; codeLenInByte = 1248
; NumSgprs: 22
; NumVgprs: 20
; NumAgprs: 0
; TotalNumVgprs: 20
; ScratchSize: 0
; MemoryBound: 0
; FloatMode: 240
; IeeeMode: 1
; LDSByteSize: 2048 bytes/workgroup (compile time only)
; SGPRBlocks: 2
; VGPRBlocks: 2
; NumSGPRsForWavesPerEU: 22
; NumVGPRsForWavesPerEU: 20
; AccumOffset: 20
; Occupancy: 8
; WaveLimiterHint : 1
; COMPUTE_PGM_RSRC2:SCRATCH_EN: 0
; COMPUTE_PGM_RSRC2:USER_SGPR: 6
; COMPUTE_PGM_RSRC2:TRAP_HANDLER: 0
; COMPUTE_PGM_RSRC2:TGID_X_EN: 1
; COMPUTE_PGM_RSRC2:TGID_Y_EN: 0
; COMPUTE_PGM_RSRC2:TGID_Z_EN: 0
; COMPUTE_PGM_RSRC2:TIDIG_COMP_CNT: 0
; COMPUTE_PGM_RSRC3_GFX90A:ACCUM_OFFSET: 4
; COMPUTE_PGM_RSRC3_GFX90A:TG_SPLIT: 0
	.section	.text._ZN9rocsparseL27csrmvn_lrb_long_rows_kernelIii21rocsparse_complex_numIfES2_S2_S2_EEvbT_PjPT0_S6_jNS_24const_host_device_scalarIT4_EEPKS3_PKS5_PKT1_PKT2_S9_PT3_21rocsparse_index_base_b,"axG",@progbits,_ZN9rocsparseL27csrmvn_lrb_long_rows_kernelIii21rocsparse_complex_numIfES2_S2_S2_EEvbT_PjPT0_S6_jNS_24const_host_device_scalarIT4_EEPKS3_PKS5_PKT1_PKT2_S9_PT3_21rocsparse_index_base_b,comdat
	.globl	_ZN9rocsparseL27csrmvn_lrb_long_rows_kernelIii21rocsparse_complex_numIfES2_S2_S2_EEvbT_PjPT0_S6_jNS_24const_host_device_scalarIT4_EEPKS3_PKS5_PKT1_PKT2_S9_PT3_21rocsparse_index_base_b ; -- Begin function _ZN9rocsparseL27csrmvn_lrb_long_rows_kernelIii21rocsparse_complex_numIfES2_S2_S2_EEvbT_PjPT0_S6_jNS_24const_host_device_scalarIT4_EEPKS3_PKS5_PKT1_PKT2_S9_PT3_21rocsparse_index_base_b
	.p2align	8
	.type	_ZN9rocsparseL27csrmvn_lrb_long_rows_kernelIii21rocsparse_complex_numIfES2_S2_S2_EEvbT_PjPT0_S6_jNS_24const_host_device_scalarIT4_EEPKS3_PKS5_PKT1_PKT2_S9_PT3_21rocsparse_index_base_b,@function
_ZN9rocsparseL27csrmvn_lrb_long_rows_kernelIii21rocsparse_complex_numIfES2_S2_S2_EEvbT_PjPT0_S6_jNS_24const_host_device_scalarIT4_EEPKS3_PKS5_PKT1_PKT2_S9_PT3_21rocsparse_index_base_b: ; @_ZN9rocsparseL27csrmvn_lrb_long_rows_kernelIii21rocsparse_complex_numIfES2_S2_S2_EEvbT_PjPT0_S6_jNS_24const_host_device_scalarIT4_EEPKS3_PKS5_PKT1_PKT2_S9_PT3_21rocsparse_index_base_b
; %bb.0:
	s_load_dwordx2 s[16:17], s[4:5], 0x60
	s_load_dwordx2 s[8:9], s[4:5], 0x28
	;; [unrolled: 1-line block ×3, first 2 shown]
	s_waitcnt lgkmcnt(0)
	s_bitcmp1_b32 s17, 0
	s_cselect_b64 s[0:1], -1, 0
	s_xor_b64 s[10:11], s[0:1], -1
	s_and_b64 vcc, exec, s[0:1]
	v_mov_b32_e32 v2, s8
	s_cbranch_vccnz .LBB49_2
; %bb.1:
	v_pk_mov_b32 v[2:3], s[8:9], s[8:9] op_sel:[0,1]
	flat_load_dword v2, v[2:3]
.LBB49_2:
	v_cndmask_b32_e64 v1, 0, 1, s[10:11]
	v_cmp_ne_u32_e64 s[0:1], 1, v1
	s_andn2_b64 vcc, exec, s[10:11]
	v_mov_b32_e32 v3, s9
	s_cbranch_vccz .LBB49_39
; %bb.3:
	s_and_b64 vcc, exec, s[0:1]
	v_mov_b32_e32 v1, s2
	s_cbranch_vccz .LBB49_40
.LBB49_4:
	s_and_b64 vcc, exec, s[0:1]
	v_mov_b32_e32 v5, s3
	s_cbranch_vccnz .LBB49_6
.LBB49_5:
	v_pk_mov_b32 v[4:5], s[2:3], s[2:3] op_sel:[0,1]
	flat_load_dword v5, v[4:5] offset:4
.LBB49_6:
	s_waitcnt vmcnt(0) lgkmcnt(0)
	v_and_b32_e32 v4, 0x7fffffff, v2
	v_cmp_eq_u32_e32 vcc, 0, v4
	v_cmp_eq_f32_e64 s[0:1], 0, v3
	s_and_b64 s[8:9], vcc, s[0:1]
	s_mov_b64 s[0:1], -1
	s_and_saveexec_b64 s[2:3], s[8:9]
; %bb.7:
	v_cmp_neq_f32_e32 vcc, 1.0, v1
	v_cmp_neq_f32_e64 s[0:1], 0, v5
	s_or_b64 s[0:1], vcc, s[0:1]
	s_orn2_b64 s[0:1], s[0:1], exec
; %bb.8:
	s_or_b64 exec, exec, s[2:3]
	s_and_saveexec_b64 s[2:3], s[0:1]
	s_cbranch_execz .LBB49_48
; %bb.9:
	s_load_dword s10, s[4:5], 0x20
	s_load_dwordx2 s[0:1], s[4:5], 0x18
	s_mov_b32 s11, 0
	s_waitcnt lgkmcnt(0)
	s_lshl_b64 s[2:3], s[10:11], 2
	s_add_u32 s8, s0, s2
	s_addc_u32 s9, s1, s3
	s_lshl_b32 s0, -1, s10
	s_not_b32 s0, s0
	s_mul_hi_u32 s0, s0, 0x2aaaaaab
	s_lshr_b32 s7, s0, 7
	s_add_i32 s10, s7, 1
	v_cvt_f32_u32_e32 v4, s10
	s_load_dwordx4 s[0:3], s[4:5], 0x8
	s_load_dword s12, s[8:9], 0x0
	s_not_b32 s7, s7
	v_rcp_iflag_f32_e32 v4, v4
	v_mul_f32_e32 v4, 0x4f7ffffe, v4
	v_cvt_u32_f32_e32 v4, v4
	v_readfirstlane_b32 s8, v4
	s_mul_i32 s7, s7, s8
	s_mul_hi_u32 s7, s8, s7
	s_add_i32 s8, s8, s7
	s_mul_hi_u32 s7, s6, s8
	s_mul_i32 s8, s7, s10
	s_sub_i32 s8, s6, s8
	s_add_i32 s9, s7, 1
	s_sub_i32 s13, s8, s10
	s_cmp_ge_u32 s8, s10
	s_cselect_b32 s7, s9, s7
	s_cselect_b32 s8, s13, s8
	s_add_i32 s9, s7, 1
	s_cmp_ge_u32 s8, s10
	s_cselect_b32 s7, s9, s7
	s_waitcnt lgkmcnt(0)
	s_add_i32 s8, s7, s12
	s_mul_i32 s14, s7, s10
	s_ashr_i32 s9, s8, 31
	s_sub_i32 s24, s6, s14
	s_lshl_b64 s[8:9], s[8:9], 2
	s_add_u32 s8, s2, s8
	s_addc_u32 s9, s3, s9
	s_load_dword s12, s[8:9], 0x0
	s_load_dwordx2 s[18:19], s[4:5], 0x30
	s_load_dwordx2 s[2:3], s[4:5], 0x58
	v_or_b32_e32 v4, s24, v0
	s_mov_b32 s10, s11
	s_waitcnt lgkmcnt(0)
	s_ashr_i32 s13, s12, 31
	s_lshl_b64 s[8:9], s[12:13], 2
	s_add_u32 s8, s18, s8
	s_addc_u32 s9, s19, s9
	s_ashr_i32 s7, s6, 31
	s_lshl_b64 s[6:7], s[6:7], 2
	s_add_u32 s6, s0, s6
	s_addc_u32 s7, s1, s7
	s_load_dwordx2 s[8:9], s[8:9], 0x0
	v_cmp_eq_u32_e32 vcc, 0, v4
	s_load_dword s17, s[6:7], 0x0
	v_pk_mov_b32 v[6:7], s[10:11], s[10:11] op_sel:[0,1]
	s_and_saveexec_b64 s[10:11], vcc
	s_cbranch_execz .LBB49_13
; %bb.10:
	s_lshl_b64 s[18:19], s[12:13], 3
	s_add_u32 s18, s2, s18
	s_addc_u32 s19, s3, s19
	s_load_dwordx2 s[18:19], s[18:19], 0x0
	s_mov_b64 s[20:21], exec
	v_add_f32_e32 v7, -1.0, v1
	v_mbcnt_lo_u32_b32 v1, s20, 0
	v_xor_b32_e32 v6, 0x80000000, v5
	v_mbcnt_hi_u32_b32 v1, s21, v1
	v_mov_b32_e32 v4, v7
	s_waitcnt lgkmcnt(0)
	v_pk_mul_f32 v[6:7], s[18:19], v[6:7] op_sel:[1,0]
	v_cmp_eq_u32_e32 vcc, 0, v1
	s_waitcnt vmcnt(0) expcnt(0) lgkmcnt(0)
	s_and_saveexec_b64 s[22:23], vcc
	s_cbranch_execz .LBB49_12
; %bb.11:
	s_ashr_i32 s15, s14, 31
	s_lshl_b64 s[26:27], s[14:15], 2
	s_add_u32 s26, s0, s26
	s_addc_u32 s27, s1, s27
	s_bcnt1_i32_b64 s15, s[20:21]
	s_and_b32 s15, s15, 1
	v_mov_b32_e32 v1, 0
	v_mov_b32_e32 v8, s15
	global_atomic_xor v1, v8, s[26:27]
.LBB49_12:
	s_or_b64 exec, exec, s[22:23]
	v_pk_fma_f32 v[6:7], v[4:5], s[18:19], v[6:7] op_sel_hi:[1,0,1]
.LBB49_13:
	s_or_b64 exec, exec, s[10:11]
	s_mul_i32 s10, s24, 0x300
	s_sub_i32 s10, s10, s16
	s_waitcnt lgkmcnt(0)
	s_add_i32 s8, s10, s8
	s_sub_i32 s9, s9, s16
	s_add_i32 s10, s8, 0x300
	s_min_i32 s15, s10, s9
	v_add_u32_e32 v4, s8, v0
	v_cmp_gt_i32_e32 vcc, s15, v4
	s_and_saveexec_b64 s[18:19], vcc
	s_cbranch_execz .LBB49_17
; %bb.14:
	s_load_dword s22, s[4:5], 0x0
	s_load_dwordx4 s[8:11], s[4:5], 0x38
	s_load_dwordx2 s[20:21], s[4:5], 0x48
	v_xor_b32_e32 v8, 0x80000000, v3
	v_mov_b32_e32 v9, v2
	s_waitcnt lgkmcnt(0)
	s_bitcmp1_b32 s22, 0
	s_cselect_b64 s[22:23], -1, 0
	s_mov_b64 s[4:5], 0
	v_mov_b32_e32 v1, s11
	v_mov_b32_e32 v10, s9
	;; [unrolled: 1-line block ×3, first 2 shown]
.LBB49_15:                              ; =>This Inner Loop Header: Depth=1
	v_ashrrev_i32_e32 v5, 31, v4
	v_lshlrev_b64 v[12:13], 2, v[4:5]
	v_add_co_u32_e32 v12, vcc, s8, v12
	v_addc_co_u32_e32 v13, vcc, v10, v13, vcc
	global_load_dword v14, v[12:13], off
	v_lshlrev_b64 v[12:13], 3, v[4:5]
	v_add_co_u32_e32 v12, vcc, s10, v12
	v_addc_co_u32_e32 v13, vcc, v1, v13, vcc
	global_load_dwordx2 v[12:13], v[12:13], off
	v_add_u32_e32 v4, 0x100, v4
	s_waitcnt vmcnt(1)
	v_subrev_u32_e32 v14, s16, v14
	v_ashrrev_i32_e32 v15, 31, v14
	v_lshlrev_b64 v[14:15], 3, v[14:15]
	v_add_co_u32_e32 v14, vcc, s20, v14
	v_addc_co_u32_e32 v15, vcc, v11, v15, vcc
	global_load_dwordx2 v[14:15], v[14:15], off
	s_waitcnt vmcnt(1)
	v_cndmask_b32_e64 v16, v13, -v13, s[22:23]
	v_pk_mul_f32 v[16:17], v[16:17], v[8:9] op_sel_hi:[0,1]
	v_pk_fma_f32 v[12:13], v[2:3], v[12:13], v[16:17] op_sel_hi:[1,0,1]
	v_cmp_le_i32_e32 vcc, s15, v4
	s_or_b64 s[4:5], vcc, s[4:5]
	s_waitcnt vmcnt(0)
	v_pk_fma_f32 v[6:7], v[12:13], v[14:15], v[6:7] op_sel_hi:[1,0,1]
	v_pk_fma_f32 v[6:7], v[12:13], v[14:15], v[6:7] op_sel:[1,1,0] op_sel_hi:[0,1,1] neg_lo:[1,0,0]
	s_andn2_b64 exec, exec, s[4:5]
	s_cbranch_execnz .LBB49_15
; %bb.16:
	s_or_b64 exec, exec, s[4:5]
.LBB49_17:
	s_or_b64 exec, exec, s[18:19]
	s_movk_i32 s4, 0x80
	v_lshlrev_b32_e32 v1, 3, v0
	v_cmp_gt_u32_e32 vcc, s4, v0
	ds_write_b64 v1, v[6:7]
	s_waitcnt lgkmcnt(0)
	s_barrier
	s_and_saveexec_b64 s[4:5], vcc
	s_cbranch_execz .LBB49_19
; %bb.18:
	ds_read2st64_b64 v[2:5], v1 offset1:2
	s_waitcnt lgkmcnt(0)
	v_pk_add_f32 v[2:3], v[4:5], v[2:3]
	ds_write_b64 v1, v[2:3]
.LBB49_19:
	s_or_b64 exec, exec, s[4:5]
	v_cmp_gt_u32_e32 vcc, 64, v0
	s_waitcnt lgkmcnt(0)
	s_barrier
	s_and_saveexec_b64 s[4:5], vcc
	s_cbranch_execz .LBB49_21
; %bb.20:
	ds_read2st64_b64 v[2:5], v1 offset1:1
	s_waitcnt lgkmcnt(0)
	v_pk_add_f32 v[2:3], v[4:5], v[2:3]
	ds_write_b64 v1, v[2:3]
.LBB49_21:
	s_or_b64 exec, exec, s[4:5]
	v_cmp_gt_u32_e32 vcc, 32, v0
	s_waitcnt lgkmcnt(0)
	s_barrier
	s_and_saveexec_b64 s[4:5], vcc
	s_cbranch_execz .LBB49_23
; %bb.22:
	ds_read2_b64 v[2:5], v1 offset1:32
	s_waitcnt lgkmcnt(0)
	v_pk_add_f32 v[2:3], v[4:5], v[2:3]
	ds_write_b64 v1, v[2:3]
.LBB49_23:
	s_or_b64 exec, exec, s[4:5]
	v_cmp_gt_u32_e32 vcc, 16, v0
	s_waitcnt lgkmcnt(0)
	s_barrier
	s_and_saveexec_b64 s[4:5], vcc
	s_cbranch_execz .LBB49_25
; %bb.24:
	ds_read2_b64 v[2:5], v1 offset1:16
	s_waitcnt lgkmcnt(0)
	v_pk_add_f32 v[2:3], v[4:5], v[2:3]
	ds_write_b64 v1, v[2:3]
.LBB49_25:
	;; [unrolled: 12-line block ×5, first 2 shown]
	s_or_b64 exec, exec, s[4:5]
	v_cmp_eq_u32_e32 vcc, 0, v0
	s_waitcnt lgkmcnt(0)
	s_barrier
	s_and_saveexec_b64 s[4:5], vcc
	s_cbranch_execz .LBB49_33
; %bb.32:
	v_mov_b32_e32 v4, 0
	ds_read2_b64 v[0:3], v4 offset1:1
	s_waitcnt lgkmcnt(0)
	v_pk_add_f32 v[0:1], v[2:3], v[0:1]
	ds_write_b64 v4, v[0:1]
.LBB49_33:
	s_or_b64 exec, exec, s[4:5]
	s_waitcnt lgkmcnt(0)
	s_barrier
	s_and_b64 exec, exec, vcc
	s_cbranch_execz .LBB49_48
; %bb.34:
	s_cmp_eq_u32 s24, 0
	s_cbranch_scc1 .LBB49_42
; %bb.35:
	s_ashr_i32 s15, s14, 31
	s_lshl_b64 s[4:5], s[14:15], 2
	s_add_u32 s0, s0, s4
	s_addc_u32 s1, s1, s5
	v_mov_b32_e32 v0, 0
	s_branch .LBB49_37
.LBB49_36:                              ;   in Loop: Header=BB49_37 Depth=1
	s_or_b64 exec, exec, s[4:5]
	s_waitcnt vmcnt(0)
	v_readfirstlane_b32 s4, v1
	s_cmp_eq_u32 s4, s17
	s_cbranch_scc0 .LBB49_41
.LBB49_37:                              ; =>This Inner Loop Header: Depth=1
	v_mbcnt_lo_u32_b32 v1, exec_lo, 0
	v_mbcnt_hi_u32_b32 v1, exec_hi, v1
	v_cmp_eq_u32_e32 vcc, 0, v1
                                        ; implicit-def: $vgpr1
	s_and_saveexec_b64 s[4:5], vcc
	s_cbranch_execz .LBB49_36
; %bb.38:                               ;   in Loop: Header=BB49_37 Depth=1
	global_load_dword v1, v0, s[0:1] glc
	s_branch .LBB49_36
.LBB49_39:
	v_pk_mov_b32 v[4:5], s[8:9], s[8:9] op_sel:[0,1]
	flat_load_dword v3, v[4:5] offset:4
	s_and_b64 vcc, exec, s[0:1]
	v_mov_b32_e32 v1, s2
	s_cbranch_vccnz .LBB49_4
.LBB49_40:
	v_pk_mov_b32 v[4:5], s[2:3], s[2:3] op_sel:[0,1]
	flat_load_dword v1, v[4:5]
	s_and_b64 vcc, exec, s[0:1]
	v_mov_b32_e32 v5, s3
	s_cbranch_vccz .LBB49_5
	s_branch .LBB49_6
.LBB49_41:
	v_mov_b32_e32 v0, 0
	global_load_dword v1, v0, s[6:7]
	s_waitcnt vmcnt(0)
	v_xor_b32_e32 v1, 1, v1
	global_store_dword v0, v1, s[6:7]
.LBB49_42:
	v_mov_b32_e32 v4, 0
	ds_read_b64 v[0:1], v4
	s_mov_b64 s[4:5], exec
	s_lshl_b64 s[0:1], s[12:13], 3
	v_mbcnt_lo_u32_b32 v2, s4, 0
	s_add_u32 s0, s2, s0
	v_mbcnt_hi_u32_b32 v2, s5, v2
	s_addc_u32 s1, s3, s1
	v_cmp_eq_u32_e32 vcc, 0, v2
	s_and_saveexec_b64 s[2:3], vcc
	s_cbranch_execz .LBB49_45
; %bb.43:
	global_load_dword v3, v4, s[0:1]
	s_bcnt1_i32_b64 s4, s[4:5]
	v_cvt_f32_ubyte0_e32 v2, s4
	s_waitcnt lgkmcnt(0)
	v_mul_f32_e32 v0, v0, v2
	s_mov_b64 s[4:5], 0
.LBB49_44:                              ; =>This Inner Loop Header: Depth=1
	s_waitcnt vmcnt(0)
	v_add_f32_e32 v2, v3, v0
	global_atomic_cmpswap v2, v4, v[2:3], s[0:1] glc
	s_waitcnt vmcnt(0)
	v_cmp_eq_u32_e32 vcc, v2, v3
	s_or_b64 s[4:5], vcc, s[4:5]
	v_mov_b32_e32 v3, v2
	s_andn2_b64 exec, exec, s[4:5]
	s_cbranch_execnz .LBB49_44
.LBB49_45:
	s_or_b64 exec, exec, s[2:3]
	s_mov_b64 s[2:3], exec
	s_waitcnt lgkmcnt(0)
	v_mbcnt_lo_u32_b32 v0, s2, 0
	v_mbcnt_hi_u32_b32 v0, s3, v0
	v_cmp_eq_u32_e32 vcc, 0, v0
	s_and_b64 s[4:5], exec, vcc
	s_mov_b64 exec, s[4:5]
	s_cbranch_execz .LBB49_48
; %bb.46:
	v_mov_b32_e32 v0, 0
	global_load_dword v3, v0, s[0:1] offset:4
	s_bcnt1_i32_b64 s2, s[2:3]
	v_cvt_f32_ubyte0_e32 v2, s2
	v_mul_f32_e32 v1, v1, v2
	s_mov_b64 s[2:3], 0
.LBB49_47:                              ; =>This Inner Loop Header: Depth=1
	s_waitcnt vmcnt(0)
	v_add_f32_e32 v2, v3, v1
	global_atomic_cmpswap v2, v0, v[2:3], s[0:1] offset:4 glc
	s_waitcnt vmcnt(0)
	v_cmp_eq_u32_e32 vcc, v2, v3
	s_or_b64 s[2:3], vcc, s[2:3]
	v_mov_b32_e32 v3, v2
	s_andn2_b64 exec, exec, s[2:3]
	s_cbranch_execnz .LBB49_47
.LBB49_48:
	s_endpgm
	.section	.rodata,"a",@progbits
	.p2align	6, 0x0
	.amdhsa_kernel _ZN9rocsparseL27csrmvn_lrb_long_rows_kernelIii21rocsparse_complex_numIfES2_S2_S2_EEvbT_PjPT0_S6_jNS_24const_host_device_scalarIT4_EEPKS3_PKS5_PKT1_PKT2_S9_PT3_21rocsparse_index_base_b
		.amdhsa_group_segment_fixed_size 2048
		.amdhsa_private_segment_fixed_size 0
		.amdhsa_kernarg_size 104
		.amdhsa_user_sgpr_count 6
		.amdhsa_user_sgpr_private_segment_buffer 1
		.amdhsa_user_sgpr_dispatch_ptr 0
		.amdhsa_user_sgpr_queue_ptr 0
		.amdhsa_user_sgpr_kernarg_segment_ptr 1
		.amdhsa_user_sgpr_dispatch_id 0
		.amdhsa_user_sgpr_flat_scratch_init 0
		.amdhsa_user_sgpr_kernarg_preload_length 0
		.amdhsa_user_sgpr_kernarg_preload_offset 0
		.amdhsa_user_sgpr_private_segment_size 0
		.amdhsa_uses_dynamic_stack 0
		.amdhsa_system_sgpr_private_segment_wavefront_offset 0
		.amdhsa_system_sgpr_workgroup_id_x 1
		.amdhsa_system_sgpr_workgroup_id_y 0
		.amdhsa_system_sgpr_workgroup_id_z 0
		.amdhsa_system_sgpr_workgroup_info 0
		.amdhsa_system_vgpr_workitem_id 0
		.amdhsa_next_free_vgpr 18
		.amdhsa_next_free_sgpr 28
		.amdhsa_accum_offset 20
		.amdhsa_reserve_vcc 1
		.amdhsa_reserve_flat_scratch 0
		.amdhsa_float_round_mode_32 0
		.amdhsa_float_round_mode_16_64 0
		.amdhsa_float_denorm_mode_32 3
		.amdhsa_float_denorm_mode_16_64 3
		.amdhsa_dx10_clamp 1
		.amdhsa_ieee_mode 1
		.amdhsa_fp16_overflow 0
		.amdhsa_tg_split 0
		.amdhsa_exception_fp_ieee_invalid_op 0
		.amdhsa_exception_fp_denorm_src 0
		.amdhsa_exception_fp_ieee_div_zero 0
		.amdhsa_exception_fp_ieee_overflow 0
		.amdhsa_exception_fp_ieee_underflow 0
		.amdhsa_exception_fp_ieee_inexact 0
		.amdhsa_exception_int_div_zero 0
	.end_amdhsa_kernel
	.section	.text._ZN9rocsparseL27csrmvn_lrb_long_rows_kernelIii21rocsparse_complex_numIfES2_S2_S2_EEvbT_PjPT0_S6_jNS_24const_host_device_scalarIT4_EEPKS3_PKS5_PKT1_PKT2_S9_PT3_21rocsparse_index_base_b,"axG",@progbits,_ZN9rocsparseL27csrmvn_lrb_long_rows_kernelIii21rocsparse_complex_numIfES2_S2_S2_EEvbT_PjPT0_S6_jNS_24const_host_device_scalarIT4_EEPKS3_PKS5_PKT1_PKT2_S9_PT3_21rocsparse_index_base_b,comdat
.Lfunc_end49:
	.size	_ZN9rocsparseL27csrmvn_lrb_long_rows_kernelIii21rocsparse_complex_numIfES2_S2_S2_EEvbT_PjPT0_S6_jNS_24const_host_device_scalarIT4_EEPKS3_PKS5_PKT1_PKT2_S9_PT3_21rocsparse_index_base_b, .Lfunc_end49-_ZN9rocsparseL27csrmvn_lrb_long_rows_kernelIii21rocsparse_complex_numIfES2_S2_S2_EEvbT_PjPT0_S6_jNS_24const_host_device_scalarIT4_EEPKS3_PKS5_PKT1_PKT2_S9_PT3_21rocsparse_index_base_b
                                        ; -- End function
	.section	.AMDGPU.csdata,"",@progbits
; Kernel info:
; codeLenInByte = 1796
; NumSgprs: 32
; NumVgprs: 18
; NumAgprs: 0
; TotalNumVgprs: 18
; ScratchSize: 0
; MemoryBound: 0
; FloatMode: 240
; IeeeMode: 1
; LDSByteSize: 2048 bytes/workgroup (compile time only)
; SGPRBlocks: 3
; VGPRBlocks: 2
; NumSGPRsForWavesPerEU: 32
; NumVGPRsForWavesPerEU: 18
; AccumOffset: 20
; Occupancy: 8
; WaveLimiterHint : 1
; COMPUTE_PGM_RSRC2:SCRATCH_EN: 0
; COMPUTE_PGM_RSRC2:USER_SGPR: 6
; COMPUTE_PGM_RSRC2:TRAP_HANDLER: 0
; COMPUTE_PGM_RSRC2:TGID_X_EN: 1
; COMPUTE_PGM_RSRC2:TGID_Y_EN: 0
; COMPUTE_PGM_RSRC2:TGID_Z_EN: 0
; COMPUTE_PGM_RSRC2:TIDIG_COMP_CNT: 0
; COMPUTE_PGM_RSRC3_GFX90A:ACCUM_OFFSET: 4
; COMPUTE_PGM_RSRC3_GFX90A:TG_SPLIT: 0
	.section	.text._ZN9rocsparseL28csrmvn_lrb_short_rows_kernelIli21rocsparse_complex_numIfES2_S2_S2_EEvbT_PT0_S5_jNS_24const_host_device_scalarIT4_EEPKS3_PKS4_PKT1_PKT2_S8_PT3_21rocsparse_index_base_b,"axG",@progbits,_ZN9rocsparseL28csrmvn_lrb_short_rows_kernelIli21rocsparse_complex_numIfES2_S2_S2_EEvbT_PT0_S5_jNS_24const_host_device_scalarIT4_EEPKS3_PKS4_PKT1_PKT2_S8_PT3_21rocsparse_index_base_b,comdat
	.globl	_ZN9rocsparseL28csrmvn_lrb_short_rows_kernelIli21rocsparse_complex_numIfES2_S2_S2_EEvbT_PT0_S5_jNS_24const_host_device_scalarIT4_EEPKS3_PKS4_PKT1_PKT2_S8_PT3_21rocsparse_index_base_b ; -- Begin function _ZN9rocsparseL28csrmvn_lrb_short_rows_kernelIli21rocsparse_complex_numIfES2_S2_S2_EEvbT_PT0_S5_jNS_24const_host_device_scalarIT4_EEPKS3_PKS4_PKT1_PKT2_S8_PT3_21rocsparse_index_base_b
	.p2align	8
	.type	_ZN9rocsparseL28csrmvn_lrb_short_rows_kernelIli21rocsparse_complex_numIfES2_S2_S2_EEvbT_PT0_S5_jNS_24const_host_device_scalarIT4_EEPKS3_PKS4_PKT1_PKT2_S8_PT3_21rocsparse_index_base_b,@function
_ZN9rocsparseL28csrmvn_lrb_short_rows_kernelIli21rocsparse_complex_numIfES2_S2_S2_EEvbT_PT0_S5_jNS_24const_host_device_scalarIT4_EEPKS3_PKS4_PKT1_PKT2_S8_PT3_21rocsparse_index_base_b: ; @_ZN9rocsparseL28csrmvn_lrb_short_rows_kernelIli21rocsparse_complex_numIfES2_S2_S2_EEvbT_PT0_S5_jNS_24const_host_device_scalarIT4_EEPKS3_PKS4_PKT1_PKT2_S8_PT3_21rocsparse_index_base_b
; %bb.0:
	s_load_dwordx2 s[16:17], s[4:5], 0x60
	s_load_dwordx2 s[8:9], s[4:5], 0x28
	;; [unrolled: 1-line block ×3, first 2 shown]
	s_waitcnt lgkmcnt(0)
	s_bitcmp1_b32 s17, 0
	s_cselect_b64 s[0:1], -1, 0
	s_xor_b64 s[10:11], s[0:1], -1
	s_and_b64 vcc, exec, s[0:1]
	v_mov_b32_e32 v8, s8
	s_cbranch_vccnz .LBB50_2
; %bb.1:
	v_pk_mov_b32 v[2:3], s[8:9], s[8:9] op_sel:[0,1]
	flat_load_dword v8, v[2:3]
.LBB50_2:
	v_cndmask_b32_e64 v1, 0, 1, s[10:11]
	v_cmp_ne_u32_e64 s[0:1], 1, v1
	s_andn2_b64 vcc, exec, s[10:11]
	v_mov_b32_e32 v9, s9
	s_cbranch_vccz .LBB50_17
; %bb.3:
	s_and_b64 vcc, exec, s[0:1]
	v_mov_b32_e32 v6, s2
	s_cbranch_vccz .LBB50_18
.LBB50_4:
	s_and_b64 vcc, exec, s[0:1]
	v_mov_b32_e32 v7, s3
	s_cbranch_vccnz .LBB50_6
.LBB50_5:
	v_pk_mov_b32 v[2:3], s[2:3], s[2:3] op_sel:[0,1]
	flat_load_dword v7, v[2:3] offset:4
.LBB50_6:
	s_waitcnt vmcnt(0) lgkmcnt(0)
	v_and_b32_e32 v1, 0x7fffffff, v8
	v_cmp_eq_u32_e32 vcc, 0, v1
	v_cmp_eq_f32_e64 s[0:1], 0, v9
	s_and_b64 s[8:9], vcc, s[0:1]
	s_mov_b64 s[0:1], -1
	s_and_saveexec_b64 s[2:3], s[8:9]
; %bb.7:
	v_and_b32_e32 v1, 0x7fffffff, v7
	v_cmp_neq_f32_e32 vcc, 1.0, v6
	v_cmp_ne_u32_e64 s[0:1], 0, v1
	s_or_b64 s[0:1], vcc, s[0:1]
	s_orn2_b64 s[0:1], s[0:1], exec
; %bb.8:
	s_or_b64 exec, exec, s[2:3]
	s_and_saveexec_b64 s[2:3], s[0:1]
	s_cbranch_execz .LBB50_25
; %bb.9:
	s_load_dword s18, s[4:5], 0x20
	s_load_dwordx4 s[0:3], s[4:5], 0x10
	s_mov_b32 s22, 0
	s_mov_b32 s19, s22
	s_mov_b32 s11, s22
	s_waitcnt lgkmcnt(0)
	s_lshl_b64 s[8:9], s[18:19], 2
	s_add_u32 s8, s2, s8
	s_addc_u32 s9, s3, s9
	s_add_i32 s10, s18, 1
	s_lshl_b64 s[10:11], s[10:11], 2
	s_add_u32 s2, s2, s10
	s_addc_u32 s3, s3, s11
	s_load_dword s17, s[8:9], 0x0
	s_load_dword s7, s[2:3], 0x0
	s_lshl_b32 s19, s6, 8
	s_add_i32 s3, s19, 0x100
	s_waitcnt lgkmcnt(0)
	s_sub_i32 s2, s7, s17
	s_min_u32 s23, s2, s3
	s_cmp_gt_u32 s18, 23
	s_cbranch_scc1 .LBB50_19
; %bb.10:
	s_load_dword s2, s[4:5], 0x0
	s_load_dwordx8 s[8:15], s[4:5], 0x30
	s_lshl_b32 s24, 0x100, s18
	v_mov_b32_e32 v13, 0
	v_bfe_u32 v10, v0, 0, s18
	s_waitcnt lgkmcnt(0)
	s_bitcmp1_b32 s2, 0
	s_cselect_b64 s[2:3], -1, 0
	v_mov_b32_e32 v11, v13
	v_xor_b32_e32 v14, 0x80000000, v9
	v_mov_b32_e32 v15, v8
	v_lshl_add_u32 v1, v0, 3, 0
	s_mov_b32 s25, s22
	s_branch .LBB50_12
.LBB50_11:                              ;   in Loop: Header=BB50_12 Depth=1
	s_or_b64 exec, exec, s[6:7]
	s_addk_i32 s25, 0x100
	s_cmp_ge_u32 s25, s24
	v_add_u32_e32 v1, 0x800, v1
	s_cbranch_scc1 .LBB50_19
.LBB50_12:                              ; =>This Inner Loop Header: Depth=1
	v_add_u32_e32 v2, s25, v0
	v_lshrrev_b32_e32 v2, s18, v2
	v_add_u32_e32 v2, s19, v2
	v_cmp_gt_u32_e32 vcc, s23, v2
	s_and_saveexec_b64 s[6:7], vcc
	s_cbranch_execz .LBB50_11
; %bb.13:                               ;   in Loop: Header=BB50_12 Depth=1
	v_add_u32_e32 v12, s17, v2
	v_lshlrev_b64 v[2:3], 2, v[12:13]
	v_mov_b32_e32 v4, s1
	v_add_co_u32_e32 v2, vcc, s0, v2
	v_addc_co_u32_e32 v3, vcc, v4, v3, vcc
	global_load_dword v2, v[2:3], off
	v_mov_b32_e32 v4, s9
	s_waitcnt vmcnt(0)
	v_ashrrev_i32_e32 v3, 31, v2
	v_lshlrev_b64 v[2:3], 3, v[2:3]
	v_add_co_u32_e32 v2, vcc, s8, v2
	v_addc_co_u32_e32 v3, vcc, v4, v3, vcc
	global_load_dwordx4 v[2:5], v[2:3], off
	s_waitcnt vmcnt(0)
	v_sub_co_u32_e32 v4, vcc, v4, v2
	v_subb_co_u32_e32 v5, vcc, v5, v3, vcc
	v_cmp_le_i64_e32 vcc, v[4:5], v[10:11]
	s_and_saveexec_b64 s[20:21], vcc
	s_xor_b64 s[20:21], exec, s[20:21]
	s_cbranch_execz .LBB50_15
; %bb.14:                               ;   in Loop: Header=BB50_12 Depth=1
	ds_write2_b32 v1, v13, v13 offset1:1
                                        ; implicit-def: $vgpr2_vgpr3
.LBB50_15:                              ;   in Loop: Header=BB50_12 Depth=1
	s_andn2_saveexec_b64 s[20:21], s[20:21]
	s_cbranch_execz .LBB50_11
; %bb.16:                               ;   in Loop: Header=BB50_12 Depth=1
	v_mov_b32_e32 v4, s22
	v_subrev_co_u32_e32 v2, vcc, s16, v2
	v_subb_co_u32_e32 v3, vcc, v3, v4, vcc
	v_add_co_u32_e32 v2, vcc, v2, v10
	v_addc_co_u32_e32 v3, vcc, 0, v3, vcc
	v_lshlrev_b64 v[4:5], 2, v[2:3]
	v_mov_b32_e32 v12, s11
	v_add_co_u32_e32 v4, vcc, s10, v4
	v_addc_co_u32_e32 v5, vcc, v12, v5, vcc
	global_load_dword v4, v[4:5], off
	v_lshlrev_b64 v[2:3], 3, v[2:3]
	v_mov_b32_e32 v5, s13
	v_add_co_u32_e32 v2, vcc, s12, v2
	v_addc_co_u32_e32 v3, vcc, v5, v3, vcc
	global_load_dwordx2 v[2:3], v[2:3], off
	v_mov_b32_e32 v12, s15
	s_waitcnt vmcnt(1)
	v_subrev_u32_e32 v4, s16, v4
	v_ashrrev_i32_e32 v5, 31, v4
	v_lshlrev_b64 v[4:5], 3, v[4:5]
	v_add_co_u32_e32 v4, vcc, s14, v4
	v_addc_co_u32_e32 v5, vcc, v12, v5, vcc
	global_load_dwordx2 v[4:5], v[4:5], off
	s_waitcnt vmcnt(1)
	v_cndmask_b32_e64 v12, v3, -v3, s[2:3]
	v_pk_mul_f32 v[16:17], v[12:13], v[14:15] op_sel_hi:[0,1]
	v_pk_fma_f32 v[2:3], v[8:9], v[2:3], v[16:17] op_sel_hi:[1,0,1]
	s_waitcnt vmcnt(0)
	v_pk_mul_f32 v[16:17], v[4:5], v[2:3] op_sel:[1,1] op_sel_hi:[1,0] neg_lo:[0,1]
	v_pk_fma_f32 v[2:3], v[2:3], v[4:5], v[16:17] op_sel_hi:[1,0,1]
	ds_write2_b32 v1, v2, v3 offset1:1
	s_branch .LBB50_11
.LBB50_17:
	v_pk_mov_b32 v[2:3], s[8:9], s[8:9] op_sel:[0,1]
	flat_load_dword v9, v[2:3] offset:4
	s_and_b64 vcc, exec, s[0:1]
	v_mov_b32_e32 v6, s2
	s_cbranch_vccnz .LBB50_4
.LBB50_18:
	v_pk_mov_b32 v[2:3], s[2:3], s[2:3] op_sel:[0,1]
	flat_load_dword v6, v[2:3]
	s_and_b64 vcc, exec, s[0:1]
	v_mov_b32_e32 v7, s3
	s_cbranch_vccz .LBB50_5
	s_branch .LBB50_6
.LBB50_19:
	s_sub_i32 s2, s23, s19
	v_cmp_gt_u32_e32 vcc, s2, v0
	s_waitcnt lgkmcnt(0)
	s_barrier
	s_and_b64 exec, exec, vcc
	s_cbranch_execz .LBB50_25
; %bb.20:
	s_add_i32 s17, s17, s19
	v_add_u32_e32 v2, s17, v0
	v_mov_b32_e32 v3, 0
	v_lshlrev_b64 v[4:5], 2, v[2:3]
	v_mov_b32_e32 v1, s1
	v_add_co_u32_e32 v4, vcc, s0, v4
	v_addc_co_u32_e32 v5, vcc, v1, v5, vcc
	global_load_dword v4, v[4:5], off
	s_load_dwordx2 s[2:3], s[4:5], 0x58
	v_lshlrev_b32_e32 v0, s18, v0
	v_lshl_add_u32 v0, v0, 3, 0
	s_mov_b32 s0, 1
	v_mov_b32_e32 v2, v3
.LBB50_21:                              ; =>This Inner Loop Header: Depth=1
	ds_read2_b32 v[8:9], v0 offset1:1
	s_lshr_b32 s1, s0, s18
	s_add_i32 s0, s0, 1
	v_add_u32_e32 v0, 8, v0
	s_cmp_lg_u32 s1, 0
	s_waitcnt lgkmcnt(0)
	v_pk_add_f32 v[2:3], v[2:3], v[8:9]
	s_cbranch_scc0 .LBB50_21
; %bb.22:
	v_and_b32_e32 v0, 0x7fffffff, v6
	v_cmp_ne_u32_e32 vcc, 0, v0
	v_cmp_neq_f32_e64 s[0:1], 0, v7
	s_waitcnt vmcnt(0)
	v_ashrrev_i32_e32 v5, 31, v4
	s_or_b64 s[4:5], vcc, s[0:1]
	v_lshlrev_b64 v[0:1], 3, v[4:5]
	s_and_saveexec_b64 s[0:1], s[4:5]
	s_cbranch_execz .LBB50_24
; %bb.23:
	v_mov_b32_e32 v5, s3
	v_add_co_u32_e32 v4, vcc, s2, v0
	v_addc_co_u32_e32 v5, vcc, v5, v1, vcc
	global_load_dwordx2 v[4:5], v[4:5], off
	v_xor_b32_e32 v8, 0x80000000, v7
	v_mov_b32_e32 v9, v6
	s_waitcnt vmcnt(0)
	v_pk_fma_f32 v[2:3], v[6:7], v[4:5], v[2:3] op_sel_hi:[1,0,1]
	v_pk_fma_f32 v[2:3], v[8:9], v[4:5], v[2:3] op_sel:[0,1,0]
.LBB50_24:
	s_or_b64 exec, exec, s[0:1]
	v_mov_b32_e32 v4, s3
	v_add_co_u32_e32 v0, vcc, s2, v0
	v_addc_co_u32_e32 v1, vcc, v4, v1, vcc
	global_store_dwordx2 v[0:1], v[2:3], off
.LBB50_25:
	s_endpgm
	.section	.rodata,"a",@progbits
	.p2align	6, 0x0
	.amdhsa_kernel _ZN9rocsparseL28csrmvn_lrb_short_rows_kernelIli21rocsparse_complex_numIfES2_S2_S2_EEvbT_PT0_S5_jNS_24const_host_device_scalarIT4_EEPKS3_PKS4_PKT1_PKT2_S8_PT3_21rocsparse_index_base_b
		.amdhsa_group_segment_fixed_size 0
		.amdhsa_private_segment_fixed_size 0
		.amdhsa_kernarg_size 104
		.amdhsa_user_sgpr_count 6
		.amdhsa_user_sgpr_private_segment_buffer 1
		.amdhsa_user_sgpr_dispatch_ptr 0
		.amdhsa_user_sgpr_queue_ptr 0
		.amdhsa_user_sgpr_kernarg_segment_ptr 1
		.amdhsa_user_sgpr_dispatch_id 0
		.amdhsa_user_sgpr_flat_scratch_init 0
		.amdhsa_user_sgpr_kernarg_preload_length 0
		.amdhsa_user_sgpr_kernarg_preload_offset 0
		.amdhsa_user_sgpr_private_segment_size 0
		.amdhsa_uses_dynamic_stack 0
		.amdhsa_system_sgpr_private_segment_wavefront_offset 0
		.amdhsa_system_sgpr_workgroup_id_x 1
		.amdhsa_system_sgpr_workgroup_id_y 0
		.amdhsa_system_sgpr_workgroup_id_z 0
		.amdhsa_system_sgpr_workgroup_info 0
		.amdhsa_system_vgpr_workitem_id 0
		.amdhsa_next_free_vgpr 18
		.amdhsa_next_free_sgpr 26
		.amdhsa_accum_offset 20
		.amdhsa_reserve_vcc 1
		.amdhsa_reserve_flat_scratch 0
		.amdhsa_float_round_mode_32 0
		.amdhsa_float_round_mode_16_64 0
		.amdhsa_float_denorm_mode_32 3
		.amdhsa_float_denorm_mode_16_64 3
		.amdhsa_dx10_clamp 1
		.amdhsa_ieee_mode 1
		.amdhsa_fp16_overflow 0
		.amdhsa_tg_split 0
		.amdhsa_exception_fp_ieee_invalid_op 0
		.amdhsa_exception_fp_denorm_src 0
		.amdhsa_exception_fp_ieee_div_zero 0
		.amdhsa_exception_fp_ieee_overflow 0
		.amdhsa_exception_fp_ieee_underflow 0
		.amdhsa_exception_fp_ieee_inexact 0
		.amdhsa_exception_int_div_zero 0
	.end_amdhsa_kernel
	.section	.text._ZN9rocsparseL28csrmvn_lrb_short_rows_kernelIli21rocsparse_complex_numIfES2_S2_S2_EEvbT_PT0_S5_jNS_24const_host_device_scalarIT4_EEPKS3_PKS4_PKT1_PKT2_S8_PT3_21rocsparse_index_base_b,"axG",@progbits,_ZN9rocsparseL28csrmvn_lrb_short_rows_kernelIli21rocsparse_complex_numIfES2_S2_S2_EEvbT_PT0_S5_jNS_24const_host_device_scalarIT4_EEPKS3_PKS4_PKT1_PKT2_S8_PT3_21rocsparse_index_base_b,comdat
.Lfunc_end50:
	.size	_ZN9rocsparseL28csrmvn_lrb_short_rows_kernelIli21rocsparse_complex_numIfES2_S2_S2_EEvbT_PT0_S5_jNS_24const_host_device_scalarIT4_EEPKS3_PKS4_PKT1_PKT2_S8_PT3_21rocsparse_index_base_b, .Lfunc_end50-_ZN9rocsparseL28csrmvn_lrb_short_rows_kernelIli21rocsparse_complex_numIfES2_S2_S2_EEvbT_PT0_S5_jNS_24const_host_device_scalarIT4_EEPKS3_PKS4_PKT1_PKT2_S8_PT3_21rocsparse_index_base_b
                                        ; -- End function
	.section	.AMDGPU.csdata,"",@progbits
; Kernel info:
; codeLenInByte = 1056
; NumSgprs: 30
; NumVgprs: 18
; NumAgprs: 0
; TotalNumVgprs: 18
; ScratchSize: 0
; MemoryBound: 0
; FloatMode: 240
; IeeeMode: 1
; LDSByteSize: 0 bytes/workgroup (compile time only)
; SGPRBlocks: 3
; VGPRBlocks: 2
; NumSGPRsForWavesPerEU: 30
; NumVGPRsForWavesPerEU: 18
; AccumOffset: 20
; Occupancy: 8
; WaveLimiterHint : 1
; COMPUTE_PGM_RSRC2:SCRATCH_EN: 0
; COMPUTE_PGM_RSRC2:USER_SGPR: 6
; COMPUTE_PGM_RSRC2:TRAP_HANDLER: 0
; COMPUTE_PGM_RSRC2:TGID_X_EN: 1
; COMPUTE_PGM_RSRC2:TGID_Y_EN: 0
; COMPUTE_PGM_RSRC2:TGID_Z_EN: 0
; COMPUTE_PGM_RSRC2:TIDIG_COMP_CNT: 0
; COMPUTE_PGM_RSRC3_GFX90A:ACCUM_OFFSET: 4
; COMPUTE_PGM_RSRC3_GFX90A:TG_SPLIT: 0
	.section	.text._ZN9rocsparseL30csrmvn_lrb_short_rows_2_kernelIli21rocsparse_complex_numIfES2_S2_S2_EEvbT_PT0_S5_jNS_24const_host_device_scalarIT4_EEPKS3_PKS4_PKT1_PKT2_S8_PT3_21rocsparse_index_base_b,"axG",@progbits,_ZN9rocsparseL30csrmvn_lrb_short_rows_2_kernelIli21rocsparse_complex_numIfES2_S2_S2_EEvbT_PT0_S5_jNS_24const_host_device_scalarIT4_EEPKS3_PKS4_PKT1_PKT2_S8_PT3_21rocsparse_index_base_b,comdat
	.globl	_ZN9rocsparseL30csrmvn_lrb_short_rows_2_kernelIli21rocsparse_complex_numIfES2_S2_S2_EEvbT_PT0_S5_jNS_24const_host_device_scalarIT4_EEPKS3_PKS4_PKT1_PKT2_S8_PT3_21rocsparse_index_base_b ; -- Begin function _ZN9rocsparseL30csrmvn_lrb_short_rows_2_kernelIli21rocsparse_complex_numIfES2_S2_S2_EEvbT_PT0_S5_jNS_24const_host_device_scalarIT4_EEPKS3_PKS4_PKT1_PKT2_S8_PT3_21rocsparse_index_base_b
	.p2align	8
	.type	_ZN9rocsparseL30csrmvn_lrb_short_rows_2_kernelIli21rocsparse_complex_numIfES2_S2_S2_EEvbT_PT0_S5_jNS_24const_host_device_scalarIT4_EEPKS3_PKS4_PKT1_PKT2_S8_PT3_21rocsparse_index_base_b,@function
_ZN9rocsparseL30csrmvn_lrb_short_rows_2_kernelIli21rocsparse_complex_numIfES2_S2_S2_EEvbT_PT0_S5_jNS_24const_host_device_scalarIT4_EEPKS3_PKS4_PKT1_PKT2_S8_PT3_21rocsparse_index_base_b: ; @_ZN9rocsparseL30csrmvn_lrb_short_rows_2_kernelIli21rocsparse_complex_numIfES2_S2_S2_EEvbT_PT0_S5_jNS_24const_host_device_scalarIT4_EEPKS3_PKS4_PKT1_PKT2_S8_PT3_21rocsparse_index_base_b
; %bb.0:
	s_load_dwordx2 s[20:21], s[4:5], 0x60
	s_load_dwordx2 s[8:9], s[4:5], 0x28
	;; [unrolled: 1-line block ×3, first 2 shown]
	s_waitcnt lgkmcnt(0)
	s_bitcmp1_b32 s21, 0
	s_cselect_b64 s[0:1], -1, 0
	s_xor_b64 s[10:11], s[0:1], -1
	s_and_b64 vcc, exec, s[0:1]
	v_mov_b32_e32 v8, s8
	s_cbranch_vccnz .LBB51_2
; %bb.1:
	v_pk_mov_b32 v[2:3], s[8:9], s[8:9] op_sel:[0,1]
	flat_load_dword v8, v[2:3]
.LBB51_2:
	v_cndmask_b32_e64 v1, 0, 1, s[10:11]
	v_cmp_ne_u32_e64 s[0:1], 1, v1
	s_andn2_b64 vcc, exec, s[10:11]
	v_mov_b32_e32 v9, s9
	s_cbranch_vccz .LBB51_39
; %bb.3:
	s_and_b64 vcc, exec, s[0:1]
	v_mov_b32_e32 v6, s2
	s_cbranch_vccz .LBB51_40
.LBB51_4:
	s_and_b64 vcc, exec, s[0:1]
	v_mov_b32_e32 v7, s3
	s_cbranch_vccnz .LBB51_6
.LBB51_5:
	v_pk_mov_b32 v[2:3], s[2:3], s[2:3] op_sel:[0,1]
	flat_load_dword v7, v[2:3] offset:4
.LBB51_6:
	s_waitcnt vmcnt(0) lgkmcnt(0)
	v_and_b32_e32 v1, 0x7fffffff, v8
	v_cmp_eq_u32_e32 vcc, 0, v1
	v_cmp_eq_f32_e64 s[0:1], 0, v9
	s_and_b64 s[8:9], vcc, s[0:1]
	s_mov_b64 s[0:1], -1
	s_and_saveexec_b64 s[2:3], s[8:9]
; %bb.7:
	v_and_b32_e32 v1, 0x7fffffff, v7
	v_cmp_neq_f32_e32 vcc, 1.0, v6
	v_cmp_ne_u32_e64 s[0:1], 0, v1
	s_or_b64 s[0:1], vcc, s[0:1]
	s_orn2_b64 s[0:1], s[0:1], exec
; %bb.8:
	s_or_b64 exec, exec, s[2:3]
	s_and_saveexec_b64 s[2:3], s[0:1]
	s_cbranch_execz .LBB51_38
; %bb.9:
	s_load_dword s2, s[4:5], 0x20
	s_load_dword s0, s[4:5], 0x0
	s_load_dwordx4 s[16:19], s[4:5], 0x10
	s_mov_b32 s3, 0
	v_mov_b32_e32 v11, 0
	s_waitcnt lgkmcnt(0)
	v_lshrrev_b32_e32 v1, s2, v0
	s_bitcmp1_b32 s0, 0
	s_cselect_b64 s[0:1], -1, 0
	s_lshl_b64 s[8:9], s[2:3], 2
	s_add_u32 s22, s18, s8
	s_addc_u32 s23, s19, s9
	s_add_i32 s8, s2, 1
	s_mov_b32 s9, s3
	s_lshl_b64 s[8:9], s[8:9], 2
	s_add_u32 s18, s18, s8
	s_addc_u32 s19, s19, s9
	s_load_dword s21, s[22:23], 0x0
	s_load_dword s3, s[18:19], 0x0
	s_load_dwordx8 s[8:15], s[4:5], 0x30
	v_bfe_u32 v10, v0, 0, s2
	s_waitcnt lgkmcnt(0)
	s_sub_i32 s7, s3, s21
	s_lshr_b32 s3, 0x400, s2
	s_mul_i32 s22, s3, s6
	s_add_i32 s6, s22, s3
	s_min_u32 s23, s7, s6
	v_add_u32_e32 v1, s22, v1
	v_cmp_gt_u32_e32 vcc, s23, v1
	s_and_saveexec_b64 s[6:7], vcc
	s_cbranch_execz .LBB51_14
; %bb.10:
	v_add_u32_e32 v2, s21, v1
	v_mov_b32_e32 v3, v11
	v_lshlrev_b64 v[2:3], 2, v[2:3]
	v_mov_b32_e32 v1, s17
	v_add_co_u32_e32 v2, vcc, s16, v2
	v_addc_co_u32_e32 v3, vcc, v1, v3, vcc
	global_load_dword v2, v[2:3], off
	v_mov_b32_e32 v1, s9
	s_waitcnt vmcnt(0)
	v_ashrrev_i32_e32 v3, 31, v2
	v_lshlrev_b64 v[2:3], 3, v[2:3]
	v_add_co_u32_e32 v2, vcc, s8, v2
	v_addc_co_u32_e32 v3, vcc, v1, v3, vcc
	global_load_dwordx4 v[2:5], v[2:3], off
	s_waitcnt vmcnt(0)
	v_sub_co_u32_e32 v4, vcc, v4, v2
	v_subb_co_u32_e32 v5, vcc, v5, v3, vcc
	v_cmp_le_i64_e32 vcc, v[4:5], v[10:11]
	s_and_saveexec_b64 s[18:19], vcc
	s_xor_b64 s[18:19], exec, s[18:19]
	s_cbranch_execz .LBB51_12
; %bb.11:
	v_mov_b32_e32 v2, 0
	v_lshlrev_b32_e32 v1, 3, v0
	v_mov_b32_e32 v3, v2
	ds_write_b64 v1, v[2:3]
                                        ; implicit-def: $vgpr2_vgpr3
.LBB51_12:
	s_andn2_saveexec_b64 s[18:19], s[18:19]
	s_cbranch_execz .LBB51_14
; %bb.13:
	v_subrev_co_u32_e32 v1, vcc, s20, v2
	v_subbrev_co_u32_e32 v3, vcc, 0, v3, vcc
	v_add_co_u32_e32 v2, vcc, v1, v10
	v_addc_co_u32_e32 v3, vcc, 0, v3, vcc
	v_lshlrev_b64 v[4:5], 2, v[2:3]
	v_mov_b32_e32 v1, s11
	v_add_co_u32_e32 v4, vcc, s10, v4
	v_addc_co_u32_e32 v5, vcc, v1, v5, vcc
	global_load_dword v1, v[4:5], off
	v_lshlrev_b64 v[2:3], 3, v[2:3]
	v_mov_b32_e32 v4, s13
	v_add_co_u32_e32 v2, vcc, s12, v2
	v_addc_co_u32_e32 v3, vcc, v4, v3, vcc
	global_load_dwordx2 v[2:3], v[2:3], off
	v_mov_b32_e32 v12, s15
	v_xor_b32_e32 v14, 0x80000000, v9
	v_mov_b32_e32 v15, v8
	s_waitcnt vmcnt(1)
	v_subrev_u32_e32 v4, s20, v1
	v_ashrrev_i32_e32 v5, 31, v4
	v_lshlrev_b64 v[4:5], 3, v[4:5]
	v_add_co_u32_e32 v4, vcc, s14, v4
	v_addc_co_u32_e32 v5, vcc, v12, v5, vcc
	global_load_dwordx2 v[4:5], v[4:5], off
	s_waitcnt vmcnt(1)
	v_cndmask_b32_e64 v12, v3, -v3, s[0:1]
	v_pk_mul_f32 v[12:13], v[12:13], v[14:15] op_sel_hi:[0,1]
	v_pk_fma_f32 v[2:3], v[8:9], v[2:3], v[12:13] op_sel_hi:[1,0,1]
	v_lshlrev_b32_e32 v1, 3, v0
	s_waitcnt vmcnt(0)
	v_pk_mul_f32 v[12:13], v[4:5], v[2:3] op_sel:[1,1] op_sel_hi:[1,0] neg_lo:[0,1]
	v_pk_fma_f32 v[2:3], v[2:3], v[4:5], v[12:13] op_sel_hi:[1,0,1]
	ds_write_b64 v1, v[2:3]
.LBB51_14:
	s_or_b64 exec, exec, s[6:7]
	v_or_b32_e32 v1, 0x100, v0
	v_lshrrev_b32_e32 v1, s2, v1
	v_add_u32_e32 v1, s22, v1
	v_cmp_gt_u32_e32 vcc, s23, v1
	s_and_saveexec_b64 s[6:7], vcc
	s_cbranch_execz .LBB51_19
; %bb.15:
	v_add_u32_e32 v12, s21, v1
	v_mov_b32_e32 v13, 0
	v_lshlrev_b64 v[2:3], 2, v[12:13]
	v_mov_b32_e32 v1, s17
	v_add_co_u32_e32 v2, vcc, s16, v2
	v_addc_co_u32_e32 v3, vcc, v1, v3, vcc
	global_load_dword v2, v[2:3], off
	v_mov_b32_e32 v1, s9
	s_waitcnt vmcnt(0)
	v_ashrrev_i32_e32 v3, 31, v2
	v_lshlrev_b64 v[2:3], 3, v[2:3]
	v_add_co_u32_e32 v2, vcc, s8, v2
	v_addc_co_u32_e32 v3, vcc, v1, v3, vcc
	global_load_dwordx4 v[2:5], v[2:3], off
	s_waitcnt vmcnt(0)
	v_sub_co_u32_e32 v4, vcc, v4, v2
	v_subb_co_u32_e32 v5, vcc, v5, v3, vcc
	v_cmp_le_i64_e32 vcc, v[4:5], v[10:11]
	s_and_saveexec_b64 s[18:19], vcc
	s_xor_b64 s[18:19], exec, s[18:19]
	s_cbranch_execz .LBB51_17
; %bb.16:
	v_lshlrev_b32_e32 v1, 3, v0
	v_mov_b32_e32 v12, v13
	ds_write_b64 v1, v[12:13] offset:2048
                                        ; implicit-def: $vgpr2_vgpr3
.LBB51_17:
	s_andn2_saveexec_b64 s[18:19], s[18:19]
	s_cbranch_execz .LBB51_19
; %bb.18:
	v_subrev_co_u32_e32 v1, vcc, s20, v2
	v_subbrev_co_u32_e32 v3, vcc, 0, v3, vcc
	v_add_co_u32_e32 v2, vcc, v1, v10
	v_addc_co_u32_e32 v3, vcc, 0, v3, vcc
	v_lshlrev_b64 v[4:5], 2, v[2:3]
	v_mov_b32_e32 v1, s11
	v_add_co_u32_e32 v4, vcc, s10, v4
	v_addc_co_u32_e32 v5, vcc, v1, v5, vcc
	global_load_dword v1, v[4:5], off
	v_lshlrev_b64 v[2:3], 3, v[2:3]
	v_mov_b32_e32 v4, s13
	v_add_co_u32_e32 v2, vcc, s12, v2
	v_addc_co_u32_e32 v3, vcc, v4, v3, vcc
	global_load_dwordx2 v[2:3], v[2:3], off
	v_mov_b32_e32 v12, s15
	v_xor_b32_e32 v14, 0x80000000, v9
	v_mov_b32_e32 v15, v8
	s_waitcnt vmcnt(1)
	v_subrev_u32_e32 v4, s20, v1
	v_ashrrev_i32_e32 v5, 31, v4
	v_lshlrev_b64 v[4:5], 3, v[4:5]
	v_add_co_u32_e32 v4, vcc, s14, v4
	v_addc_co_u32_e32 v5, vcc, v12, v5, vcc
	global_load_dwordx2 v[4:5], v[4:5], off
	s_waitcnt vmcnt(1)
	v_cndmask_b32_e64 v12, v3, -v3, s[0:1]
	v_pk_mul_f32 v[12:13], v[12:13], v[14:15] op_sel_hi:[0,1]
	v_pk_fma_f32 v[2:3], v[8:9], v[2:3], v[12:13] op_sel_hi:[1,0,1]
	v_lshlrev_b32_e32 v1, 3, v0
	s_waitcnt vmcnt(0)
	v_pk_mul_f32 v[12:13], v[4:5], v[2:3] op_sel:[1,1] op_sel_hi:[1,0] neg_lo:[0,1]
	v_pk_fma_f32 v[2:3], v[2:3], v[4:5], v[12:13] op_sel_hi:[1,0,1]
	ds_write_b64 v1, v[2:3] offset:2048
.LBB51_19:
	s_or_b64 exec, exec, s[6:7]
	v_or_b32_e32 v1, 0x200, v0
	v_lshrrev_b32_e32 v1, s2, v1
	v_add_u32_e32 v1, s22, v1
	v_cmp_gt_u32_e32 vcc, s23, v1
	s_and_saveexec_b64 s[6:7], vcc
	s_cbranch_execz .LBB51_24
; %bb.20:
	v_add_u32_e32 v12, s21, v1
	v_mov_b32_e32 v13, 0
	v_lshlrev_b64 v[2:3], 2, v[12:13]
	v_mov_b32_e32 v1, s17
	v_add_co_u32_e32 v2, vcc, s16, v2
	v_addc_co_u32_e32 v3, vcc, v1, v3, vcc
	global_load_dword v2, v[2:3], off
	v_mov_b32_e32 v1, s9
	s_waitcnt vmcnt(0)
	v_ashrrev_i32_e32 v3, 31, v2
	v_lshlrev_b64 v[2:3], 3, v[2:3]
	v_add_co_u32_e32 v2, vcc, s8, v2
	v_addc_co_u32_e32 v3, vcc, v1, v3, vcc
	global_load_dwordx4 v[2:5], v[2:3], off
	s_waitcnt vmcnt(0)
	v_sub_co_u32_e32 v4, vcc, v4, v2
	v_subb_co_u32_e32 v5, vcc, v5, v3, vcc
	v_cmp_le_i64_e32 vcc, v[4:5], v[10:11]
	s_and_saveexec_b64 s[18:19], vcc
	s_xor_b64 s[18:19], exec, s[18:19]
	s_cbranch_execz .LBB51_22
; %bb.21:
	v_lshlrev_b32_e32 v1, 3, v0
	v_mov_b32_e32 v12, v13
	ds_write_b64 v1, v[12:13] offset:4096
                                        ; implicit-def: $vgpr2_vgpr3
.LBB51_22:
	s_andn2_saveexec_b64 s[18:19], s[18:19]
	s_cbranch_execz .LBB51_24
; %bb.23:
	v_subrev_co_u32_e32 v1, vcc, s20, v2
	v_subbrev_co_u32_e32 v3, vcc, 0, v3, vcc
	v_add_co_u32_e32 v2, vcc, v1, v10
	v_addc_co_u32_e32 v3, vcc, 0, v3, vcc
	v_lshlrev_b64 v[4:5], 2, v[2:3]
	v_mov_b32_e32 v1, s11
	v_add_co_u32_e32 v4, vcc, s10, v4
	v_addc_co_u32_e32 v5, vcc, v1, v5, vcc
	global_load_dword v1, v[4:5], off
	v_lshlrev_b64 v[2:3], 3, v[2:3]
	v_mov_b32_e32 v4, s13
	v_add_co_u32_e32 v2, vcc, s12, v2
	v_addc_co_u32_e32 v3, vcc, v4, v3, vcc
	global_load_dwordx2 v[2:3], v[2:3], off
	v_mov_b32_e32 v12, s15
	v_xor_b32_e32 v14, 0x80000000, v9
	v_mov_b32_e32 v15, v8
	s_waitcnt vmcnt(1)
	v_subrev_u32_e32 v4, s20, v1
	v_ashrrev_i32_e32 v5, 31, v4
	v_lshlrev_b64 v[4:5], 3, v[4:5]
	v_add_co_u32_e32 v4, vcc, s14, v4
	v_addc_co_u32_e32 v5, vcc, v12, v5, vcc
	global_load_dwordx2 v[4:5], v[4:5], off
	s_waitcnt vmcnt(1)
	v_cndmask_b32_e64 v12, v3, -v3, s[0:1]
	v_pk_mul_f32 v[12:13], v[12:13], v[14:15] op_sel_hi:[0,1]
	v_pk_fma_f32 v[2:3], v[8:9], v[2:3], v[12:13] op_sel_hi:[1,0,1]
	v_lshlrev_b32_e32 v1, 3, v0
	s_waitcnt vmcnt(0)
	v_pk_mul_f32 v[12:13], v[4:5], v[2:3] op_sel:[1,1] op_sel_hi:[1,0] neg_lo:[0,1]
	v_pk_fma_f32 v[2:3], v[2:3], v[4:5], v[12:13] op_sel_hi:[1,0,1]
	ds_write_b64 v1, v[2:3] offset:4096
.LBB51_24:
	s_or_b64 exec, exec, s[6:7]
	v_or_b32_e32 v1, 0x300, v0
	v_lshrrev_b32_e32 v1, s2, v1
	v_add_u32_e32 v1, s22, v1
	v_cmp_gt_u32_e32 vcc, s23, v1
	s_and_saveexec_b64 s[6:7], vcc
	s_cbranch_execz .LBB51_29
; %bb.25:
	v_add_u32_e32 v12, s21, v1
	v_mov_b32_e32 v13, 0
	v_lshlrev_b64 v[2:3], 2, v[12:13]
	v_mov_b32_e32 v1, s17
	v_add_co_u32_e32 v2, vcc, s16, v2
	v_addc_co_u32_e32 v3, vcc, v1, v3, vcc
	global_load_dword v2, v[2:3], off
	v_mov_b32_e32 v1, s9
	s_waitcnt vmcnt(0)
	v_ashrrev_i32_e32 v3, 31, v2
	v_lshlrev_b64 v[2:3], 3, v[2:3]
	v_add_co_u32_e32 v2, vcc, s8, v2
	v_addc_co_u32_e32 v3, vcc, v1, v3, vcc
	global_load_dwordx4 v[2:5], v[2:3], off
	v_lshlrev_b32_e32 v1, 3, v0
	s_waitcnt vmcnt(0)
	v_sub_co_u32_e32 v4, vcc, v4, v2
	v_subb_co_u32_e32 v5, vcc, v5, v3, vcc
	v_cmp_le_i64_e32 vcc, v[4:5], v[10:11]
	s_and_saveexec_b64 s[8:9], vcc
	s_xor_b64 s[8:9], exec, s[8:9]
	s_cbranch_execz .LBB51_27
; %bb.26:
	v_mov_b32_e32 v12, v13
	ds_write_b64 v1, v[12:13] offset:6144
                                        ; implicit-def: $vgpr2_vgpr3
                                        ; implicit-def: $vgpr10_vgpr11
                                        ; implicit-def: $vgpr9
                                        ; implicit-def: $vgpr1
.LBB51_27:
	s_andn2_saveexec_b64 s[8:9], s[8:9]
	s_cbranch_execz .LBB51_29
; %bb.28:
	v_subrev_co_u32_e32 v2, vcc, s20, v2
	v_subbrev_co_u32_e32 v3, vcc, 0, v3, vcc
	v_add_co_u32_e32 v2, vcc, v2, v10
	v_addc_co_u32_e32 v3, vcc, 0, v3, vcc
	v_lshlrev_b64 v[4:5], 2, v[2:3]
	v_mov_b32_e32 v10, s11
	v_add_co_u32_e32 v4, vcc, s10, v4
	v_addc_co_u32_e32 v5, vcc, v10, v5, vcc
	global_load_dword v4, v[4:5], off
	v_lshlrev_b64 v[2:3], 3, v[2:3]
	v_mov_b32_e32 v5, s13
	v_add_co_u32_e32 v2, vcc, s12, v2
	v_addc_co_u32_e32 v3, vcc, v5, v3, vcc
	global_load_dwordx2 v[2:3], v[2:3], off
	v_mov_b32_e32 v10, s15
	v_xor_b32_e32 v12, 0x80000000, v9
	v_mov_b32_e32 v13, v8
	s_waitcnt vmcnt(1)
	v_subrev_u32_e32 v4, s20, v4
	v_ashrrev_i32_e32 v5, 31, v4
	v_lshlrev_b64 v[4:5], 3, v[4:5]
	v_add_co_u32_e32 v4, vcc, s14, v4
	v_addc_co_u32_e32 v5, vcc, v10, v5, vcc
	global_load_dwordx2 v[4:5], v[4:5], off
	s_waitcnt vmcnt(1)
	v_cndmask_b32_e64 v10, v3, -v3, s[0:1]
	v_pk_mul_f32 v[10:11], v[10:11], v[12:13] op_sel_hi:[0,1]
	v_pk_fma_f32 v[2:3], v[8:9], v[2:3], v[10:11] op_sel_hi:[1,0,1]
	s_waitcnt vmcnt(0)
	v_pk_mul_f32 v[8:9], v[4:5], v[2:3] op_sel:[1,1] op_sel_hi:[1,0] neg_lo:[0,1]
	v_pk_fma_f32 v[2:3], v[2:3], v[4:5], v[8:9] op_sel_hi:[1,0,1]
	ds_write_b64 v1, v[2:3] offset:6144
.LBB51_29:
	s_or_b64 exec, exec, s[6:7]
	s_cmp_lt_u32 s2, 11
	s_waitcnt lgkmcnt(0)
	s_barrier
	s_cbranch_scc0 .LBB51_38
; %bb.30:
	s_load_dwordx2 s[4:5], s[4:5], 0x58
	v_and_b32_e32 v1, 0x7fffffff, v6
	v_cmp_ne_u32_e32 vcc, 0, v1
	v_cmp_neq_f32_e64 s[0:1], 0, v7
	s_sub_i32 s10, s23, s22
	s_add_i32 s21, s21, s22
	s_mov_b32 s11, 0
	s_or_b64 s[0:1], vcc, s[0:1]
	v_xor_b32_e32 v2, 0x80000000, v7
	v_mov_b32_e32 v3, v6
	v_mov_b32_e32 v5, 0
	s_branch .LBB51_33
.LBB51_31:                              ;   in Loop: Header=BB51_33 Depth=1
	s_or_b64 exec, exec, s[8:9]
	v_mov_b32_e32 v1, s5
	v_add_co_u32_e32 v10, vcc, s4, v10
	v_addc_co_u32_e32 v11, vcc, v1, v11, vcc
	global_store_dwordx2 v[10:11], v[8:9], off
.LBB51_32:                              ;   in Loop: Header=BB51_33 Depth=1
	s_or_b64 exec, exec, s[6:7]
	s_addk_i32 s11, 0x100
	s_cmp_lt_u32 s11, s3
	s_cbranch_scc0 .LBB51_38
.LBB51_33:                              ; =>This Loop Header: Depth=1
                                        ;     Child Loop BB51_35 Depth 2
	v_add_u32_e32 v1, s11, v0
	v_cmp_gt_u32_e32 vcc, s10, v1
	s_and_saveexec_b64 s[6:7], vcc
	s_cbranch_execz .LBB51_32
; %bb.34:                               ;   in Loop: Header=BB51_33 Depth=1
	v_add_u32_e32 v4, s21, v1
	v_lshlrev_b64 v[8:9], 2, v[4:5]
	v_mov_b32_e32 v4, s17
	v_add_co_u32_e32 v8, vcc, s16, v8
	v_addc_co_u32_e32 v9, vcc, v4, v9, vcc
	global_load_dword v10, v[8:9], off
	v_lshlrev_b32_e32 v1, s2, v1
	v_mov_b32_e32 v8, 0
	v_lshlrev_b32_e32 v1, 3, v1
	s_mov_b32 s8, 1
	v_mov_b32_e32 v9, v8
.LBB51_35:                              ;   Parent Loop BB51_33 Depth=1
                                        ; =>  This Inner Loop Header: Depth=2
	ds_read_b64 v[12:13], v1
	s_lshr_b32 s9, s8, s2
	s_add_i32 s8, s8, 1
	v_add_u32_e32 v1, 8, v1
	s_cmp_lg_u32 s9, 0
	s_waitcnt lgkmcnt(0)
	v_pk_add_f32 v[8:9], v[8:9], v[12:13]
	s_cbranch_scc0 .LBB51_35
; %bb.36:                               ;   in Loop: Header=BB51_33 Depth=1
	s_waitcnt vmcnt(0)
	v_ashrrev_i32_e32 v11, 31, v10
	v_lshlrev_b64 v[10:11], 3, v[10:11]
	s_and_saveexec_b64 s[8:9], s[0:1]
	s_cbranch_execz .LBB51_31
; %bb.37:                               ;   in Loop: Header=BB51_33 Depth=1
	v_mov_b32_e32 v1, s5
	v_add_co_u32_e32 v12, vcc, s4, v10
	v_addc_co_u32_e32 v13, vcc, v1, v11, vcc
	global_load_dwordx2 v[12:13], v[12:13], off
	s_waitcnt vmcnt(0)
	v_pk_fma_f32 v[8:9], v[6:7], v[12:13], v[8:9] op_sel_hi:[1,0,1]
	v_pk_fma_f32 v[8:9], v[2:3], v[12:13], v[8:9] op_sel:[0,1,0]
	s_branch .LBB51_31
.LBB51_38:
	s_endpgm
.LBB51_39:
	v_pk_mov_b32 v[2:3], s[8:9], s[8:9] op_sel:[0,1]
	flat_load_dword v9, v[2:3] offset:4
	s_and_b64 vcc, exec, s[0:1]
	v_mov_b32_e32 v6, s2
	s_cbranch_vccnz .LBB51_4
.LBB51_40:
	v_pk_mov_b32 v[2:3], s[2:3], s[2:3] op_sel:[0,1]
	flat_load_dword v6, v[2:3]
	s_and_b64 vcc, exec, s[0:1]
	v_mov_b32_e32 v7, s3
	s_cbranch_vccz .LBB51_5
	s_branch .LBB51_6
	.section	.rodata,"a",@progbits
	.p2align	6, 0x0
	.amdhsa_kernel _ZN9rocsparseL30csrmvn_lrb_short_rows_2_kernelIli21rocsparse_complex_numIfES2_S2_S2_EEvbT_PT0_S5_jNS_24const_host_device_scalarIT4_EEPKS3_PKS4_PKT1_PKT2_S8_PT3_21rocsparse_index_base_b
		.amdhsa_group_segment_fixed_size 8192
		.amdhsa_private_segment_fixed_size 0
		.amdhsa_kernarg_size 104
		.amdhsa_user_sgpr_count 6
		.amdhsa_user_sgpr_private_segment_buffer 1
		.amdhsa_user_sgpr_dispatch_ptr 0
		.amdhsa_user_sgpr_queue_ptr 0
		.amdhsa_user_sgpr_kernarg_segment_ptr 1
		.amdhsa_user_sgpr_dispatch_id 0
		.amdhsa_user_sgpr_flat_scratch_init 0
		.amdhsa_user_sgpr_kernarg_preload_length 0
		.amdhsa_user_sgpr_kernarg_preload_offset 0
		.amdhsa_user_sgpr_private_segment_size 0
		.amdhsa_uses_dynamic_stack 0
		.amdhsa_system_sgpr_private_segment_wavefront_offset 0
		.amdhsa_system_sgpr_workgroup_id_x 1
		.amdhsa_system_sgpr_workgroup_id_y 0
		.amdhsa_system_sgpr_workgroup_id_z 0
		.amdhsa_system_sgpr_workgroup_info 0
		.amdhsa_system_vgpr_workitem_id 0
		.amdhsa_next_free_vgpr 16
		.amdhsa_next_free_sgpr 24
		.amdhsa_accum_offset 16
		.amdhsa_reserve_vcc 1
		.amdhsa_reserve_flat_scratch 0
		.amdhsa_float_round_mode_32 0
		.amdhsa_float_round_mode_16_64 0
		.amdhsa_float_denorm_mode_32 3
		.amdhsa_float_denorm_mode_16_64 3
		.amdhsa_dx10_clamp 1
		.amdhsa_ieee_mode 1
		.amdhsa_fp16_overflow 0
		.amdhsa_tg_split 0
		.amdhsa_exception_fp_ieee_invalid_op 0
		.amdhsa_exception_fp_denorm_src 0
		.amdhsa_exception_fp_ieee_div_zero 0
		.amdhsa_exception_fp_ieee_overflow 0
		.amdhsa_exception_fp_ieee_underflow 0
		.amdhsa_exception_fp_ieee_inexact 0
		.amdhsa_exception_int_div_zero 0
	.end_amdhsa_kernel
	.section	.text._ZN9rocsparseL30csrmvn_lrb_short_rows_2_kernelIli21rocsparse_complex_numIfES2_S2_S2_EEvbT_PT0_S5_jNS_24const_host_device_scalarIT4_EEPKS3_PKS4_PKT1_PKT2_S8_PT3_21rocsparse_index_base_b,"axG",@progbits,_ZN9rocsparseL30csrmvn_lrb_short_rows_2_kernelIli21rocsparse_complex_numIfES2_S2_S2_EEvbT_PT0_S5_jNS_24const_host_device_scalarIT4_EEPKS3_PKS4_PKT1_PKT2_S8_PT3_21rocsparse_index_base_b,comdat
.Lfunc_end51:
	.size	_ZN9rocsparseL30csrmvn_lrb_short_rows_2_kernelIli21rocsparse_complex_numIfES2_S2_S2_EEvbT_PT0_S5_jNS_24const_host_device_scalarIT4_EEPKS3_PKS4_PKT1_PKT2_S8_PT3_21rocsparse_index_base_b, .Lfunc_end51-_ZN9rocsparseL30csrmvn_lrb_short_rows_2_kernelIli21rocsparse_complex_numIfES2_S2_S2_EEvbT_PT0_S5_jNS_24const_host_device_scalarIT4_EEPKS3_PKS4_PKT1_PKT2_S8_PT3_21rocsparse_index_base_b
                                        ; -- End function
	.section	.AMDGPU.csdata,"",@progbits
; Kernel info:
; codeLenInByte = 2060
; NumSgprs: 28
; NumVgprs: 16
; NumAgprs: 0
; TotalNumVgprs: 16
; ScratchSize: 0
; MemoryBound: 0
; FloatMode: 240
; IeeeMode: 1
; LDSByteSize: 8192 bytes/workgroup (compile time only)
; SGPRBlocks: 3
; VGPRBlocks: 1
; NumSGPRsForWavesPerEU: 28
; NumVGPRsForWavesPerEU: 16
; AccumOffset: 16
; Occupancy: 8
; WaveLimiterHint : 1
; COMPUTE_PGM_RSRC2:SCRATCH_EN: 0
; COMPUTE_PGM_RSRC2:USER_SGPR: 6
; COMPUTE_PGM_RSRC2:TRAP_HANDLER: 0
; COMPUTE_PGM_RSRC2:TGID_X_EN: 1
; COMPUTE_PGM_RSRC2:TGID_Y_EN: 0
; COMPUTE_PGM_RSRC2:TGID_Z_EN: 0
; COMPUTE_PGM_RSRC2:TIDIG_COMP_CNT: 0
; COMPUTE_PGM_RSRC3_GFX90A:ACCUM_OFFSET: 3
; COMPUTE_PGM_RSRC3_GFX90A:TG_SPLIT: 0
	.section	.text._ZN9rocsparseL41csrmvn_lrb_medium_rows_warp_reduce_kernelILj256ELj32Eli21rocsparse_complex_numIfES2_S2_S2_EEvbT1_lPT2_S5_jNS_24const_host_device_scalarIT6_EEPKS3_PKS4_PKT3_PKT4_S8_PT5_21rocsparse_index_base_b,"axG",@progbits,_ZN9rocsparseL41csrmvn_lrb_medium_rows_warp_reduce_kernelILj256ELj32Eli21rocsparse_complex_numIfES2_S2_S2_EEvbT1_lPT2_S5_jNS_24const_host_device_scalarIT6_EEPKS3_PKS4_PKT3_PKT4_S8_PT5_21rocsparse_index_base_b,comdat
	.globl	_ZN9rocsparseL41csrmvn_lrb_medium_rows_warp_reduce_kernelILj256ELj32Eli21rocsparse_complex_numIfES2_S2_S2_EEvbT1_lPT2_S5_jNS_24const_host_device_scalarIT6_EEPKS3_PKS4_PKT3_PKT4_S8_PT5_21rocsparse_index_base_b ; -- Begin function _ZN9rocsparseL41csrmvn_lrb_medium_rows_warp_reduce_kernelILj256ELj32Eli21rocsparse_complex_numIfES2_S2_S2_EEvbT1_lPT2_S5_jNS_24const_host_device_scalarIT6_EEPKS3_PKS4_PKT3_PKT4_S8_PT5_21rocsparse_index_base_b
	.p2align	8
	.type	_ZN9rocsparseL41csrmvn_lrb_medium_rows_warp_reduce_kernelILj256ELj32Eli21rocsparse_complex_numIfES2_S2_S2_EEvbT1_lPT2_S5_jNS_24const_host_device_scalarIT6_EEPKS3_PKS4_PKT3_PKT4_S8_PT5_21rocsparse_index_base_b,@function
_ZN9rocsparseL41csrmvn_lrb_medium_rows_warp_reduce_kernelILj256ELj32Eli21rocsparse_complex_numIfES2_S2_S2_EEvbT1_lPT2_S5_jNS_24const_host_device_scalarIT6_EEPKS3_PKS4_PKT3_PKT4_S8_PT5_21rocsparse_index_base_b: ; @_ZN9rocsparseL41csrmvn_lrb_medium_rows_warp_reduce_kernelILj256ELj32Eli21rocsparse_complex_numIfES2_S2_S2_EEvbT1_lPT2_S5_jNS_24const_host_device_scalarIT6_EEPKS3_PKS4_PKT3_PKT4_S8_PT5_21rocsparse_index_base_b
; %bb.0:
	s_load_dwordx2 s[2:3], s[4:5], 0x68
	s_load_dwordx2 s[10:11], s[4:5], 0x30
	;; [unrolled: 1-line block ×3, first 2 shown]
	s_waitcnt lgkmcnt(0)
	s_bitcmp1_b32 s3, 0
	s_cselect_b64 s[0:1], -1, 0
	s_xor_b64 s[12:13], s[0:1], -1
	s_and_b64 vcc, exec, s[0:1]
	v_mov_b32_e32 v4, s10
	s_cbranch_vccnz .LBB52_2
; %bb.1:
	v_pk_mov_b32 v[2:3], s[10:11], s[10:11] op_sel:[0,1]
	flat_load_dword v4, v[2:3]
.LBB52_2:
	v_cndmask_b32_e64 v1, 0, 1, s[12:13]
	v_cmp_ne_u32_e64 s[0:1], 1, v1
	s_andn2_b64 vcc, exec, s[12:13]
	v_mov_b32_e32 v5, s11
	s_cbranch_vccz .LBB52_19
; %bb.3:
	s_and_b64 vcc, exec, s[0:1]
	v_mov_b32_e32 v2, s8
	s_cbranch_vccz .LBB52_20
.LBB52_4:
	s_and_b64 vcc, exec, s[0:1]
	v_mov_b32_e32 v3, s9
	s_cbranch_vccnz .LBB52_6
.LBB52_5:
	v_pk_mov_b32 v[6:7], s[8:9], s[8:9] op_sel:[0,1]
	flat_load_dword v3, v[6:7] offset:4
.LBB52_6:
	s_waitcnt vmcnt(0) lgkmcnt(0)
	v_and_b32_e32 v1, 0x7fffffff, v4
	v_cmp_eq_u32_e32 vcc, 0, v1
	v_cmp_eq_f32_e64 s[0:1], 0, v5
	s_and_b64 s[10:11], vcc, s[0:1]
	s_mov_b64 s[0:1], -1
	s_and_saveexec_b64 s[8:9], s[10:11]
; %bb.7:
	v_and_b32_e32 v1, 0x7fffffff, v3
	v_cmp_neq_f32_e32 vcc, 1.0, v2
	v_cmp_ne_u32_e64 s[0:1], 0, v1
	s_or_b64 s[0:1], vcc, s[0:1]
	s_orn2_b64 s[0:1], s[0:1], exec
; %bb.8:
	s_or_b64 exec, exec, s[8:9]
	s_and_saveexec_b64 s[8:9], s[0:1]
	s_cbranch_execz .LBB52_18
; %bb.9:
	s_load_dwordx2 s[0:1], s[4:5], 0x10
	v_lshrrev_b32_e32 v1, 5, v0
	v_lshl_or_b32 v6, s6, 3, v1
	v_ashrrev_i32_e32 v7, 31, v6
	s_waitcnt lgkmcnt(0)
	v_cmp_gt_i64_e32 vcc, s[0:1], v[6:7]
	s_and_b64 exec, exec, vcc
	s_cbranch_execz .LBB52_18
; %bb.10:
	s_load_dword s0, s[4:5], 0x28
	s_load_dwordx4 s[8:11], s[4:5], 0x18
	s_mov_b32 s1, 0
	v_and_b32_e32 v18, 31, v0
	v_mov_b32_e32 v11, 0
	s_waitcnt lgkmcnt(0)
	s_lshl_b64 s[0:1], s[0:1], 2
	s_add_u32 s0, s10, s0
	s_addc_u32 s1, s11, s1
	s_load_dword s0, s[0:1], 0x0
	v_mov_b32_e32 v1, s9
	v_mov_b32_e32 v10, v11
	s_load_dwordx2 s[6:7], s[4:5], 0x60
	s_waitcnt lgkmcnt(0)
	v_add_u32_e32 v6, s0, v6
	v_ashrrev_i32_e32 v7, 31, v6
	v_lshlrev_b64 v[6:7], 2, v[6:7]
	v_add_co_u32_e32 v6, vcc, s8, v6
	v_addc_co_u32_e32 v7, vcc, v1, v7, vcc
	global_load_dword v6, v[6:7], off
	s_load_dwordx2 s[0:1], s[4:5], 0x38
	s_waitcnt lgkmcnt(0)
	v_mov_b32_e32 v1, s1
	s_waitcnt vmcnt(0)
	v_ashrrev_i32_e32 v7, 31, v6
	v_lshlrev_b64 v[6:7], 3, v[6:7]
	v_add_co_u32_e32 v8, vcc, s0, v6
	v_addc_co_u32_e32 v9, vcc, v1, v7, vcc
	global_load_dwordx4 v[12:15], v[8:9], off
	v_subrev_co_u32_e32 v8, vcc, s2, v18
	v_subb_co_u32_e64 v9, s[0:1], 0, 0, vcc
	s_waitcnt vmcnt(0)
	v_subrev_co_u32_e32 v0, vcc, s2, v14
	v_subbrev_co_u32_e32 v1, vcc, 0, v15, vcc
	v_add_co_u32_e32 v8, vcc, v12, v8
	v_addc_co_u32_e32 v9, vcc, v13, v9, vcc
	v_cmp_lt_i64_e32 vcc, v[8:9], v[0:1]
	s_and_saveexec_b64 s[8:9], vcc
	s_cbranch_execz .LBB52_14
; %bb.11:
	s_load_dword s0, s[4:5], 0x0
	s_load_dwordx4 s[12:15], s[4:5], 0x40
	s_load_dwordx2 s[10:11], s[4:5], 0x50
	v_lshlrev_b64 v[10:11], 3, v[8:9]
	v_xor_b32_e32 v12, 0x80000000, v5
	s_waitcnt lgkmcnt(0)
	s_bitcmp1_b32 s0, 0
	v_mov_b32_e32 v14, s15
	v_add_co_u32_e32 v10, vcc, s14, v10
	v_addc_co_u32_e32 v11, vcc, v11, v14, vcc
	v_add_co_u32_e32 v14, vcc, 4, v10
	v_addc_co_u32_e32 v15, vcc, 0, v11, vcc
	v_lshlrev_b64 v[10:11], 2, v[8:9]
	v_mov_b32_e32 v17, s13
	v_add_co_u32_e32 v16, vcc, s12, v10
	v_addc_co_u32_e32 v17, vcc, v17, v11, vcc
	v_mov_b32_e32 v11, 0
	v_mov_b32_e32 v13, v4
	s_cselect_b64 s[4:5], -1, 0
	s_mov_b64 s[12:13], 0
	v_mov_b32_e32 v19, s11
	v_mov_b32_e32 v10, v11
.LBB52_12:                              ; =>This Inner Loop Header: Depth=1
	global_load_dword v22, v[16:17], off
	global_load_dwordx2 v[20:21], v[14:15], off offset:-4
	s_waitcnt vmcnt(1)
	v_subrev_u32_e32 v22, s2, v22
	v_ashrrev_i32_e32 v23, 31, v22
	v_lshlrev_b64 v[22:23], 3, v[22:23]
	v_add_co_u32_e32 v22, vcc, s10, v22
	v_addc_co_u32_e32 v23, vcc, v19, v23, vcc
	global_load_dwordx2 v[22:23], v[22:23], off
	v_add_co_u32_e32 v8, vcc, 32, v8
	v_addc_co_u32_e32 v9, vcc, 0, v9, vcc
	s_waitcnt vmcnt(1)
	v_cndmask_b32_e64 v24, v21, -v21, s[4:5]
	v_add_co_u32_e32 v14, vcc, 0x100, v14
	v_pk_mul_f32 v[24:25], v[24:25], v[12:13] op_sel_hi:[0,1]
	v_addc_co_u32_e32 v15, vcc, 0, v15, vcc
	v_pk_fma_f32 v[20:21], v[4:5], v[20:21], v[24:25] op_sel_hi:[1,0,1]
	v_add_co_u32_e32 v16, vcc, 0x80, v16
	v_cmp_ge_i64_e64 s[0:1], v[8:9], v[0:1]
	v_addc_co_u32_e32 v17, vcc, 0, v17, vcc
	s_or_b64 s[12:13], s[0:1], s[12:13]
	s_waitcnt vmcnt(0)
	v_pk_fma_f32 v[10:11], v[20:21], v[22:23], v[10:11] op_sel_hi:[1,0,1]
	v_pk_fma_f32 v[10:11], v[20:21], v[22:23], v[10:11] op_sel:[1,1,0] op_sel_hi:[0,1,1] neg_lo:[1,0,0]
	s_andn2_b64 exec, exec, s[12:13]
	s_cbranch_execnz .LBB52_12
; %bb.13:
	s_or_b64 exec, exec, s[12:13]
.LBB52_14:
	s_or_b64 exec, exec, s[8:9]
	v_mov_b32_dpp v0, v10 row_shr:1 row_mask:0xf bank_mask:0xf
	v_mov_b32_dpp v1, v11 row_shr:1 row_mask:0xf bank_mask:0xf
	v_pk_add_f32 v[0:1], v[10:11], v[0:1]
	v_cmp_eq_u32_e32 vcc, 31, v18
	s_nop 0
	v_mov_b32_dpp v4, v0 row_shr:2 row_mask:0xf bank_mask:0xf
	v_mov_b32_dpp v5, v1 row_shr:2 row_mask:0xf bank_mask:0xf
	v_pk_add_f32 v[0:1], v[0:1], v[4:5]
	s_nop 1
	v_mov_b32_dpp v4, v0 row_shr:4 row_mask:0xf bank_mask:0xe
	v_mov_b32_dpp v5, v1 row_shr:4 row_mask:0xf bank_mask:0xe
	v_pk_add_f32 v[0:1], v[0:1], v[4:5]
	;; [unrolled: 4-line block ×3, first 2 shown]
	s_nop 1
	v_mov_b32_dpp v4, v0 row_bcast:15 row_mask:0xa bank_mask:0xf
	v_mov_b32_dpp v5, v1 row_bcast:15 row_mask:0xa bank_mask:0xf
	s_and_b64 exec, exec, vcc
	s_cbranch_execz .LBB52_18
; %bb.15:
	v_pk_add_f32 v[0:1], v[0:1], v[4:5]
	v_and_b32_e32 v4, 0x7fffffff, v2
	v_cmp_ne_u32_e32 vcc, 0, v4
	v_cmp_neq_f32_e64 s[0:1], 0, v3
	s_or_b64 s[2:3], vcc, s[0:1]
	s_and_saveexec_b64 s[0:1], s[2:3]
	s_cbranch_execz .LBB52_17
; %bb.16:
	v_mov_b32_e32 v5, s7
	v_add_co_u32_e32 v4, vcc, s6, v6
	v_addc_co_u32_e32 v5, vcc, v5, v7, vcc
	global_load_dwordx2 v[4:5], v[4:5], off
	v_xor_b32_e32 v8, 0x80000000, v3
	v_mov_b32_e32 v9, v2
	s_waitcnt vmcnt(0)
	v_pk_fma_f32 v[0:1], v[2:3], v[4:5], v[0:1] op_sel_hi:[1,0,1]
	v_pk_fma_f32 v[0:1], v[8:9], v[4:5], v[0:1] op_sel:[0,1,0]
.LBB52_17:
	s_or_b64 exec, exec, s[0:1]
	v_mov_b32_e32 v3, s7
	v_add_co_u32_e32 v2, vcc, s6, v6
	v_addc_co_u32_e32 v3, vcc, v3, v7, vcc
	global_store_dwordx2 v[2:3], v[0:1], off
.LBB52_18:
	s_endpgm
.LBB52_19:
	v_pk_mov_b32 v[2:3], s[10:11], s[10:11] op_sel:[0,1]
	flat_load_dword v5, v[2:3] offset:4
	s_and_b64 vcc, exec, s[0:1]
	v_mov_b32_e32 v2, s8
	s_cbranch_vccnz .LBB52_4
.LBB52_20:
	v_pk_mov_b32 v[2:3], s[8:9], s[8:9] op_sel:[0,1]
	flat_load_dword v2, v[2:3]
	s_and_b64 vcc, exec, s[0:1]
	v_mov_b32_e32 v3, s9
	s_cbranch_vccz .LBB52_5
	s_branch .LBB52_6
	.section	.rodata,"a",@progbits
	.p2align	6, 0x0
	.amdhsa_kernel _ZN9rocsparseL41csrmvn_lrb_medium_rows_warp_reduce_kernelILj256ELj32Eli21rocsparse_complex_numIfES2_S2_S2_EEvbT1_lPT2_S5_jNS_24const_host_device_scalarIT6_EEPKS3_PKS4_PKT3_PKT4_S8_PT5_21rocsparse_index_base_b
		.amdhsa_group_segment_fixed_size 0
		.amdhsa_private_segment_fixed_size 0
		.amdhsa_kernarg_size 112
		.amdhsa_user_sgpr_count 6
		.amdhsa_user_sgpr_private_segment_buffer 1
		.amdhsa_user_sgpr_dispatch_ptr 0
		.amdhsa_user_sgpr_queue_ptr 0
		.amdhsa_user_sgpr_kernarg_segment_ptr 1
		.amdhsa_user_sgpr_dispatch_id 0
		.amdhsa_user_sgpr_flat_scratch_init 0
		.amdhsa_user_sgpr_kernarg_preload_length 0
		.amdhsa_user_sgpr_kernarg_preload_offset 0
		.amdhsa_user_sgpr_private_segment_size 0
		.amdhsa_uses_dynamic_stack 0
		.amdhsa_system_sgpr_private_segment_wavefront_offset 0
		.amdhsa_system_sgpr_workgroup_id_x 1
		.amdhsa_system_sgpr_workgroup_id_y 0
		.amdhsa_system_sgpr_workgroup_id_z 0
		.amdhsa_system_sgpr_workgroup_info 0
		.amdhsa_system_vgpr_workitem_id 0
		.amdhsa_next_free_vgpr 26
		.amdhsa_next_free_sgpr 16
		.amdhsa_accum_offset 28
		.amdhsa_reserve_vcc 1
		.amdhsa_reserve_flat_scratch 0
		.amdhsa_float_round_mode_32 0
		.amdhsa_float_round_mode_16_64 0
		.amdhsa_float_denorm_mode_32 3
		.amdhsa_float_denorm_mode_16_64 3
		.amdhsa_dx10_clamp 1
		.amdhsa_ieee_mode 1
		.amdhsa_fp16_overflow 0
		.amdhsa_tg_split 0
		.amdhsa_exception_fp_ieee_invalid_op 0
		.amdhsa_exception_fp_denorm_src 0
		.amdhsa_exception_fp_ieee_div_zero 0
		.amdhsa_exception_fp_ieee_overflow 0
		.amdhsa_exception_fp_ieee_underflow 0
		.amdhsa_exception_fp_ieee_inexact 0
		.amdhsa_exception_int_div_zero 0
	.end_amdhsa_kernel
	.section	.text._ZN9rocsparseL41csrmvn_lrb_medium_rows_warp_reduce_kernelILj256ELj32Eli21rocsparse_complex_numIfES2_S2_S2_EEvbT1_lPT2_S5_jNS_24const_host_device_scalarIT6_EEPKS3_PKS4_PKT3_PKT4_S8_PT5_21rocsparse_index_base_b,"axG",@progbits,_ZN9rocsparseL41csrmvn_lrb_medium_rows_warp_reduce_kernelILj256ELj32Eli21rocsparse_complex_numIfES2_S2_S2_EEvbT1_lPT2_S5_jNS_24const_host_device_scalarIT6_EEPKS3_PKS4_PKT3_PKT4_S8_PT5_21rocsparse_index_base_b,comdat
.Lfunc_end52:
	.size	_ZN9rocsparseL41csrmvn_lrb_medium_rows_warp_reduce_kernelILj256ELj32Eli21rocsparse_complex_numIfES2_S2_S2_EEvbT1_lPT2_S5_jNS_24const_host_device_scalarIT6_EEPKS3_PKS4_PKT3_PKT4_S8_PT5_21rocsparse_index_base_b, .Lfunc_end52-_ZN9rocsparseL41csrmvn_lrb_medium_rows_warp_reduce_kernelILj256ELj32Eli21rocsparse_complex_numIfES2_S2_S2_EEvbT1_lPT2_S5_jNS_24const_host_device_scalarIT6_EEPKS3_PKS4_PKT3_PKT4_S8_PT5_21rocsparse_index_base_b
                                        ; -- End function
	.section	.AMDGPU.csdata,"",@progbits
; Kernel info:
; codeLenInByte = 1040
; NumSgprs: 20
; NumVgprs: 26
; NumAgprs: 0
; TotalNumVgprs: 26
; ScratchSize: 0
; MemoryBound: 0
; FloatMode: 240
; IeeeMode: 1
; LDSByteSize: 0 bytes/workgroup (compile time only)
; SGPRBlocks: 2
; VGPRBlocks: 3
; NumSGPRsForWavesPerEU: 20
; NumVGPRsForWavesPerEU: 26
; AccumOffset: 28
; Occupancy: 8
; WaveLimiterHint : 1
; COMPUTE_PGM_RSRC2:SCRATCH_EN: 0
; COMPUTE_PGM_RSRC2:USER_SGPR: 6
; COMPUTE_PGM_RSRC2:TRAP_HANDLER: 0
; COMPUTE_PGM_RSRC2:TGID_X_EN: 1
; COMPUTE_PGM_RSRC2:TGID_Y_EN: 0
; COMPUTE_PGM_RSRC2:TGID_Z_EN: 0
; COMPUTE_PGM_RSRC2:TIDIG_COMP_CNT: 0
; COMPUTE_PGM_RSRC3_GFX90A:ACCUM_OFFSET: 6
; COMPUTE_PGM_RSRC3_GFX90A:TG_SPLIT: 0
	.section	.text._ZN9rocsparseL41csrmvn_lrb_medium_rows_warp_reduce_kernelILj256ELj64Eli21rocsparse_complex_numIfES2_S2_S2_EEvbT1_lPT2_S5_jNS_24const_host_device_scalarIT6_EEPKS3_PKS4_PKT3_PKT4_S8_PT5_21rocsparse_index_base_b,"axG",@progbits,_ZN9rocsparseL41csrmvn_lrb_medium_rows_warp_reduce_kernelILj256ELj64Eli21rocsparse_complex_numIfES2_S2_S2_EEvbT1_lPT2_S5_jNS_24const_host_device_scalarIT6_EEPKS3_PKS4_PKT3_PKT4_S8_PT5_21rocsparse_index_base_b,comdat
	.globl	_ZN9rocsparseL41csrmvn_lrb_medium_rows_warp_reduce_kernelILj256ELj64Eli21rocsparse_complex_numIfES2_S2_S2_EEvbT1_lPT2_S5_jNS_24const_host_device_scalarIT6_EEPKS3_PKS4_PKT3_PKT4_S8_PT5_21rocsparse_index_base_b ; -- Begin function _ZN9rocsparseL41csrmvn_lrb_medium_rows_warp_reduce_kernelILj256ELj64Eli21rocsparse_complex_numIfES2_S2_S2_EEvbT1_lPT2_S5_jNS_24const_host_device_scalarIT6_EEPKS3_PKS4_PKT3_PKT4_S8_PT5_21rocsparse_index_base_b
	.p2align	8
	.type	_ZN9rocsparseL41csrmvn_lrb_medium_rows_warp_reduce_kernelILj256ELj64Eli21rocsparse_complex_numIfES2_S2_S2_EEvbT1_lPT2_S5_jNS_24const_host_device_scalarIT6_EEPKS3_PKS4_PKT3_PKT4_S8_PT5_21rocsparse_index_base_b,@function
_ZN9rocsparseL41csrmvn_lrb_medium_rows_warp_reduce_kernelILj256ELj64Eli21rocsparse_complex_numIfES2_S2_S2_EEvbT1_lPT2_S5_jNS_24const_host_device_scalarIT6_EEPKS3_PKS4_PKT3_PKT4_S8_PT5_21rocsparse_index_base_b: ; @_ZN9rocsparseL41csrmvn_lrb_medium_rows_warp_reduce_kernelILj256ELj64Eli21rocsparse_complex_numIfES2_S2_S2_EEvbT1_lPT2_S5_jNS_24const_host_device_scalarIT6_EEPKS3_PKS4_PKT3_PKT4_S8_PT5_21rocsparse_index_base_b
; %bb.0:
	s_load_dwordx2 s[2:3], s[4:5], 0x68
	s_load_dwordx2 s[10:11], s[4:5], 0x30
	;; [unrolled: 1-line block ×3, first 2 shown]
	s_waitcnt lgkmcnt(0)
	s_bitcmp1_b32 s3, 0
	s_cselect_b64 s[0:1], -1, 0
	s_xor_b64 s[12:13], s[0:1], -1
	s_and_b64 vcc, exec, s[0:1]
	v_mov_b32_e32 v4, s10
	s_cbranch_vccnz .LBB53_2
; %bb.1:
	v_pk_mov_b32 v[2:3], s[10:11], s[10:11] op_sel:[0,1]
	flat_load_dword v4, v[2:3]
.LBB53_2:
	v_cndmask_b32_e64 v1, 0, 1, s[12:13]
	v_cmp_ne_u32_e64 s[0:1], 1, v1
	s_andn2_b64 vcc, exec, s[12:13]
	v_mov_b32_e32 v5, s11
	s_cbranch_vccz .LBB53_19
; %bb.3:
	s_and_b64 vcc, exec, s[0:1]
	v_mov_b32_e32 v2, s8
	s_cbranch_vccz .LBB53_20
.LBB53_4:
	s_and_b64 vcc, exec, s[0:1]
	v_mov_b32_e32 v3, s9
	s_cbranch_vccnz .LBB53_6
.LBB53_5:
	v_pk_mov_b32 v[6:7], s[8:9], s[8:9] op_sel:[0,1]
	flat_load_dword v3, v[6:7] offset:4
.LBB53_6:
	s_waitcnt vmcnt(0) lgkmcnt(0)
	v_and_b32_e32 v1, 0x7fffffff, v4
	v_cmp_eq_u32_e32 vcc, 0, v1
	v_cmp_eq_f32_e64 s[0:1], 0, v5
	s_and_b64 s[10:11], vcc, s[0:1]
	s_mov_b64 s[0:1], -1
	s_and_saveexec_b64 s[8:9], s[10:11]
; %bb.7:
	v_and_b32_e32 v1, 0x7fffffff, v3
	v_cmp_neq_f32_e32 vcc, 1.0, v2
	v_cmp_ne_u32_e64 s[0:1], 0, v1
	s_or_b64 s[0:1], vcc, s[0:1]
	s_orn2_b64 s[0:1], s[0:1], exec
; %bb.8:
	s_or_b64 exec, exec, s[8:9]
	s_and_saveexec_b64 s[8:9], s[0:1]
	s_cbranch_execz .LBB53_18
; %bb.9:
	s_load_dwordx2 s[0:1], s[4:5], 0x10
	v_lshrrev_b32_e32 v1, 6, v0
	v_lshl_or_b32 v6, s6, 2, v1
	v_ashrrev_i32_e32 v7, 31, v6
	s_waitcnt lgkmcnt(0)
	v_cmp_gt_i64_e32 vcc, s[0:1], v[6:7]
	s_and_b64 exec, exec, vcc
	s_cbranch_execz .LBB53_18
; %bb.10:
	s_load_dword s0, s[4:5], 0x28
	s_load_dwordx4 s[8:11], s[4:5], 0x18
	s_mov_b32 s1, 0
	v_and_b32_e32 v18, 63, v0
	v_mov_b32_e32 v11, 0
	s_waitcnt lgkmcnt(0)
	s_lshl_b64 s[0:1], s[0:1], 2
	s_add_u32 s0, s10, s0
	s_addc_u32 s1, s11, s1
	s_load_dword s0, s[0:1], 0x0
	v_mov_b32_e32 v1, s9
	v_mov_b32_e32 v10, v11
	s_load_dwordx2 s[6:7], s[4:5], 0x60
	s_waitcnt lgkmcnt(0)
	v_add_u32_e32 v6, s0, v6
	v_ashrrev_i32_e32 v7, 31, v6
	v_lshlrev_b64 v[6:7], 2, v[6:7]
	v_add_co_u32_e32 v6, vcc, s8, v6
	v_addc_co_u32_e32 v7, vcc, v1, v7, vcc
	global_load_dword v6, v[6:7], off
	s_load_dwordx2 s[0:1], s[4:5], 0x38
	s_waitcnt lgkmcnt(0)
	v_mov_b32_e32 v1, s1
	s_waitcnt vmcnt(0)
	v_ashrrev_i32_e32 v7, 31, v6
	v_lshlrev_b64 v[6:7], 3, v[6:7]
	v_add_co_u32_e32 v8, vcc, s0, v6
	v_addc_co_u32_e32 v9, vcc, v1, v7, vcc
	global_load_dwordx4 v[12:15], v[8:9], off
	v_subrev_co_u32_e32 v8, vcc, s2, v18
	v_subb_co_u32_e64 v9, s[0:1], 0, 0, vcc
	s_waitcnt vmcnt(0)
	v_subrev_co_u32_e32 v0, vcc, s2, v14
	v_subbrev_co_u32_e32 v1, vcc, 0, v15, vcc
	v_add_co_u32_e32 v8, vcc, v12, v8
	v_addc_co_u32_e32 v9, vcc, v13, v9, vcc
	v_cmp_lt_i64_e32 vcc, v[8:9], v[0:1]
	s_and_saveexec_b64 s[8:9], vcc
	s_cbranch_execz .LBB53_14
; %bb.11:
	s_load_dword s0, s[4:5], 0x0
	s_load_dwordx4 s[12:15], s[4:5], 0x40
	s_load_dwordx2 s[10:11], s[4:5], 0x50
	v_lshlrev_b64 v[10:11], 3, v[8:9]
	v_xor_b32_e32 v12, 0x80000000, v5
	s_waitcnt lgkmcnt(0)
	s_bitcmp1_b32 s0, 0
	v_mov_b32_e32 v14, s15
	v_add_co_u32_e32 v10, vcc, s14, v10
	v_addc_co_u32_e32 v11, vcc, v11, v14, vcc
	v_add_co_u32_e32 v14, vcc, 4, v10
	v_addc_co_u32_e32 v15, vcc, 0, v11, vcc
	v_lshlrev_b64 v[10:11], 2, v[8:9]
	v_mov_b32_e32 v17, s13
	v_add_co_u32_e32 v16, vcc, s12, v10
	v_mov_b32_e32 v10, 0
	v_mov_b32_e32 v13, v4
	s_cselect_b64 s[4:5], -1, 0
	v_addc_co_u32_e32 v17, vcc, v17, v11, vcc
	s_mov_b64 s[12:13], 0
	v_mov_b32_e32 v19, s11
	v_mov_b32_e32 v11, v10
.LBB53_12:                              ; =>This Inner Loop Header: Depth=1
	global_load_dword v22, v[16:17], off
	global_load_dwordx2 v[20:21], v[14:15], off offset:-4
	s_waitcnt vmcnt(1)
	v_subrev_u32_e32 v22, s2, v22
	v_ashrrev_i32_e32 v23, 31, v22
	v_lshlrev_b64 v[22:23], 3, v[22:23]
	v_add_co_u32_e32 v22, vcc, s10, v22
	v_addc_co_u32_e32 v23, vcc, v19, v23, vcc
	global_load_dwordx2 v[22:23], v[22:23], off
	v_add_co_u32_e32 v8, vcc, 64, v8
	v_addc_co_u32_e32 v9, vcc, 0, v9, vcc
	s_waitcnt vmcnt(1)
	v_cndmask_b32_e64 v24, v21, -v21, s[4:5]
	v_add_co_u32_e32 v14, vcc, 0x200, v14
	v_pk_mul_f32 v[24:25], v[24:25], v[12:13] op_sel_hi:[0,1]
	v_addc_co_u32_e32 v15, vcc, 0, v15, vcc
	v_pk_fma_f32 v[20:21], v[4:5], v[20:21], v[24:25] op_sel_hi:[1,0,1]
	v_add_co_u32_e32 v16, vcc, 0x100, v16
	v_cmp_ge_i64_e64 s[0:1], v[8:9], v[0:1]
	v_addc_co_u32_e32 v17, vcc, 0, v17, vcc
	s_or_b64 s[12:13], s[0:1], s[12:13]
	s_waitcnt vmcnt(0)
	v_pk_fma_f32 v[10:11], v[20:21], v[22:23], v[10:11] op_sel_hi:[1,0,1]
	v_pk_fma_f32 v[10:11], v[20:21], v[22:23], v[10:11] op_sel:[1,1,0] op_sel_hi:[0,1,1] neg_lo:[1,0,0]
	s_andn2_b64 exec, exec, s[12:13]
	s_cbranch_execnz .LBB53_12
; %bb.13:
	s_or_b64 exec, exec, s[12:13]
.LBB53_14:
	s_or_b64 exec, exec, s[8:9]
	v_mov_b32_dpp v0, v10 row_shr:1 row_mask:0xf bank_mask:0xf
	v_mov_b32_dpp v1, v11 row_shr:1 row_mask:0xf bank_mask:0xf
	v_pk_add_f32 v[0:1], v[10:11], v[0:1]
	v_cmp_eq_u32_e32 vcc, 63, v18
	s_nop 0
	v_mov_b32_dpp v4, v0 row_shr:2 row_mask:0xf bank_mask:0xf
	v_mov_b32_dpp v5, v1 row_shr:2 row_mask:0xf bank_mask:0xf
	v_pk_add_f32 v[0:1], v[0:1], v[4:5]
	s_nop 1
	v_mov_b32_dpp v4, v0 row_shr:4 row_mask:0xf bank_mask:0xe
	v_mov_b32_dpp v5, v1 row_shr:4 row_mask:0xf bank_mask:0xe
	v_pk_add_f32 v[0:1], v[0:1], v[4:5]
	;; [unrolled: 4-line block ×3, first 2 shown]
	s_nop 1
	v_mov_b32_dpp v4, v0 row_bcast:15 row_mask:0xa bank_mask:0xf
	v_mov_b32_dpp v5, v1 row_bcast:15 row_mask:0xa bank_mask:0xf
	v_pk_add_f32 v[0:1], v[0:1], v[4:5]
	s_nop 1
	v_mov_b32_dpp v4, v0 row_bcast:31 row_mask:0xc bank_mask:0xf
	v_mov_b32_dpp v5, v1 row_bcast:31 row_mask:0xc bank_mask:0xf
	s_and_b64 exec, exec, vcc
	s_cbranch_execz .LBB53_18
; %bb.15:
	v_pk_add_f32 v[0:1], v[0:1], v[4:5]
	v_and_b32_e32 v4, 0x7fffffff, v2
	v_cmp_ne_u32_e32 vcc, 0, v4
	v_cmp_neq_f32_e64 s[0:1], 0, v3
	s_or_b64 s[2:3], vcc, s[0:1]
	s_and_saveexec_b64 s[0:1], s[2:3]
	s_cbranch_execz .LBB53_17
; %bb.16:
	v_mov_b32_e32 v5, s7
	v_add_co_u32_e32 v4, vcc, s6, v6
	v_addc_co_u32_e32 v5, vcc, v5, v7, vcc
	global_load_dwordx2 v[4:5], v[4:5], off
	v_xor_b32_e32 v8, 0x80000000, v3
	v_mov_b32_e32 v9, v2
	s_waitcnt vmcnt(0)
	v_pk_fma_f32 v[0:1], v[2:3], v[4:5], v[0:1] op_sel_hi:[1,0,1]
	v_pk_fma_f32 v[0:1], v[8:9], v[4:5], v[0:1] op_sel:[0,1,0]
.LBB53_17:
	s_or_b64 exec, exec, s[0:1]
	v_mov_b32_e32 v3, s7
	v_add_co_u32_e32 v2, vcc, s6, v6
	v_addc_co_u32_e32 v3, vcc, v3, v7, vcc
	global_store_dwordx2 v[2:3], v[0:1], off
.LBB53_18:
	s_endpgm
.LBB53_19:
	v_pk_mov_b32 v[2:3], s[10:11], s[10:11] op_sel:[0,1]
	flat_load_dword v5, v[2:3] offset:4
	s_and_b64 vcc, exec, s[0:1]
	v_mov_b32_e32 v2, s8
	s_cbranch_vccnz .LBB53_4
.LBB53_20:
	v_pk_mov_b32 v[2:3], s[8:9], s[8:9] op_sel:[0,1]
	flat_load_dword v2, v[2:3]
	s_and_b64 vcc, exec, s[0:1]
	v_mov_b32_e32 v3, s9
	s_cbranch_vccz .LBB53_5
	s_branch .LBB53_6
	.section	.rodata,"a",@progbits
	.p2align	6, 0x0
	.amdhsa_kernel _ZN9rocsparseL41csrmvn_lrb_medium_rows_warp_reduce_kernelILj256ELj64Eli21rocsparse_complex_numIfES2_S2_S2_EEvbT1_lPT2_S5_jNS_24const_host_device_scalarIT6_EEPKS3_PKS4_PKT3_PKT4_S8_PT5_21rocsparse_index_base_b
		.amdhsa_group_segment_fixed_size 0
		.amdhsa_private_segment_fixed_size 0
		.amdhsa_kernarg_size 112
		.amdhsa_user_sgpr_count 6
		.amdhsa_user_sgpr_private_segment_buffer 1
		.amdhsa_user_sgpr_dispatch_ptr 0
		.amdhsa_user_sgpr_queue_ptr 0
		.amdhsa_user_sgpr_kernarg_segment_ptr 1
		.amdhsa_user_sgpr_dispatch_id 0
		.amdhsa_user_sgpr_flat_scratch_init 0
		.amdhsa_user_sgpr_kernarg_preload_length 0
		.amdhsa_user_sgpr_kernarg_preload_offset 0
		.amdhsa_user_sgpr_private_segment_size 0
		.amdhsa_uses_dynamic_stack 0
		.amdhsa_system_sgpr_private_segment_wavefront_offset 0
		.amdhsa_system_sgpr_workgroup_id_x 1
		.amdhsa_system_sgpr_workgroup_id_y 0
		.amdhsa_system_sgpr_workgroup_id_z 0
		.amdhsa_system_sgpr_workgroup_info 0
		.amdhsa_system_vgpr_workitem_id 0
		.amdhsa_next_free_vgpr 26
		.amdhsa_next_free_sgpr 16
		.amdhsa_accum_offset 28
		.amdhsa_reserve_vcc 1
		.amdhsa_reserve_flat_scratch 0
		.amdhsa_float_round_mode_32 0
		.amdhsa_float_round_mode_16_64 0
		.amdhsa_float_denorm_mode_32 3
		.amdhsa_float_denorm_mode_16_64 3
		.amdhsa_dx10_clamp 1
		.amdhsa_ieee_mode 1
		.amdhsa_fp16_overflow 0
		.amdhsa_tg_split 0
		.amdhsa_exception_fp_ieee_invalid_op 0
		.amdhsa_exception_fp_denorm_src 0
		.amdhsa_exception_fp_ieee_div_zero 0
		.amdhsa_exception_fp_ieee_overflow 0
		.amdhsa_exception_fp_ieee_underflow 0
		.amdhsa_exception_fp_ieee_inexact 0
		.amdhsa_exception_int_div_zero 0
	.end_amdhsa_kernel
	.section	.text._ZN9rocsparseL41csrmvn_lrb_medium_rows_warp_reduce_kernelILj256ELj64Eli21rocsparse_complex_numIfES2_S2_S2_EEvbT1_lPT2_S5_jNS_24const_host_device_scalarIT6_EEPKS3_PKS4_PKT3_PKT4_S8_PT5_21rocsparse_index_base_b,"axG",@progbits,_ZN9rocsparseL41csrmvn_lrb_medium_rows_warp_reduce_kernelILj256ELj64Eli21rocsparse_complex_numIfES2_S2_S2_EEvbT1_lPT2_S5_jNS_24const_host_device_scalarIT6_EEPKS3_PKS4_PKT3_PKT4_S8_PT5_21rocsparse_index_base_b,comdat
.Lfunc_end53:
	.size	_ZN9rocsparseL41csrmvn_lrb_medium_rows_warp_reduce_kernelILj256ELj64Eli21rocsparse_complex_numIfES2_S2_S2_EEvbT1_lPT2_S5_jNS_24const_host_device_scalarIT6_EEPKS3_PKS4_PKT3_PKT4_S8_PT5_21rocsparse_index_base_b, .Lfunc_end53-_ZN9rocsparseL41csrmvn_lrb_medium_rows_warp_reduce_kernelILj256ELj64Eli21rocsparse_complex_numIfES2_S2_S2_EEvbT1_lPT2_S5_jNS_24const_host_device_scalarIT6_EEPKS3_PKS4_PKT3_PKT4_S8_PT5_21rocsparse_index_base_b
                                        ; -- End function
	.section	.AMDGPU.csdata,"",@progbits
; Kernel info:
; codeLenInByte = 1068
; NumSgprs: 20
; NumVgprs: 26
; NumAgprs: 0
; TotalNumVgprs: 26
; ScratchSize: 0
; MemoryBound: 0
; FloatMode: 240
; IeeeMode: 1
; LDSByteSize: 0 bytes/workgroup (compile time only)
; SGPRBlocks: 2
; VGPRBlocks: 3
; NumSGPRsForWavesPerEU: 20
; NumVGPRsForWavesPerEU: 26
; AccumOffset: 28
; Occupancy: 8
; WaveLimiterHint : 1
; COMPUTE_PGM_RSRC2:SCRATCH_EN: 0
; COMPUTE_PGM_RSRC2:USER_SGPR: 6
; COMPUTE_PGM_RSRC2:TRAP_HANDLER: 0
; COMPUTE_PGM_RSRC2:TGID_X_EN: 1
; COMPUTE_PGM_RSRC2:TGID_Y_EN: 0
; COMPUTE_PGM_RSRC2:TGID_Z_EN: 0
; COMPUTE_PGM_RSRC2:TIDIG_COMP_CNT: 0
; COMPUTE_PGM_RSRC3_GFX90A:ACCUM_OFFSET: 6
; COMPUTE_PGM_RSRC3_GFX90A:TG_SPLIT: 0
	.section	.text._ZN9rocsparseL29csrmvn_lrb_medium_rows_kernelILj256Eli21rocsparse_complex_numIfES2_S2_S2_EEvbT0_PT1_S5_jNS_24const_host_device_scalarIT5_EEPKS3_PKS4_PKT2_PKT3_S8_PT4_21rocsparse_index_base_b,"axG",@progbits,_ZN9rocsparseL29csrmvn_lrb_medium_rows_kernelILj256Eli21rocsparse_complex_numIfES2_S2_S2_EEvbT0_PT1_S5_jNS_24const_host_device_scalarIT5_EEPKS3_PKS4_PKT2_PKT3_S8_PT4_21rocsparse_index_base_b,comdat
	.globl	_ZN9rocsparseL29csrmvn_lrb_medium_rows_kernelILj256Eli21rocsparse_complex_numIfES2_S2_S2_EEvbT0_PT1_S5_jNS_24const_host_device_scalarIT5_EEPKS3_PKS4_PKT2_PKT3_S8_PT4_21rocsparse_index_base_b ; -- Begin function _ZN9rocsparseL29csrmvn_lrb_medium_rows_kernelILj256Eli21rocsparse_complex_numIfES2_S2_S2_EEvbT0_PT1_S5_jNS_24const_host_device_scalarIT5_EEPKS3_PKS4_PKT2_PKT3_S8_PT4_21rocsparse_index_base_b
	.p2align	8
	.type	_ZN9rocsparseL29csrmvn_lrb_medium_rows_kernelILj256Eli21rocsparse_complex_numIfES2_S2_S2_EEvbT0_PT1_S5_jNS_24const_host_device_scalarIT5_EEPKS3_PKS4_PKT2_PKT3_S8_PT4_21rocsparse_index_base_b,@function
_ZN9rocsparseL29csrmvn_lrb_medium_rows_kernelILj256Eli21rocsparse_complex_numIfES2_S2_S2_EEvbT0_PT1_S5_jNS_24const_host_device_scalarIT5_EEPKS3_PKS4_PKT2_PKT3_S8_PT4_21rocsparse_index_base_b: ; @_ZN9rocsparseL29csrmvn_lrb_medium_rows_kernelILj256Eli21rocsparse_complex_numIfES2_S2_S2_EEvbT0_PT1_S5_jNS_24const_host_device_scalarIT5_EEPKS3_PKS4_PKT2_PKT3_S8_PT4_21rocsparse_index_base_b
; %bb.0:
	s_load_dwordx2 s[8:9], s[4:5], 0x60
	s_load_dwordx2 s[10:11], s[4:5], 0x28
	;; [unrolled: 1-line block ×3, first 2 shown]
	s_waitcnt lgkmcnt(0)
	s_bitcmp1_b32 s9, 0
	s_cselect_b64 s[0:1], -1, 0
	s_xor_b64 s[12:13], s[0:1], -1
	s_and_b64 vcc, exec, s[0:1]
	v_mov_b32_e32 v4, s10
	s_cbranch_vccnz .LBB54_2
; %bb.1:
	v_pk_mov_b32 v[2:3], s[10:11], s[10:11] op_sel:[0,1]
	flat_load_dword v4, v[2:3]
.LBB54_2:
	v_cndmask_b32_e64 v1, 0, 1, s[12:13]
	v_cmp_ne_u32_e64 s[0:1], 1, v1
	s_andn2_b64 vcc, exec, s[12:13]
	v_mov_b32_e32 v5, s11
	s_cbranch_vccz .LBB54_34
; %bb.3:
	s_and_b64 vcc, exec, s[0:1]
	v_mov_b32_e32 v2, s2
	s_cbranch_vccz .LBB54_35
.LBB54_4:
	s_and_b64 vcc, exec, s[0:1]
	v_mov_b32_e32 v3, s3
	s_cbranch_vccnz .LBB54_6
.LBB54_5:
	v_pk_mov_b32 v[6:7], s[2:3], s[2:3] op_sel:[0,1]
	flat_load_dword v3, v[6:7] offset:4
.LBB54_6:
	s_waitcnt vmcnt(0) lgkmcnt(0)
	v_and_b32_e32 v1, 0x7fffffff, v4
	v_cmp_eq_u32_e32 vcc, 0, v1
	v_cmp_eq_f32_e64 s[0:1], 0, v5
	s_and_b64 s[10:11], vcc, s[0:1]
	s_mov_b64 s[0:1], -1
	s_and_saveexec_b64 s[2:3], s[10:11]
; %bb.7:
	v_and_b32_e32 v1, 0x7fffffff, v3
	v_cmp_neq_f32_e32 vcc, 1.0, v2
	v_cmp_ne_u32_e64 s[0:1], 0, v1
	s_or_b64 s[0:1], vcc, s[0:1]
	s_orn2_b64 s[0:1], s[0:1], exec
; %bb.8:
	s_or_b64 exec, exec, s[2:3]
	s_and_saveexec_b64 s[2:3], s[0:1]
	s_cbranch_execz .LBB54_33
; %bb.9:
	s_load_dword s10, s[4:5], 0x20
	s_load_dwordx4 s[0:3], s[4:5], 0x10
	s_mov_b32 s11, 0
	v_subrev_co_u32_e32 v1, vcc, s8, v0
	s_waitcnt lgkmcnt(0)
	s_lshl_b64 s[10:11], s[10:11], 2
	s_add_u32 s2, s2, s10
	s_addc_u32 s3, s3, s11
	s_load_dword s2, s[2:3], 0x0
	v_mov_b32_e32 v9, 0
	s_waitcnt lgkmcnt(0)
	s_add_i32 s2, s2, s6
	s_ashr_i32 s3, s2, 31
	s_lshl_b64 s[2:3], s[2:3], 2
	s_add_u32 s0, s0, s2
	s_addc_u32 s1, s1, s3
	s_load_dword s6, s[0:1], 0x0
	s_load_dwordx2 s[10:11], s[4:5], 0x30
	s_load_dwordx2 s[2:3], s[4:5], 0x58
	s_waitcnt lgkmcnt(0)
	s_ashr_i32 s7, s6, 31
	s_lshl_b64 s[6:7], s[6:7], 3
	s_add_u32 s0, s10, s6
	s_addc_u32 s1, s11, s7
	s_load_dwordx4 s[12:15], s[0:1], 0x0
	v_subb_co_u32_e64 v7, s[0:1], 0, 0, vcc
	s_waitcnt lgkmcnt(0)
	s_sub_u32 s10, s14, s8
	v_mov_b32_e32 v8, s13
	v_add_co_u32_e32 v6, vcc, s12, v1
	s_subb_u32 s11, s15, 0
	v_addc_co_u32_e32 v7, vcc, v8, v7, vcc
	v_cmp_gt_i64_e32 vcc, s[10:11], v[6:7]
	v_mov_b32_e32 v8, v9
	s_and_saveexec_b64 s[12:13], vcc
	s_cbranch_execz .LBB54_13
; %bb.10:
	s_load_dword s0, s[4:5], 0x0
	s_load_dwordx4 s[16:19], s[4:5], 0x38
	s_load_dwordx2 s[14:15], s[4:5], 0x48
	v_lshlrev_b64 v[8:9], 3, v[6:7]
	v_xor_b32_e32 v10, 0x80000000, v5
	s_waitcnt lgkmcnt(0)
	s_bitcmp1_b32 s0, 0
	v_mov_b32_e32 v1, s19
	v_add_co_u32_e32 v8, vcc, s18, v8
	v_addc_co_u32_e32 v1, vcc, v9, v1, vcc
	v_add_co_u32_e32 v12, vcc, 4, v8
	v_addc_co_u32_e32 v13, vcc, 0, v1, vcc
	v_lshlrev_b64 v[8:9], 2, v[6:7]
	v_mov_b32_e32 v1, s17
	v_add_co_u32_e32 v14, vcc, s16, v8
	v_mov_b32_e32 v8, 0
	v_mov_b32_e32 v11, v4
	s_cselect_b64 s[4:5], -1, 0
	v_addc_co_u32_e32 v15, vcc, v1, v9, vcc
	s_mov_b64 s[16:17], 0
	v_mov_b32_e32 v1, s15
	s_movk_i32 s9, 0x100
	v_mov_b32_e32 v9, v8
.LBB54_11:                              ; =>This Inner Loop Header: Depth=1
	global_load_dword v18, v[14:15], off
	global_load_dwordx2 v[16:17], v[12:13], off offset:-4
	s_waitcnt vmcnt(1)
	v_subrev_u32_e32 v18, s8, v18
	v_ashrrev_i32_e32 v19, 31, v18
	v_lshlrev_b64 v[18:19], 3, v[18:19]
	v_add_co_u32_e32 v18, vcc, s14, v18
	v_addc_co_u32_e32 v19, vcc, v1, v19, vcc
	global_load_dwordx2 v[18:19], v[18:19], off
	v_add_co_u32_e32 v6, vcc, s9, v6
	v_addc_co_u32_e32 v7, vcc, 0, v7, vcc
	s_waitcnt vmcnt(1)
	v_cndmask_b32_e64 v20, v17, -v17, s[4:5]
	v_add_co_u32_e32 v12, vcc, 0x800, v12
	v_pk_mul_f32 v[20:21], v[20:21], v[10:11] op_sel_hi:[0,1]
	v_addc_co_u32_e32 v13, vcc, 0, v13, vcc
	v_pk_fma_f32 v[16:17], v[4:5], v[16:17], v[20:21] op_sel_hi:[1,0,1]
	v_add_co_u32_e32 v14, vcc, 0x400, v14
	v_cmp_le_i64_e64 s[0:1], s[10:11], v[6:7]
	v_addc_co_u32_e32 v15, vcc, 0, v15, vcc
	s_or_b64 s[16:17], s[0:1], s[16:17]
	s_waitcnt vmcnt(0)
	v_pk_fma_f32 v[8:9], v[16:17], v[18:19], v[8:9] op_sel_hi:[1,0,1]
	v_pk_fma_f32 v[8:9], v[16:17], v[18:19], v[8:9] op_sel:[1,1,0] op_sel_hi:[0,1,1] neg_lo:[1,0,0]
	s_andn2_b64 exec, exec, s[16:17]
	s_cbranch_execnz .LBB54_11
; %bb.12:
	s_or_b64 exec, exec, s[16:17]
.LBB54_13:
	s_or_b64 exec, exec, s[12:13]
	s_movk_i32 s0, 0x80
	v_lshlrev_b32_e32 v1, 3, v0
	v_cmp_gt_u32_e32 vcc, s0, v0
	ds_write_b64 v1, v[8:9]
	s_waitcnt lgkmcnt(0)
	s_barrier
	s_and_saveexec_b64 s[0:1], vcc
	s_cbranch_execz .LBB54_15
; %bb.14:
	ds_read2st64_b64 v[4:7], v1 offset1:2
	s_waitcnt lgkmcnt(0)
	v_pk_add_f32 v[4:5], v[6:7], v[4:5]
	ds_write_b64 v1, v[4:5]
.LBB54_15:
	s_or_b64 exec, exec, s[0:1]
	v_cmp_gt_u32_e32 vcc, 64, v0
	s_waitcnt lgkmcnt(0)
	s_barrier
	s_and_saveexec_b64 s[0:1], vcc
	s_cbranch_execz .LBB54_17
; %bb.16:
	ds_read2st64_b64 v[4:7], v1 offset1:1
	s_waitcnt lgkmcnt(0)
	v_pk_add_f32 v[4:5], v[6:7], v[4:5]
	ds_write_b64 v1, v[4:5]
.LBB54_17:
	s_or_b64 exec, exec, s[0:1]
	v_cmp_gt_u32_e32 vcc, 32, v0
	s_waitcnt lgkmcnt(0)
	s_barrier
	s_and_saveexec_b64 s[0:1], vcc
	s_cbranch_execz .LBB54_19
; %bb.18:
	ds_read2_b64 v[4:7], v1 offset1:32
	s_waitcnt lgkmcnt(0)
	v_pk_add_f32 v[4:5], v[6:7], v[4:5]
	ds_write_b64 v1, v[4:5]
.LBB54_19:
	s_or_b64 exec, exec, s[0:1]
	v_cmp_gt_u32_e32 vcc, 16, v0
	s_waitcnt lgkmcnt(0)
	s_barrier
	s_and_saveexec_b64 s[0:1], vcc
	s_cbranch_execz .LBB54_21
; %bb.20:
	ds_read2_b64 v[4:7], v1 offset1:16
	s_waitcnt lgkmcnt(0)
	v_pk_add_f32 v[4:5], v[6:7], v[4:5]
	ds_write_b64 v1, v[4:5]
.LBB54_21:
	;; [unrolled: 12-line block ×5, first 2 shown]
	s_or_b64 exec, exec, s[0:1]
	v_cmp_eq_u32_e32 vcc, 0, v0
	s_waitcnt lgkmcnt(0)
	s_barrier
	s_and_saveexec_b64 s[0:1], vcc
	s_cbranch_execz .LBB54_29
; %bb.28:
	v_mov_b32_e32 v8, 0
	ds_read2_b64 v[4:7], v8 offset1:1
	s_waitcnt lgkmcnt(0)
	v_pk_add_f32 v[0:1], v[6:7], v[4:5]
	ds_write_b64 v8, v[0:1]
.LBB54_29:
	s_or_b64 exec, exec, s[0:1]
	s_waitcnt lgkmcnt(0)
	s_barrier
	s_and_b64 exec, exec, vcc
	s_cbranch_execz .LBB54_33
; %bb.30:
	v_mov_b32_e32 v4, 0
	ds_read_b64 v[0:1], v4
	v_and_b32_e32 v5, 0x7fffffff, v2
	v_cmp_ne_u32_e32 vcc, 0, v5
	v_cmp_neq_f32_e64 s[0:1], 0, v3
	s_or_b64 s[4:5], vcc, s[0:1]
	s_and_saveexec_b64 s[0:1], s[4:5]
	s_cbranch_execz .LBB54_32
; %bb.31:
	s_add_u32 s4, s2, s6
	s_addc_u32 s5, s3, s7
	s_load_dwordx2 s[4:5], s[4:5], 0x0
	v_xor_b32_e32 v6, 0x80000000, v3
	v_mov_b32_e32 v7, v2
	s_waitcnt lgkmcnt(0)
	v_pk_fma_f32 v[0:1], v[2:3], s[4:5], v[0:1] op_sel_hi:[1,0,1]
	v_pk_fma_f32 v[0:1], v[6:7], s[4:5], v[0:1] op_sel:[0,1,0]
.LBB54_32:
	s_or_b64 exec, exec, s[0:1]
	s_add_u32 s0, s2, s6
	s_addc_u32 s1, s3, s7
	s_waitcnt lgkmcnt(0)
	global_store_dwordx2 v4, v[0:1], s[0:1]
.LBB54_33:
	s_endpgm
.LBB54_34:
	v_pk_mov_b32 v[2:3], s[10:11], s[10:11] op_sel:[0,1]
	flat_load_dword v5, v[2:3] offset:4
	s_and_b64 vcc, exec, s[0:1]
	v_mov_b32_e32 v2, s2
	s_cbranch_vccnz .LBB54_4
.LBB54_35:
	v_pk_mov_b32 v[2:3], s[2:3], s[2:3] op_sel:[0,1]
	flat_load_dword v2, v[2:3]
	s_and_b64 vcc, exec, s[0:1]
	v_mov_b32_e32 v3, s3
	s_cbranch_vccz .LBB54_5
	s_branch .LBB54_6
	.section	.rodata,"a",@progbits
	.p2align	6, 0x0
	.amdhsa_kernel _ZN9rocsparseL29csrmvn_lrb_medium_rows_kernelILj256Eli21rocsparse_complex_numIfES2_S2_S2_EEvbT0_PT1_S5_jNS_24const_host_device_scalarIT5_EEPKS3_PKS4_PKT2_PKT3_S8_PT4_21rocsparse_index_base_b
		.amdhsa_group_segment_fixed_size 2048
		.amdhsa_private_segment_fixed_size 0
		.amdhsa_kernarg_size 104
		.amdhsa_user_sgpr_count 6
		.amdhsa_user_sgpr_private_segment_buffer 1
		.amdhsa_user_sgpr_dispatch_ptr 0
		.amdhsa_user_sgpr_queue_ptr 0
		.amdhsa_user_sgpr_kernarg_segment_ptr 1
		.amdhsa_user_sgpr_dispatch_id 0
		.amdhsa_user_sgpr_flat_scratch_init 0
		.amdhsa_user_sgpr_kernarg_preload_length 0
		.amdhsa_user_sgpr_kernarg_preload_offset 0
		.amdhsa_user_sgpr_private_segment_size 0
		.amdhsa_uses_dynamic_stack 0
		.amdhsa_system_sgpr_private_segment_wavefront_offset 0
		.amdhsa_system_sgpr_workgroup_id_x 1
		.amdhsa_system_sgpr_workgroup_id_y 0
		.amdhsa_system_sgpr_workgroup_id_z 0
		.amdhsa_system_sgpr_workgroup_info 0
		.amdhsa_system_vgpr_workitem_id 0
		.amdhsa_next_free_vgpr 22
		.amdhsa_next_free_sgpr 20
		.amdhsa_accum_offset 24
		.amdhsa_reserve_vcc 1
		.amdhsa_reserve_flat_scratch 0
		.amdhsa_float_round_mode_32 0
		.amdhsa_float_round_mode_16_64 0
		.amdhsa_float_denorm_mode_32 3
		.amdhsa_float_denorm_mode_16_64 3
		.amdhsa_dx10_clamp 1
		.amdhsa_ieee_mode 1
		.amdhsa_fp16_overflow 0
		.amdhsa_tg_split 0
		.amdhsa_exception_fp_ieee_invalid_op 0
		.amdhsa_exception_fp_denorm_src 0
		.amdhsa_exception_fp_ieee_div_zero 0
		.amdhsa_exception_fp_ieee_overflow 0
		.amdhsa_exception_fp_ieee_underflow 0
		.amdhsa_exception_fp_ieee_inexact 0
		.amdhsa_exception_int_div_zero 0
	.end_amdhsa_kernel
	.section	.text._ZN9rocsparseL29csrmvn_lrb_medium_rows_kernelILj256Eli21rocsparse_complex_numIfES2_S2_S2_EEvbT0_PT1_S5_jNS_24const_host_device_scalarIT5_EEPKS3_PKS4_PKT2_PKT3_S8_PT4_21rocsparse_index_base_b,"axG",@progbits,_ZN9rocsparseL29csrmvn_lrb_medium_rows_kernelILj256Eli21rocsparse_complex_numIfES2_S2_S2_EEvbT0_PT1_S5_jNS_24const_host_device_scalarIT5_EEPKS3_PKS4_PKT2_PKT3_S8_PT4_21rocsparse_index_base_b,comdat
.Lfunc_end54:
	.size	_ZN9rocsparseL29csrmvn_lrb_medium_rows_kernelILj256Eli21rocsparse_complex_numIfES2_S2_S2_EEvbT0_PT1_S5_jNS_24const_host_device_scalarIT5_EEPKS3_PKS4_PKT2_PKT3_S8_PT4_21rocsparse_index_base_b, .Lfunc_end54-_ZN9rocsparseL29csrmvn_lrb_medium_rows_kernelILj256Eli21rocsparse_complex_numIfES2_S2_S2_EEvbT0_PT1_S5_jNS_24const_host_device_scalarIT5_EEPKS3_PKS4_PKT2_PKT3_S8_PT4_21rocsparse_index_base_b
                                        ; -- End function
	.section	.AMDGPU.csdata,"",@progbits
; Kernel info:
; codeLenInByte = 1296
; NumSgprs: 24
; NumVgprs: 22
; NumAgprs: 0
; TotalNumVgprs: 22
; ScratchSize: 0
; MemoryBound: 0
; FloatMode: 240
; IeeeMode: 1
; LDSByteSize: 2048 bytes/workgroup (compile time only)
; SGPRBlocks: 2
; VGPRBlocks: 2
; NumSGPRsForWavesPerEU: 24
; NumVGPRsForWavesPerEU: 22
; AccumOffset: 24
; Occupancy: 8
; WaveLimiterHint : 1
; COMPUTE_PGM_RSRC2:SCRATCH_EN: 0
; COMPUTE_PGM_RSRC2:USER_SGPR: 6
; COMPUTE_PGM_RSRC2:TRAP_HANDLER: 0
; COMPUTE_PGM_RSRC2:TGID_X_EN: 1
; COMPUTE_PGM_RSRC2:TGID_Y_EN: 0
; COMPUTE_PGM_RSRC2:TGID_Z_EN: 0
; COMPUTE_PGM_RSRC2:TIDIG_COMP_CNT: 0
; COMPUTE_PGM_RSRC3_GFX90A:ACCUM_OFFSET: 5
; COMPUTE_PGM_RSRC3_GFX90A:TG_SPLIT: 0
	.section	.text._ZN9rocsparseL27csrmvn_lrb_long_rows_kernelIli21rocsparse_complex_numIfES2_S2_S2_EEvbT_PjPT0_S6_jNS_24const_host_device_scalarIT4_EEPKS3_PKS5_PKT1_PKT2_S9_PT3_21rocsparse_index_base_b,"axG",@progbits,_ZN9rocsparseL27csrmvn_lrb_long_rows_kernelIli21rocsparse_complex_numIfES2_S2_S2_EEvbT_PjPT0_S6_jNS_24const_host_device_scalarIT4_EEPKS3_PKS5_PKT1_PKT2_S9_PT3_21rocsparse_index_base_b,comdat
	.globl	_ZN9rocsparseL27csrmvn_lrb_long_rows_kernelIli21rocsparse_complex_numIfES2_S2_S2_EEvbT_PjPT0_S6_jNS_24const_host_device_scalarIT4_EEPKS3_PKS5_PKT1_PKT2_S9_PT3_21rocsparse_index_base_b ; -- Begin function _ZN9rocsparseL27csrmvn_lrb_long_rows_kernelIli21rocsparse_complex_numIfES2_S2_S2_EEvbT_PjPT0_S6_jNS_24const_host_device_scalarIT4_EEPKS3_PKS5_PKT1_PKT2_S9_PT3_21rocsparse_index_base_b
	.p2align	8
	.type	_ZN9rocsparseL27csrmvn_lrb_long_rows_kernelIli21rocsparse_complex_numIfES2_S2_S2_EEvbT_PjPT0_S6_jNS_24const_host_device_scalarIT4_EEPKS3_PKS5_PKT1_PKT2_S9_PT3_21rocsparse_index_base_b,@function
_ZN9rocsparseL27csrmvn_lrb_long_rows_kernelIli21rocsparse_complex_numIfES2_S2_S2_EEvbT_PjPT0_S6_jNS_24const_host_device_scalarIT4_EEPKS3_PKS5_PKT1_PKT2_S9_PT3_21rocsparse_index_base_b: ; @_ZN9rocsparseL27csrmvn_lrb_long_rows_kernelIli21rocsparse_complex_numIfES2_S2_S2_EEvbT_PjPT0_S6_jNS_24const_host_device_scalarIT4_EEPKS3_PKS5_PKT1_PKT2_S9_PT3_21rocsparse_index_base_b
; %bb.0:
	s_load_dwordx2 s[16:17], s[4:5], 0x68
	s_load_dwordx2 s[8:9], s[4:5], 0x30
	;; [unrolled: 1-line block ×3, first 2 shown]
	s_waitcnt lgkmcnt(0)
	s_bitcmp1_b32 s17, 0
	s_cselect_b64 s[0:1], -1, 0
	s_xor_b64 s[10:11], s[0:1], -1
	s_and_b64 vcc, exec, s[0:1]
	v_mov_b32_e32 v2, s8
	s_cbranch_vccnz .LBB55_2
; %bb.1:
	v_pk_mov_b32 v[2:3], s[8:9], s[8:9] op_sel:[0,1]
	flat_load_dword v2, v[2:3]
.LBB55_2:
	v_cndmask_b32_e64 v1, 0, 1, s[10:11]
	v_cmp_ne_u32_e64 s[0:1], 1, v1
	s_andn2_b64 vcc, exec, s[10:11]
	v_mov_b32_e32 v3, s9
	s_cbranch_vccz .LBB55_39
; %bb.3:
	s_and_b64 vcc, exec, s[0:1]
	v_mov_b32_e32 v1, s2
	s_cbranch_vccz .LBB55_40
.LBB55_4:
	s_and_b64 vcc, exec, s[0:1]
	v_mov_b32_e32 v5, s3
	s_cbranch_vccnz .LBB55_6
.LBB55_5:
	v_pk_mov_b32 v[4:5], s[2:3], s[2:3] op_sel:[0,1]
	flat_load_dword v5, v[4:5] offset:4
.LBB55_6:
	s_waitcnt vmcnt(0) lgkmcnt(0)
	v_and_b32_e32 v4, 0x7fffffff, v2
	v_cmp_eq_u32_e32 vcc, 0, v4
	v_cmp_eq_f32_e64 s[0:1], 0, v3
	s_and_b64 s[8:9], vcc, s[0:1]
	s_mov_b64 s[0:1], -1
	s_and_saveexec_b64 s[2:3], s[8:9]
; %bb.7:
	v_cmp_neq_f32_e32 vcc, 1.0, v1
	v_cmp_neq_f32_e64 s[0:1], 0, v5
	s_or_b64 s[0:1], vcc, s[0:1]
	s_orn2_b64 s[0:1], s[0:1], exec
; %bb.8:
	s_or_b64 exec, exec, s[2:3]
	s_and_saveexec_b64 s[2:3], s[0:1]
	s_cbranch_execz .LBB55_48
; %bb.9:
	s_load_dword s18, s[4:5], 0x28
	s_load_dwordx2 s[0:1], s[4:5], 0x20
	s_mov_b32 s19, 0
	s_waitcnt lgkmcnt(0)
	s_lshl_b64 s[2:3], s[18:19], 2
	s_add_u32 s0, s0, s2
	s_addc_u32 s1, s1, s3
	s_lshl_b32 s2, -1, s18
	s_not_b32 s2, s2
	s_mul_hi_u32 s2, s2, 0x2aaaaaab
	s_lshr_b32 s2, s2, 7
	s_add_i32 s3, s2, 1
	v_cvt_f32_u32_e32 v4, s3
	s_load_dwordx4 s[8:11], s[4:5], 0x10
	s_load_dword s7, s[0:1], 0x0
	s_not_b32 s0, s2
	s_mov_b32 s18, s19
	v_rcp_iflag_f32_e32 v4, v4
	v_pk_mov_b32 v[6:7], s[18:19], s[18:19] op_sel:[0,1]
	v_mul_f32_e32 v4, 0x4f7ffffe, v4
	v_cvt_u32_f32_e32 v4, v4
	v_readfirstlane_b32 s1, v4
	s_mul_i32 s0, s0, s1
	s_mul_hi_u32 s0, s1, s0
	s_add_i32 s1, s1, s0
	s_mul_hi_u32 s0, s6, s1
	s_mul_i32 s1, s0, s3
	s_sub_i32 s1, s6, s1
	s_add_i32 s2, s0, 1
	s_sub_i32 s12, s1, s3
	s_cmp_ge_u32 s1, s3
	s_cselect_b32 s0, s2, s0
	s_cselect_b32 s1, s12, s1
	s_add_i32 s2, s0, 1
	s_cmp_ge_u32 s1, s3
	s_cselect_b32 s0, s2, s0
	s_mul_i32 s14, s0, s3
	s_waitcnt lgkmcnt(0)
	s_add_i32 s0, s0, s7
	s_ashr_i32 s1, s0, 31
	s_sub_i32 s28, s6, s14
	s_lshl_b64 s[0:1], s[0:1], 2
	s_add_u32 s0, s10, s0
	s_addc_u32 s1, s11, s1
	s_load_dword s2, s[0:1], 0x0
	s_load_dwordx2 s[20:21], s[4:5], 0x38
	s_load_dwordx2 s[10:11], s[4:5], 0x60
	v_or_b32_e32 v4, s28, v0
	v_cmp_eq_u32_e32 vcc, 0, v4
	s_waitcnt lgkmcnt(0)
	s_ashr_i32 s3, s2, 31
	s_lshl_b64 s[12:13], s[2:3], 3
	s_add_u32 s0, s20, s12
	s_addc_u32 s1, s21, s13
	s_ashr_i32 s7, s6, 31
	s_lshl_b64 s[6:7], s[6:7], 2
	s_add_u32 s6, s8, s6
	s_addc_u32 s7, s9, s7
	s_load_dwordx4 s[0:3], s[0:1], 0x0
	s_nop 0
	s_load_dword s17, s[6:7], 0x0
	s_and_saveexec_b64 s[20:21], vcc
	s_cbranch_execz .LBB55_13
; %bb.10:
	s_add_u32 s22, s10, s12
	s_addc_u32 s23, s11, s13
	s_load_dwordx2 s[22:23], s[22:23], 0x0
	s_mov_b64 s[24:25], exec
	v_add_f32_e32 v7, -1.0, v1
	v_mbcnt_lo_u32_b32 v1, s24, 0
	v_xor_b32_e32 v6, 0x80000000, v5
	v_mbcnt_hi_u32_b32 v1, s25, v1
	v_mov_b32_e32 v4, v7
	s_waitcnt lgkmcnt(0)
	v_pk_mul_f32 v[6:7], s[22:23], v[6:7] op_sel:[1,0]
	v_cmp_eq_u32_e32 vcc, 0, v1
	s_waitcnt vmcnt(0) expcnt(0) lgkmcnt(0)
	s_and_saveexec_b64 s[26:27], vcc
	s_cbranch_execz .LBB55_12
; %bb.11:
	s_ashr_i32 s15, s14, 31
	s_lshl_b64 s[30:31], s[14:15], 2
	s_add_u32 s30, s8, s30
	s_addc_u32 s31, s9, s31
	s_bcnt1_i32_b64 s15, s[24:25]
	s_and_b32 s15, s15, 1
	v_mov_b32_e32 v1, 0
	v_mov_b32_e32 v8, s15
	global_atomic_xor v1, v8, s[30:31]
.LBB55_12:
	s_or_b64 exec, exec, s[26:27]
	v_pk_fma_f32 v[6:7], v[4:5], s[22:23], v[6:7] op_sel_hi:[1,0,1]
.LBB55_13:
	s_or_b64 exec, exec, s[20:21]
	s_mul_i32 s18, s28, 3
	s_lshl_b64 s[18:19], s[18:19], 8
	s_waitcnt lgkmcnt(0)
	s_sub_u32 s0, s0, s16
	s_subb_u32 s1, s1, 0
	s_add_u32 s15, s0, s18
	s_addc_u32 s20, s1, s19
	s_sub_u32 s0, s2, s16
	s_subb_u32 s1, s3, 0
	s_add_u32 s2, s15, 0x300
	s_addc_u32 s3, s20, 0
	v_pk_mov_b32 v[4:5], s[0:1], s[0:1] op_sel:[0,1]
	v_cmp_lt_i64_e32 vcc, s[2:3], v[4:5]
	s_and_b64 s[18:19], vcc, exec
	v_mov_b32_e32 v1, s20
	v_add_co_u32_e32 v4, vcc, s15, v0
	s_cselect_b32 s3, s3, s1
	s_cselect_b32 s2, s2, s0
	v_addc_co_u32_e32 v5, vcc, 0, v1, vcc
	v_cmp_gt_i64_e32 vcc, s[2:3], v[4:5]
	s_and_saveexec_b64 s[18:19], vcc
	s_cbranch_execz .LBB55_17
; %bb.14:
	s_load_dword s0, s[4:5], 0x0
	s_load_dwordx4 s[24:27], s[4:5], 0x40
	s_load_dwordx2 s[20:21], s[4:5], 0x50
	v_lshlrev_b64 v[10:11], 3, v[4:5]
	v_lshlrev_b64 v[12:13], 2, v[4:5]
	s_waitcnt lgkmcnt(0)
	s_bitcmp1_b32 s0, 0
	v_mov_b32_e32 v1, s27
	v_add_co_u32_e32 v10, vcc, s26, v10
	v_addc_co_u32_e32 v1, vcc, v11, v1, vcc
	v_add_co_u32_e32 v10, vcc, 4, v10
	v_addc_co_u32_e32 v11, vcc, 0, v1, vcc
	v_mov_b32_e32 v1, s25
	v_add_co_u32_e32 v12, vcc, s24, v12
	v_xor_b32_e32 v8, 0x80000000, v3
	v_mov_b32_e32 v9, v2
	s_cselect_b64 s[4:5], -1, 0
	v_addc_co_u32_e32 v13, vcc, v1, v13, vcc
	s_mov_b64 s[22:23], 0
	v_mov_b32_e32 v1, s21
	s_movk_i32 s15, 0x100
.LBB55_15:                              ; =>This Inner Loop Header: Depth=1
	global_load_dword v16, v[12:13], off
	global_load_dwordx2 v[14:15], v[10:11], off offset:-4
	s_waitcnt vmcnt(1)
	v_subrev_u32_e32 v16, s16, v16
	v_ashrrev_i32_e32 v17, 31, v16
	v_lshlrev_b64 v[16:17], 3, v[16:17]
	v_add_co_u32_e32 v16, vcc, s20, v16
	v_addc_co_u32_e32 v17, vcc, v1, v17, vcc
	global_load_dwordx2 v[16:17], v[16:17], off
	v_add_co_u32_e32 v4, vcc, s15, v4
	v_addc_co_u32_e32 v5, vcc, 0, v5, vcc
	s_waitcnt vmcnt(1)
	v_cndmask_b32_e64 v18, v15, -v15, s[4:5]
	v_add_co_u32_e32 v10, vcc, 0x800, v10
	v_pk_mul_f32 v[18:19], v[18:19], v[8:9] op_sel_hi:[0,1]
	v_addc_co_u32_e32 v11, vcc, 0, v11, vcc
	v_pk_fma_f32 v[14:15], v[2:3], v[14:15], v[18:19] op_sel_hi:[1,0,1]
	v_add_co_u32_e32 v12, vcc, 0x400, v12
	v_cmp_le_i64_e64 s[0:1], s[2:3], v[4:5]
	v_addc_co_u32_e32 v13, vcc, 0, v13, vcc
	s_or_b64 s[22:23], s[0:1], s[22:23]
	s_waitcnt vmcnt(0)
	v_pk_fma_f32 v[6:7], v[14:15], v[16:17], v[6:7] op_sel_hi:[1,0,1]
	v_pk_fma_f32 v[6:7], v[14:15], v[16:17], v[6:7] op_sel:[1,1,0] op_sel_hi:[0,1,1] neg_lo:[1,0,0]
	s_andn2_b64 exec, exec, s[22:23]
	s_cbranch_execnz .LBB55_15
; %bb.16:
	s_or_b64 exec, exec, s[22:23]
.LBB55_17:
	s_or_b64 exec, exec, s[18:19]
	s_movk_i32 s0, 0x80
	v_lshlrev_b32_e32 v1, 3, v0
	v_cmp_gt_u32_e32 vcc, s0, v0
	ds_write_b64 v1, v[6:7]
	s_waitcnt lgkmcnt(0)
	s_barrier
	s_and_saveexec_b64 s[0:1], vcc
	s_cbranch_execz .LBB55_19
; %bb.18:
	ds_read2st64_b64 v[2:5], v1 offset1:2
	s_waitcnt lgkmcnt(0)
	v_pk_add_f32 v[2:3], v[4:5], v[2:3]
	ds_write_b64 v1, v[2:3]
.LBB55_19:
	s_or_b64 exec, exec, s[0:1]
	v_cmp_gt_u32_e32 vcc, 64, v0
	s_waitcnt lgkmcnt(0)
	s_barrier
	s_and_saveexec_b64 s[0:1], vcc
	s_cbranch_execz .LBB55_21
; %bb.20:
	ds_read2st64_b64 v[2:5], v1 offset1:1
	s_waitcnt lgkmcnt(0)
	v_pk_add_f32 v[2:3], v[4:5], v[2:3]
	ds_write_b64 v1, v[2:3]
.LBB55_21:
	s_or_b64 exec, exec, s[0:1]
	v_cmp_gt_u32_e32 vcc, 32, v0
	s_waitcnt lgkmcnt(0)
	s_barrier
	s_and_saveexec_b64 s[0:1], vcc
	s_cbranch_execz .LBB55_23
; %bb.22:
	ds_read2_b64 v[2:5], v1 offset1:32
	s_waitcnt lgkmcnt(0)
	v_pk_add_f32 v[2:3], v[4:5], v[2:3]
	ds_write_b64 v1, v[2:3]
.LBB55_23:
	s_or_b64 exec, exec, s[0:1]
	v_cmp_gt_u32_e32 vcc, 16, v0
	s_waitcnt lgkmcnt(0)
	s_barrier
	s_and_saveexec_b64 s[0:1], vcc
	s_cbranch_execz .LBB55_25
; %bb.24:
	ds_read2_b64 v[2:5], v1 offset1:16
	s_waitcnt lgkmcnt(0)
	v_pk_add_f32 v[2:3], v[4:5], v[2:3]
	ds_write_b64 v1, v[2:3]
.LBB55_25:
	;; [unrolled: 12-line block ×5, first 2 shown]
	s_or_b64 exec, exec, s[0:1]
	v_cmp_eq_u32_e32 vcc, 0, v0
	s_waitcnt lgkmcnt(0)
	s_barrier
	s_and_saveexec_b64 s[0:1], vcc
	s_cbranch_execz .LBB55_33
; %bb.32:
	v_mov_b32_e32 v4, 0
	ds_read2_b64 v[0:3], v4 offset1:1
	s_waitcnt lgkmcnt(0)
	v_pk_add_f32 v[0:1], v[2:3], v[0:1]
	ds_write_b64 v4, v[0:1]
.LBB55_33:
	s_or_b64 exec, exec, s[0:1]
	s_waitcnt lgkmcnt(0)
	s_barrier
	s_and_b64 exec, exec, vcc
	s_cbranch_execz .LBB55_48
; %bb.34:
	s_cmp_eq_u32 s28, 0
	s_cbranch_scc1 .LBB55_42
; %bb.35:
	s_ashr_i32 s15, s14, 31
	s_lshl_b64 s[0:1], s[14:15], 2
	s_add_u32 s0, s8, s0
	s_addc_u32 s1, s9, s1
	v_mov_b32_e32 v0, 0
	s_branch .LBB55_37
.LBB55_36:                              ;   in Loop: Header=BB55_37 Depth=1
	s_or_b64 exec, exec, s[2:3]
	s_waitcnt vmcnt(0)
	v_readfirstlane_b32 s2, v1
	s_cmp_eq_u32 s2, s17
	s_cbranch_scc0 .LBB55_41
.LBB55_37:                              ; =>This Inner Loop Header: Depth=1
	v_mbcnt_lo_u32_b32 v1, exec_lo, 0
	v_mbcnt_hi_u32_b32 v1, exec_hi, v1
	v_cmp_eq_u32_e32 vcc, 0, v1
                                        ; implicit-def: $vgpr1
	s_and_saveexec_b64 s[2:3], vcc
	s_cbranch_execz .LBB55_36
; %bb.38:                               ;   in Loop: Header=BB55_37 Depth=1
	global_load_dword v1, v0, s[0:1] glc
	s_branch .LBB55_36
.LBB55_39:
	v_pk_mov_b32 v[4:5], s[8:9], s[8:9] op_sel:[0,1]
	flat_load_dword v3, v[4:5] offset:4
	s_and_b64 vcc, exec, s[0:1]
	v_mov_b32_e32 v1, s2
	s_cbranch_vccnz .LBB55_4
.LBB55_40:
	v_pk_mov_b32 v[4:5], s[2:3], s[2:3] op_sel:[0,1]
	flat_load_dword v1, v[4:5]
	s_and_b64 vcc, exec, s[0:1]
	v_mov_b32_e32 v5, s3
	s_cbranch_vccz .LBB55_5
	s_branch .LBB55_6
.LBB55_41:
	v_mov_b32_e32 v0, 0
	global_load_dword v1, v0, s[6:7]
	s_waitcnt vmcnt(0)
	v_xor_b32_e32 v1, 1, v1
	global_store_dword v0, v1, s[6:7]
.LBB55_42:
	v_mov_b32_e32 v4, 0
	ds_read_b64 v[0:1], v4
	s_mov_b64 s[4:5], exec
	v_mbcnt_lo_u32_b32 v2, s4, 0
	s_add_u32 s0, s10, s12
	v_mbcnt_hi_u32_b32 v2, s5, v2
	s_addc_u32 s1, s11, s13
	v_cmp_eq_u32_e32 vcc, 0, v2
	s_and_saveexec_b64 s[2:3], vcc
	s_cbranch_execz .LBB55_45
; %bb.43:
	global_load_dword v3, v4, s[0:1]
	s_bcnt1_i32_b64 s4, s[4:5]
	v_cvt_f32_ubyte0_e32 v2, s4
	s_waitcnt lgkmcnt(0)
	v_mul_f32_e32 v0, v0, v2
	s_mov_b64 s[4:5], 0
.LBB55_44:                              ; =>This Inner Loop Header: Depth=1
	s_waitcnt vmcnt(0)
	v_add_f32_e32 v2, v3, v0
	global_atomic_cmpswap v2, v4, v[2:3], s[0:1] glc
	s_waitcnt vmcnt(0)
	v_cmp_eq_u32_e32 vcc, v2, v3
	s_or_b64 s[4:5], vcc, s[4:5]
	v_mov_b32_e32 v3, v2
	s_andn2_b64 exec, exec, s[4:5]
	s_cbranch_execnz .LBB55_44
.LBB55_45:
	s_or_b64 exec, exec, s[2:3]
	s_mov_b64 s[2:3], exec
	s_waitcnt lgkmcnt(0)
	v_mbcnt_lo_u32_b32 v0, s2, 0
	v_mbcnt_hi_u32_b32 v0, s3, v0
	v_cmp_eq_u32_e32 vcc, 0, v0
	s_and_b64 s[4:5], exec, vcc
	s_mov_b64 exec, s[4:5]
	s_cbranch_execz .LBB55_48
; %bb.46:
	v_mov_b32_e32 v0, 0
	global_load_dword v3, v0, s[0:1] offset:4
	s_bcnt1_i32_b64 s2, s[2:3]
	v_cvt_f32_ubyte0_e32 v2, s2
	v_mul_f32_e32 v1, v1, v2
	s_mov_b64 s[2:3], 0
.LBB55_47:                              ; =>This Inner Loop Header: Depth=1
	s_waitcnt vmcnt(0)
	v_add_f32_e32 v2, v3, v1
	global_atomic_cmpswap v2, v0, v[2:3], s[0:1] offset:4 glc
	s_waitcnt vmcnt(0)
	v_cmp_eq_u32_e32 vcc, v2, v3
	s_or_b64 s[2:3], vcc, s[2:3]
	v_mov_b32_e32 v3, v2
	s_andn2_b64 exec, exec, s[2:3]
	s_cbranch_execnz .LBB55_47
.LBB55_48:
	s_endpgm
	.section	.rodata,"a",@progbits
	.p2align	6, 0x0
	.amdhsa_kernel _ZN9rocsparseL27csrmvn_lrb_long_rows_kernelIli21rocsparse_complex_numIfES2_S2_S2_EEvbT_PjPT0_S6_jNS_24const_host_device_scalarIT4_EEPKS3_PKS5_PKT1_PKT2_S9_PT3_21rocsparse_index_base_b
		.amdhsa_group_segment_fixed_size 2048
		.amdhsa_private_segment_fixed_size 0
		.amdhsa_kernarg_size 112
		.amdhsa_user_sgpr_count 6
		.amdhsa_user_sgpr_private_segment_buffer 1
		.amdhsa_user_sgpr_dispatch_ptr 0
		.amdhsa_user_sgpr_queue_ptr 0
		.amdhsa_user_sgpr_kernarg_segment_ptr 1
		.amdhsa_user_sgpr_dispatch_id 0
		.amdhsa_user_sgpr_flat_scratch_init 0
		.amdhsa_user_sgpr_kernarg_preload_length 0
		.amdhsa_user_sgpr_kernarg_preload_offset 0
		.amdhsa_user_sgpr_private_segment_size 0
		.amdhsa_uses_dynamic_stack 0
		.amdhsa_system_sgpr_private_segment_wavefront_offset 0
		.amdhsa_system_sgpr_workgroup_id_x 1
		.amdhsa_system_sgpr_workgroup_id_y 0
		.amdhsa_system_sgpr_workgroup_id_z 0
		.amdhsa_system_sgpr_workgroup_info 0
		.amdhsa_system_vgpr_workitem_id 0
		.amdhsa_next_free_vgpr 20
		.amdhsa_next_free_sgpr 32
		.amdhsa_accum_offset 20
		.amdhsa_reserve_vcc 1
		.amdhsa_reserve_flat_scratch 0
		.amdhsa_float_round_mode_32 0
		.amdhsa_float_round_mode_16_64 0
		.amdhsa_float_denorm_mode_32 3
		.amdhsa_float_denorm_mode_16_64 3
		.amdhsa_dx10_clamp 1
		.amdhsa_ieee_mode 1
		.amdhsa_fp16_overflow 0
		.amdhsa_tg_split 0
		.amdhsa_exception_fp_ieee_invalid_op 0
		.amdhsa_exception_fp_denorm_src 0
		.amdhsa_exception_fp_ieee_div_zero 0
		.amdhsa_exception_fp_ieee_overflow 0
		.amdhsa_exception_fp_ieee_underflow 0
		.amdhsa_exception_fp_ieee_inexact 0
		.amdhsa_exception_int_div_zero 0
	.end_amdhsa_kernel
	.section	.text._ZN9rocsparseL27csrmvn_lrb_long_rows_kernelIli21rocsparse_complex_numIfES2_S2_S2_EEvbT_PjPT0_S6_jNS_24const_host_device_scalarIT4_EEPKS3_PKS5_PKT1_PKT2_S9_PT3_21rocsparse_index_base_b,"axG",@progbits,_ZN9rocsparseL27csrmvn_lrb_long_rows_kernelIli21rocsparse_complex_numIfES2_S2_S2_EEvbT_PjPT0_S6_jNS_24const_host_device_scalarIT4_EEPKS3_PKS5_PKT1_PKT2_S9_PT3_21rocsparse_index_base_b,comdat
.Lfunc_end55:
	.size	_ZN9rocsparseL27csrmvn_lrb_long_rows_kernelIli21rocsparse_complex_numIfES2_S2_S2_EEvbT_PjPT0_S6_jNS_24const_host_device_scalarIT4_EEPKS3_PKS5_PKT1_PKT2_S9_PT3_21rocsparse_index_base_b, .Lfunc_end55-_ZN9rocsparseL27csrmvn_lrb_long_rows_kernelIli21rocsparse_complex_numIfES2_S2_S2_EEvbT_PjPT0_S6_jNS_24const_host_device_scalarIT4_EEPKS3_PKS5_PKT1_PKT2_S9_PT3_21rocsparse_index_base_b
                                        ; -- End function
	.section	.AMDGPU.csdata,"",@progbits
; Kernel info:
; codeLenInByte = 1872
; NumSgprs: 36
; NumVgprs: 20
; NumAgprs: 0
; TotalNumVgprs: 20
; ScratchSize: 0
; MemoryBound: 0
; FloatMode: 240
; IeeeMode: 1
; LDSByteSize: 2048 bytes/workgroup (compile time only)
; SGPRBlocks: 4
; VGPRBlocks: 2
; NumSGPRsForWavesPerEU: 36
; NumVGPRsForWavesPerEU: 20
; AccumOffset: 20
; Occupancy: 8
; WaveLimiterHint : 1
; COMPUTE_PGM_RSRC2:SCRATCH_EN: 0
; COMPUTE_PGM_RSRC2:USER_SGPR: 6
; COMPUTE_PGM_RSRC2:TRAP_HANDLER: 0
; COMPUTE_PGM_RSRC2:TGID_X_EN: 1
; COMPUTE_PGM_RSRC2:TGID_Y_EN: 0
; COMPUTE_PGM_RSRC2:TGID_Z_EN: 0
; COMPUTE_PGM_RSRC2:TIDIG_COMP_CNT: 0
; COMPUTE_PGM_RSRC3_GFX90A:ACCUM_OFFSET: 4
; COMPUTE_PGM_RSRC3_GFX90A:TG_SPLIT: 0
	.section	.text._ZN9rocsparseL28csrmvn_lrb_short_rows_kernelIll21rocsparse_complex_numIfES2_S2_S2_EEvbT_PT0_S5_jNS_24const_host_device_scalarIT4_EEPKS3_PKS4_PKT1_PKT2_S8_PT3_21rocsparse_index_base_b,"axG",@progbits,_ZN9rocsparseL28csrmvn_lrb_short_rows_kernelIll21rocsparse_complex_numIfES2_S2_S2_EEvbT_PT0_S5_jNS_24const_host_device_scalarIT4_EEPKS3_PKS4_PKT1_PKT2_S8_PT3_21rocsparse_index_base_b,comdat
	.globl	_ZN9rocsparseL28csrmvn_lrb_short_rows_kernelIll21rocsparse_complex_numIfES2_S2_S2_EEvbT_PT0_S5_jNS_24const_host_device_scalarIT4_EEPKS3_PKS4_PKT1_PKT2_S8_PT3_21rocsparse_index_base_b ; -- Begin function _ZN9rocsparseL28csrmvn_lrb_short_rows_kernelIll21rocsparse_complex_numIfES2_S2_S2_EEvbT_PT0_S5_jNS_24const_host_device_scalarIT4_EEPKS3_PKS4_PKT1_PKT2_S8_PT3_21rocsparse_index_base_b
	.p2align	8
	.type	_ZN9rocsparseL28csrmvn_lrb_short_rows_kernelIll21rocsparse_complex_numIfES2_S2_S2_EEvbT_PT0_S5_jNS_24const_host_device_scalarIT4_EEPKS3_PKS4_PKT1_PKT2_S8_PT3_21rocsparse_index_base_b,@function
_ZN9rocsparseL28csrmvn_lrb_short_rows_kernelIll21rocsparse_complex_numIfES2_S2_S2_EEvbT_PT0_S5_jNS_24const_host_device_scalarIT4_EEPKS3_PKS4_PKT1_PKT2_S8_PT3_21rocsparse_index_base_b: ; @_ZN9rocsparseL28csrmvn_lrb_short_rows_kernelIll21rocsparse_complex_numIfES2_S2_S2_EEvbT_PT0_S5_jNS_24const_host_device_scalarIT4_EEPKS3_PKS4_PKT1_PKT2_S8_PT3_21rocsparse_index_base_b
; %bb.0:
	s_load_dwordx2 s[16:17], s[4:5], 0x60
	s_load_dwordx2 s[8:9], s[4:5], 0x28
	;; [unrolled: 1-line block ×3, first 2 shown]
	s_waitcnt lgkmcnt(0)
	s_bitcmp1_b32 s17, 0
	s_cselect_b64 s[0:1], -1, 0
	s_xor_b64 s[10:11], s[0:1], -1
	s_and_b64 vcc, exec, s[0:1]
	v_mov_b32_e32 v8, s8
	s_cbranch_vccnz .LBB56_2
; %bb.1:
	v_pk_mov_b32 v[2:3], s[8:9], s[8:9] op_sel:[0,1]
	flat_load_dword v8, v[2:3]
.LBB56_2:
	v_cndmask_b32_e64 v1, 0, 1, s[10:11]
	v_cmp_ne_u32_e64 s[0:1], 1, v1
	s_andn2_b64 vcc, exec, s[10:11]
	v_mov_b32_e32 v9, s9
	s_cbranch_vccz .LBB56_17
; %bb.3:
	s_and_b64 vcc, exec, s[0:1]
	v_mov_b32_e32 v6, s2
	s_cbranch_vccz .LBB56_18
.LBB56_4:
	s_and_b64 vcc, exec, s[0:1]
	v_mov_b32_e32 v7, s3
	s_cbranch_vccnz .LBB56_6
.LBB56_5:
	v_pk_mov_b32 v[2:3], s[2:3], s[2:3] op_sel:[0,1]
	flat_load_dword v7, v[2:3] offset:4
.LBB56_6:
	s_waitcnt vmcnt(0) lgkmcnt(0)
	v_and_b32_e32 v1, 0x7fffffff, v8
	v_cmp_eq_u32_e32 vcc, 0, v1
	v_cmp_eq_f32_e64 s[0:1], 0, v9
	s_and_b64 s[8:9], vcc, s[0:1]
	s_mov_b64 s[0:1], -1
	s_and_saveexec_b64 s[2:3], s[8:9]
; %bb.7:
	v_and_b32_e32 v1, 0x7fffffff, v7
	v_cmp_neq_f32_e32 vcc, 1.0, v6
	v_cmp_ne_u32_e64 s[0:1], 0, v1
	s_or_b64 s[0:1], vcc, s[0:1]
	s_orn2_b64 s[0:1], s[0:1], exec
; %bb.8:
	s_or_b64 exec, exec, s[2:3]
	s_and_saveexec_b64 s[2:3], s[0:1]
	s_cbranch_execz .LBB56_25
; %bb.9:
	s_load_dword s18, s[4:5], 0x20
	s_load_dwordx4 s[0:3], s[4:5], 0x10
	s_mov_b32 s7, 0
	s_mov_b32 s19, s7
	;; [unrolled: 1-line block ×3, first 2 shown]
	s_waitcnt lgkmcnt(0)
	s_lshl_b64 s[8:9], s[18:19], 3
	s_add_u32 s8, s2, s8
	s_addc_u32 s9, s3, s9
	s_add_i32 s10, s18, 1
	s_lshl_b64 s[10:11], s[10:11], 3
	s_add_u32 s10, s2, s10
	s_addc_u32 s11, s3, s11
	s_load_dwordx2 s[2:3], s[8:9], 0x0
	s_load_dword s12, s[10:11], 0x0
	s_lshl_b32 s6, s6, 8
	s_add_i32 s9, s6, 0x100
	s_waitcnt lgkmcnt(0)
	s_sub_i32 s8, s12, s2
	s_min_u32 s17, s8, s9
	s_cmp_gt_u32 s18, 23
	s_cbranch_scc1 .LBB56_19
; %bb.10:
	s_load_dword s20, s[4:5], 0x0
	s_load_dwordx8 s[8:15], s[4:5], 0x30
	s_lshl_b32 s19, 0x100, s18
	v_mov_b32_e32 v13, 0
	v_bfe_u32 v10, v0, 0, s18
	s_waitcnt lgkmcnt(0)
	s_bitcmp1_b32 s20, 0
	s_cselect_b64 s[20:21], -1, 0
	s_lshl_b64 s[22:23], s[2:3], 3
	s_add_u32 s26, s0, s22
	s_addc_u32 s27, s1, s23
	v_mov_b32_e32 v11, v13
	v_xor_b32_e32 v14, 0x80000000, v9
	v_mov_b32_e32 v15, v8
	v_lshl_add_u32 v1, v0, 3, 0
	s_mov_b32 s28, s7
	s_branch .LBB56_12
.LBB56_11:                              ;   in Loop: Header=BB56_12 Depth=1
	s_or_b64 exec, exec, s[22:23]
	s_addk_i32 s28, 0x100
	s_cmp_ge_u32 s28, s19
	v_add_u32_e32 v1, 0x800, v1
	s_cbranch_scc1 .LBB56_19
.LBB56_12:                              ; =>This Inner Loop Header: Depth=1
	v_add_u32_e32 v2, s28, v0
	v_lshrrev_b32_e32 v2, s18, v2
	v_add_u32_e32 v12, s6, v2
	v_cmp_gt_u32_e32 vcc, s17, v12
	s_and_saveexec_b64 s[22:23], vcc
	s_cbranch_execz .LBB56_11
; %bb.13:                               ;   in Loop: Header=BB56_12 Depth=1
	v_lshlrev_b64 v[2:3], 3, v[12:13]
	v_mov_b32_e32 v4, s27
	v_add_co_u32_e32 v2, vcc, s26, v2
	v_addc_co_u32_e32 v3, vcc, v4, v3, vcc
	global_load_dwordx2 v[2:3], v[2:3], off
	v_mov_b32_e32 v4, s9
	s_waitcnt vmcnt(0)
	v_lshlrev_b64 v[2:3], 3, v[2:3]
	v_add_co_u32_e32 v2, vcc, s8, v2
	v_addc_co_u32_e32 v3, vcc, v4, v3, vcc
	global_load_dwordx4 v[2:5], v[2:3], off
	s_waitcnt vmcnt(0)
	v_sub_co_u32_e32 v4, vcc, v4, v2
	v_subb_co_u32_e32 v5, vcc, v5, v3, vcc
	v_cmp_le_i64_e32 vcc, v[4:5], v[10:11]
	s_and_saveexec_b64 s[24:25], vcc
	s_xor_b64 s[24:25], exec, s[24:25]
	s_cbranch_execz .LBB56_15
; %bb.14:                               ;   in Loop: Header=BB56_12 Depth=1
	ds_write2_b32 v1, v13, v13 offset1:1
                                        ; implicit-def: $vgpr2_vgpr3
.LBB56_15:                              ;   in Loop: Header=BB56_12 Depth=1
	s_andn2_saveexec_b64 s[24:25], s[24:25]
	s_cbranch_execz .LBB56_11
; %bb.16:                               ;   in Loop: Header=BB56_12 Depth=1
	v_mov_b32_e32 v12, s7
	v_subrev_co_u32_e32 v2, vcc, s16, v2
	v_subb_co_u32_e32 v3, vcc, v3, v12, vcc
	v_add_co_u32_e32 v2, vcc, v2, v10
	v_addc_co_u32_e32 v3, vcc, 0, v3, vcc
	v_lshlrev_b64 v[2:3], 3, v[2:3]
	v_mov_b32_e32 v5, s11
	v_add_co_u32_e32 v4, vcc, s10, v2
	v_addc_co_u32_e32 v5, vcc, v5, v3, vcc
	global_load_dwordx2 v[4:5], v[4:5], off
	v_mov_b32_e32 v16, s13
	v_add_co_u32_e32 v2, vcc, s12, v2
	v_addc_co_u32_e32 v3, vcc, v16, v3, vcc
	global_load_dwordx2 v[2:3], v[2:3], off
	v_mov_b32_e32 v17, s15
	s_waitcnt vmcnt(1)
	v_subrev_co_u32_e32 v4, vcc, s16, v4
	v_subb_co_u32_e32 v5, vcc, v5, v12, vcc
	v_lshlrev_b64 v[4:5], 3, v[4:5]
	v_add_co_u32_e32 v4, vcc, s14, v4
	v_addc_co_u32_e32 v5, vcc, v17, v5, vcc
	global_load_dwordx2 v[4:5], v[4:5], off
	s_waitcnt vmcnt(1)
	v_cndmask_b32_e64 v12, v3, -v3, s[20:21]
	v_pk_mul_f32 v[16:17], v[12:13], v[14:15] op_sel_hi:[0,1]
	v_pk_fma_f32 v[2:3], v[8:9], v[2:3], v[16:17] op_sel_hi:[1,0,1]
	s_waitcnt vmcnt(0)
	v_pk_mul_f32 v[16:17], v[4:5], v[2:3] op_sel:[1,1] op_sel_hi:[1,0] neg_lo:[0,1]
	v_pk_fma_f32 v[2:3], v[2:3], v[4:5], v[16:17] op_sel_hi:[1,0,1]
	ds_write2_b32 v1, v2, v3 offset1:1
	s_branch .LBB56_11
.LBB56_17:
	v_pk_mov_b32 v[2:3], s[8:9], s[8:9] op_sel:[0,1]
	flat_load_dword v9, v[2:3] offset:4
	s_and_b64 vcc, exec, s[0:1]
	v_mov_b32_e32 v6, s2
	s_cbranch_vccnz .LBB56_4
.LBB56_18:
	v_pk_mov_b32 v[2:3], s[2:3], s[2:3] op_sel:[0,1]
	flat_load_dword v6, v[2:3]
	s_and_b64 vcc, exec, s[0:1]
	v_mov_b32_e32 v7, s3
	s_cbranch_vccz .LBB56_5
	s_branch .LBB56_6
.LBB56_19:
	s_sub_i32 s7, s17, s6
	v_cmp_gt_u32_e32 vcc, s7, v0
	s_waitcnt lgkmcnt(0)
	s_barrier
	s_and_b64 exec, exec, vcc
	s_cbranch_execz .LBB56_25
; %bb.20:
	s_lshl_b64 s[2:3], s[2:3], 3
	s_mov_b32 s7, 0
	s_add_u32 s2, s0, s2
	s_addc_u32 s3, s1, s3
	s_lshl_b64 s[0:1], s[6:7], 3
	s_add_u32 s0, s2, s0
	s_addc_u32 s1, s3, s1
	v_lshlrev_b32_e32 v1, 3, v0
	global_load_dwordx2 v[2:3], v1, s[0:1]
	s_load_dwordx2 s[2:3], s[4:5], 0x58
	v_lshlrev_b32_e32 v0, s18, v0
	v_lshl_add_u32 v4, v0, 3, 0
	v_mov_b32_e32 v0, 0
	s_mov_b32 s0, 1
	v_mov_b32_e32 v1, v0
.LBB56_21:                              ; =>This Inner Loop Header: Depth=1
	ds_read2_b32 v[8:9], v4 offset1:1
	s_lshr_b32 s1, s0, s18
	s_add_i32 s0, s0, 1
	v_add_u32_e32 v4, 8, v4
	s_cmp_lg_u32 s1, 0
	s_waitcnt lgkmcnt(0)
	v_pk_add_f32 v[0:1], v[0:1], v[8:9]
	s_cbranch_scc0 .LBB56_21
; %bb.22:
	v_and_b32_e32 v4, 0x7fffffff, v6
	v_cmp_ne_u32_e32 vcc, 0, v4
	v_cmp_neq_f32_e64 s[0:1], 0, v7
	s_or_b64 s[4:5], vcc, s[0:1]
	s_waitcnt vmcnt(0)
	v_lshlrev_b64 v[2:3], 3, v[2:3]
	s_and_saveexec_b64 s[0:1], s[4:5]
	s_cbranch_execz .LBB56_24
; %bb.23:
	v_mov_b32_e32 v5, s3
	v_add_co_u32_e32 v4, vcc, s2, v2
	v_addc_co_u32_e32 v5, vcc, v5, v3, vcc
	global_load_dwordx2 v[4:5], v[4:5], off
	v_xor_b32_e32 v8, 0x80000000, v7
	v_mov_b32_e32 v9, v6
	s_waitcnt vmcnt(0)
	v_pk_fma_f32 v[0:1], v[6:7], v[4:5], v[0:1] op_sel_hi:[1,0,1]
	v_pk_fma_f32 v[0:1], v[8:9], v[4:5], v[0:1] op_sel:[0,1,0]
.LBB56_24:
	s_or_b64 exec, exec, s[0:1]
	v_mov_b32_e32 v4, s3
	v_add_co_u32_e32 v2, vcc, s2, v2
	v_addc_co_u32_e32 v3, vcc, v4, v3, vcc
	global_store_dwordx2 v[2:3], v[0:1], off
.LBB56_25:
	s_endpgm
	.section	.rodata,"a",@progbits
	.p2align	6, 0x0
	.amdhsa_kernel _ZN9rocsparseL28csrmvn_lrb_short_rows_kernelIll21rocsparse_complex_numIfES2_S2_S2_EEvbT_PT0_S5_jNS_24const_host_device_scalarIT4_EEPKS3_PKS4_PKT1_PKT2_S8_PT3_21rocsparse_index_base_b
		.amdhsa_group_segment_fixed_size 0
		.amdhsa_private_segment_fixed_size 0
		.amdhsa_kernarg_size 104
		.amdhsa_user_sgpr_count 6
		.amdhsa_user_sgpr_private_segment_buffer 1
		.amdhsa_user_sgpr_dispatch_ptr 0
		.amdhsa_user_sgpr_queue_ptr 0
		.amdhsa_user_sgpr_kernarg_segment_ptr 1
		.amdhsa_user_sgpr_dispatch_id 0
		.amdhsa_user_sgpr_flat_scratch_init 0
		.amdhsa_user_sgpr_kernarg_preload_length 0
		.amdhsa_user_sgpr_kernarg_preload_offset 0
		.amdhsa_user_sgpr_private_segment_size 0
		.amdhsa_uses_dynamic_stack 0
		.amdhsa_system_sgpr_private_segment_wavefront_offset 0
		.amdhsa_system_sgpr_workgroup_id_x 1
		.amdhsa_system_sgpr_workgroup_id_y 0
		.amdhsa_system_sgpr_workgroup_id_z 0
		.amdhsa_system_sgpr_workgroup_info 0
		.amdhsa_system_vgpr_workitem_id 0
		.amdhsa_next_free_vgpr 18
		.amdhsa_next_free_sgpr 29
		.amdhsa_accum_offset 20
		.amdhsa_reserve_vcc 1
		.amdhsa_reserve_flat_scratch 0
		.amdhsa_float_round_mode_32 0
		.amdhsa_float_round_mode_16_64 0
		.amdhsa_float_denorm_mode_32 3
		.amdhsa_float_denorm_mode_16_64 3
		.amdhsa_dx10_clamp 1
		.amdhsa_ieee_mode 1
		.amdhsa_fp16_overflow 0
		.amdhsa_tg_split 0
		.amdhsa_exception_fp_ieee_invalid_op 0
		.amdhsa_exception_fp_denorm_src 0
		.amdhsa_exception_fp_ieee_div_zero 0
		.amdhsa_exception_fp_ieee_overflow 0
		.amdhsa_exception_fp_ieee_underflow 0
		.amdhsa_exception_fp_ieee_inexact 0
		.amdhsa_exception_int_div_zero 0
	.end_amdhsa_kernel
	.section	.text._ZN9rocsparseL28csrmvn_lrb_short_rows_kernelIll21rocsparse_complex_numIfES2_S2_S2_EEvbT_PT0_S5_jNS_24const_host_device_scalarIT4_EEPKS3_PKS4_PKT1_PKT2_S8_PT3_21rocsparse_index_base_b,"axG",@progbits,_ZN9rocsparseL28csrmvn_lrb_short_rows_kernelIll21rocsparse_complex_numIfES2_S2_S2_EEvbT_PT0_S5_jNS_24const_host_device_scalarIT4_EEPKS3_PKS4_PKT1_PKT2_S8_PT3_21rocsparse_index_base_b,comdat
.Lfunc_end56:
	.size	_ZN9rocsparseL28csrmvn_lrb_short_rows_kernelIll21rocsparse_complex_numIfES2_S2_S2_EEvbT_PT0_S5_jNS_24const_host_device_scalarIT4_EEPKS3_PKS4_PKT1_PKT2_S8_PT3_21rocsparse_index_base_b, .Lfunc_end56-_ZN9rocsparseL28csrmvn_lrb_short_rows_kernelIll21rocsparse_complex_numIfES2_S2_S2_EEvbT_PT0_S5_jNS_24const_host_device_scalarIT4_EEPKS3_PKS4_PKT1_PKT2_S8_PT3_21rocsparse_index_base_b
                                        ; -- End function
	.section	.AMDGPU.csdata,"",@progbits
; Kernel info:
; codeLenInByte = 1052
; NumSgprs: 33
; NumVgprs: 18
; NumAgprs: 0
; TotalNumVgprs: 18
; ScratchSize: 0
; MemoryBound: 0
; FloatMode: 240
; IeeeMode: 1
; LDSByteSize: 0 bytes/workgroup (compile time only)
; SGPRBlocks: 4
; VGPRBlocks: 2
; NumSGPRsForWavesPerEU: 33
; NumVGPRsForWavesPerEU: 18
; AccumOffset: 20
; Occupancy: 8
; WaveLimiterHint : 1
; COMPUTE_PGM_RSRC2:SCRATCH_EN: 0
; COMPUTE_PGM_RSRC2:USER_SGPR: 6
; COMPUTE_PGM_RSRC2:TRAP_HANDLER: 0
; COMPUTE_PGM_RSRC2:TGID_X_EN: 1
; COMPUTE_PGM_RSRC2:TGID_Y_EN: 0
; COMPUTE_PGM_RSRC2:TGID_Z_EN: 0
; COMPUTE_PGM_RSRC2:TIDIG_COMP_CNT: 0
; COMPUTE_PGM_RSRC3_GFX90A:ACCUM_OFFSET: 4
; COMPUTE_PGM_RSRC3_GFX90A:TG_SPLIT: 0
	.section	.text._ZN9rocsparseL30csrmvn_lrb_short_rows_2_kernelIll21rocsparse_complex_numIfES2_S2_S2_EEvbT_PT0_S5_jNS_24const_host_device_scalarIT4_EEPKS3_PKS4_PKT1_PKT2_S8_PT3_21rocsparse_index_base_b,"axG",@progbits,_ZN9rocsparseL30csrmvn_lrb_short_rows_2_kernelIll21rocsparse_complex_numIfES2_S2_S2_EEvbT_PT0_S5_jNS_24const_host_device_scalarIT4_EEPKS3_PKS4_PKT1_PKT2_S8_PT3_21rocsparse_index_base_b,comdat
	.globl	_ZN9rocsparseL30csrmvn_lrb_short_rows_2_kernelIll21rocsparse_complex_numIfES2_S2_S2_EEvbT_PT0_S5_jNS_24const_host_device_scalarIT4_EEPKS3_PKS4_PKT1_PKT2_S8_PT3_21rocsparse_index_base_b ; -- Begin function _ZN9rocsparseL30csrmvn_lrb_short_rows_2_kernelIll21rocsparse_complex_numIfES2_S2_S2_EEvbT_PT0_S5_jNS_24const_host_device_scalarIT4_EEPKS3_PKS4_PKT1_PKT2_S8_PT3_21rocsparse_index_base_b
	.p2align	8
	.type	_ZN9rocsparseL30csrmvn_lrb_short_rows_2_kernelIll21rocsparse_complex_numIfES2_S2_S2_EEvbT_PT0_S5_jNS_24const_host_device_scalarIT4_EEPKS3_PKS4_PKT1_PKT2_S8_PT3_21rocsparse_index_base_b,@function
_ZN9rocsparseL30csrmvn_lrb_short_rows_2_kernelIll21rocsparse_complex_numIfES2_S2_S2_EEvbT_PT0_S5_jNS_24const_host_device_scalarIT4_EEPKS3_PKS4_PKT1_PKT2_S8_PT3_21rocsparse_index_base_b: ; @_ZN9rocsparseL30csrmvn_lrb_short_rows_2_kernelIll21rocsparse_complex_numIfES2_S2_S2_EEvbT_PT0_S5_jNS_24const_host_device_scalarIT4_EEPKS3_PKS4_PKT1_PKT2_S8_PT3_21rocsparse_index_base_b
; %bb.0:
	s_load_dwordx2 s[16:17], s[4:5], 0x60
	s_load_dwordx2 s[8:9], s[4:5], 0x28
	;; [unrolled: 1-line block ×3, first 2 shown]
	s_waitcnt lgkmcnt(0)
	s_bitcmp1_b32 s17, 0
	s_cselect_b64 s[0:1], -1, 0
	s_xor_b64 s[10:11], s[0:1], -1
	s_and_b64 vcc, exec, s[0:1]
	v_mov_b32_e32 v8, s8
	s_cbranch_vccnz .LBB57_2
; %bb.1:
	v_pk_mov_b32 v[2:3], s[8:9], s[8:9] op_sel:[0,1]
	flat_load_dword v8, v[2:3]
.LBB57_2:
	v_cndmask_b32_e64 v1, 0, 1, s[10:11]
	v_cmp_ne_u32_e64 s[0:1], 1, v1
	s_andn2_b64 vcc, exec, s[10:11]
	v_mov_b32_e32 v9, s9
	s_cbranch_vccz .LBB57_39
; %bb.3:
	s_and_b64 vcc, exec, s[0:1]
	v_mov_b32_e32 v6, s2
	s_cbranch_vccz .LBB57_40
.LBB57_4:
	s_and_b64 vcc, exec, s[0:1]
	v_mov_b32_e32 v7, s3
	s_cbranch_vccnz .LBB57_6
.LBB57_5:
	v_pk_mov_b32 v[2:3], s[2:3], s[2:3] op_sel:[0,1]
	flat_load_dword v7, v[2:3] offset:4
.LBB57_6:
	s_waitcnt vmcnt(0) lgkmcnt(0)
	v_and_b32_e32 v1, 0x7fffffff, v8
	v_cmp_eq_u32_e32 vcc, 0, v1
	v_cmp_eq_f32_e64 s[0:1], 0, v9
	s_and_b64 s[8:9], vcc, s[0:1]
	s_mov_b64 s[0:1], -1
	s_and_saveexec_b64 s[2:3], s[8:9]
; %bb.7:
	v_and_b32_e32 v1, 0x7fffffff, v7
	v_cmp_neq_f32_e32 vcc, 1.0, v6
	v_cmp_ne_u32_e64 s[0:1], 0, v1
	s_or_b64 s[0:1], vcc, s[0:1]
	s_orn2_b64 s[0:1], s[0:1], exec
; %bb.8:
	s_or_b64 exec, exec, s[2:3]
	s_and_saveexec_b64 s[2:3], s[0:1]
	s_cbranch_execz .LBB57_38
; %bb.9:
	s_load_dword s2, s[4:5], 0x20
	s_load_dword s0, s[4:5], 0x0
	s_load_dwordx4 s[20:23], s[4:5], 0x10
	s_mov_b32 s3, 0
	v_mov_b32_e32 v11, 0
	s_waitcnt lgkmcnt(0)
	v_lshrrev_b32_e32 v1, s2, v0
	s_bitcmp1_b32 s0, 0
	s_cselect_b64 s[0:1], -1, 0
	s_lshl_b64 s[8:9], s[2:3], 3
	s_add_u32 s18, s22, s8
	s_addc_u32 s19, s23, s9
	s_add_i32 s8, s2, 1
	s_mov_b32 s9, s3
	s_lshl_b64 s[8:9], s[8:9], 3
	s_add_u32 s22, s22, s8
	s_addc_u32 s23, s23, s9
	s_load_dwordx2 s[24:25], s[18:19], 0x0
	s_load_dword s3, s[22:23], 0x0
	s_load_dwordx8 s[8:15], s[4:5], 0x30
	v_bfe_u32 v10, v0, 0, s2
	s_waitcnt lgkmcnt(0)
	s_lshl_b64 s[18:19], s[24:25], 3
	s_sub_i32 s7, s3, s24
	s_lshr_b32 s3, 0x400, s2
	s_mul_i32 s6, s3, s6
	s_add_i32 s17, s6, s3
	s_min_u32 s7, s7, s17
	s_add_u32 s17, s20, s18
	v_add_u32_e32 v2, s6, v1
	s_addc_u32 s22, s21, s19
	v_cmp_gt_u32_e32 vcc, s7, v2
	s_and_saveexec_b64 s[18:19], vcc
	s_cbranch_execz .LBB57_14
; %bb.10:
	v_mov_b32_e32 v3, v11
	v_lshlrev_b64 v[2:3], 3, v[2:3]
	v_mov_b32_e32 v1, s22
	v_add_co_u32_e32 v2, vcc, s17, v2
	v_addc_co_u32_e32 v3, vcc, v1, v3, vcc
	global_load_dwordx2 v[2:3], v[2:3], off
	v_mov_b32_e32 v1, s9
	s_waitcnt vmcnt(0)
	v_lshlrev_b64 v[2:3], 3, v[2:3]
	v_add_co_u32_e32 v2, vcc, s8, v2
	v_addc_co_u32_e32 v3, vcc, v1, v3, vcc
	global_load_dwordx4 v[2:5], v[2:3], off
	s_waitcnt vmcnt(0)
	v_sub_co_u32_e32 v4, vcc, v4, v2
	v_subb_co_u32_e32 v5, vcc, v5, v3, vcc
	v_cmp_le_i64_e32 vcc, v[4:5], v[10:11]
	s_and_saveexec_b64 s[20:21], vcc
	s_xor_b64 s[20:21], exec, s[20:21]
	s_cbranch_execz .LBB57_12
; %bb.11:
	v_mov_b32_e32 v2, 0
	v_lshlrev_b32_e32 v1, 3, v0
	v_mov_b32_e32 v3, v2
	ds_write_b64 v1, v[2:3]
                                        ; implicit-def: $vgpr2_vgpr3
.LBB57_12:
	s_andn2_saveexec_b64 s[20:21], s[20:21]
	s_cbranch_execz .LBB57_14
; %bb.13:
	v_subrev_co_u32_e32 v1, vcc, s16, v2
	v_subbrev_co_u32_e32 v3, vcc, 0, v3, vcc
	v_add_co_u32_e32 v2, vcc, v1, v10
	v_addc_co_u32_e32 v3, vcc, 0, v3, vcc
	v_lshlrev_b64 v[2:3], 3, v[2:3]
	v_mov_b32_e32 v1, s11
	v_add_co_u32_e32 v4, vcc, s10, v2
	v_addc_co_u32_e32 v5, vcc, v1, v3, vcc
	global_load_dwordx2 v[4:5], v[4:5], off
	v_mov_b32_e32 v1, s13
	v_add_co_u32_e32 v2, vcc, s12, v2
	v_addc_co_u32_e32 v3, vcc, v1, v3, vcc
	global_load_dwordx2 v[2:3], v[2:3], off
	v_mov_b32_e32 v12, s15
	v_xor_b32_e32 v14, 0x80000000, v9
	v_mov_b32_e32 v15, v8
	v_lshlrev_b32_e32 v1, 3, v0
	s_waitcnt vmcnt(1)
	v_subrev_co_u32_e32 v4, vcc, s16, v4
	v_subbrev_co_u32_e32 v5, vcc, 0, v5, vcc
	v_lshlrev_b64 v[4:5], 3, v[4:5]
	v_add_co_u32_e32 v4, vcc, s14, v4
	v_addc_co_u32_e32 v5, vcc, v12, v5, vcc
	global_load_dwordx2 v[4:5], v[4:5], off
	s_waitcnt vmcnt(1)
	v_cndmask_b32_e64 v12, v3, -v3, s[0:1]
	v_pk_mul_f32 v[12:13], v[12:13], v[14:15] op_sel_hi:[0,1]
	v_pk_fma_f32 v[2:3], v[8:9], v[2:3], v[12:13] op_sel_hi:[1,0,1]
	s_waitcnt vmcnt(0)
	v_pk_mul_f32 v[12:13], v[4:5], v[2:3] op_sel:[1,1] op_sel_hi:[1,0] neg_lo:[0,1]
	v_pk_fma_f32 v[2:3], v[2:3], v[4:5], v[12:13] op_sel_hi:[1,0,1]
	ds_write_b64 v1, v[2:3]
.LBB57_14:
	s_or_b64 exec, exec, s[18:19]
	v_or_b32_e32 v1, 0x100, v0
	v_lshrrev_b32_e32 v1, s2, v1
	v_add_u32_e32 v12, s6, v1
	v_cmp_gt_u32_e32 vcc, s7, v12
	s_and_saveexec_b64 s[18:19], vcc
	s_cbranch_execz .LBB57_19
; %bb.15:
	v_mov_b32_e32 v13, 0
	v_lshlrev_b64 v[2:3], 3, v[12:13]
	v_mov_b32_e32 v1, s22
	v_add_co_u32_e32 v2, vcc, s17, v2
	v_addc_co_u32_e32 v3, vcc, v1, v3, vcc
	global_load_dwordx2 v[2:3], v[2:3], off
	v_mov_b32_e32 v1, s9
	s_waitcnt vmcnt(0)
	v_lshlrev_b64 v[2:3], 3, v[2:3]
	v_add_co_u32_e32 v2, vcc, s8, v2
	v_addc_co_u32_e32 v3, vcc, v1, v3, vcc
	global_load_dwordx4 v[2:5], v[2:3], off
	s_waitcnt vmcnt(0)
	v_sub_co_u32_e32 v4, vcc, v4, v2
	v_subb_co_u32_e32 v5, vcc, v5, v3, vcc
	v_cmp_le_i64_e32 vcc, v[4:5], v[10:11]
	s_and_saveexec_b64 s[20:21], vcc
	s_xor_b64 s[20:21], exec, s[20:21]
	s_cbranch_execz .LBB57_17
; %bb.16:
	v_lshlrev_b32_e32 v1, 3, v0
	v_mov_b32_e32 v12, v13
	ds_write_b64 v1, v[12:13] offset:2048
                                        ; implicit-def: $vgpr2_vgpr3
.LBB57_17:
	s_andn2_saveexec_b64 s[20:21], s[20:21]
	s_cbranch_execz .LBB57_19
; %bb.18:
	v_subrev_co_u32_e32 v1, vcc, s16, v2
	v_subbrev_co_u32_e32 v3, vcc, 0, v3, vcc
	v_add_co_u32_e32 v2, vcc, v1, v10
	v_addc_co_u32_e32 v3, vcc, 0, v3, vcc
	v_lshlrev_b64 v[2:3], 3, v[2:3]
	v_mov_b32_e32 v1, s11
	v_add_co_u32_e32 v4, vcc, s10, v2
	v_addc_co_u32_e32 v5, vcc, v1, v3, vcc
	global_load_dwordx2 v[4:5], v[4:5], off
	v_mov_b32_e32 v1, s13
	v_add_co_u32_e32 v2, vcc, s12, v2
	v_addc_co_u32_e32 v3, vcc, v1, v3, vcc
	global_load_dwordx2 v[2:3], v[2:3], off
	v_mov_b32_e32 v12, s15
	v_xor_b32_e32 v14, 0x80000000, v9
	v_mov_b32_e32 v15, v8
	v_lshlrev_b32_e32 v1, 3, v0
	s_waitcnt vmcnt(1)
	v_subrev_co_u32_e32 v4, vcc, s16, v4
	v_subbrev_co_u32_e32 v5, vcc, 0, v5, vcc
	v_lshlrev_b64 v[4:5], 3, v[4:5]
	v_add_co_u32_e32 v4, vcc, s14, v4
	v_addc_co_u32_e32 v5, vcc, v12, v5, vcc
	global_load_dwordx2 v[4:5], v[4:5], off
	s_waitcnt vmcnt(1)
	v_cndmask_b32_e64 v12, v3, -v3, s[0:1]
	v_pk_mul_f32 v[12:13], v[12:13], v[14:15] op_sel_hi:[0,1]
	v_pk_fma_f32 v[2:3], v[8:9], v[2:3], v[12:13] op_sel_hi:[1,0,1]
	s_waitcnt vmcnt(0)
	v_pk_mul_f32 v[12:13], v[4:5], v[2:3] op_sel:[1,1] op_sel_hi:[1,0] neg_lo:[0,1]
	v_pk_fma_f32 v[2:3], v[2:3], v[4:5], v[12:13] op_sel_hi:[1,0,1]
	ds_write_b64 v1, v[2:3] offset:2048
.LBB57_19:
	s_or_b64 exec, exec, s[18:19]
	v_or_b32_e32 v1, 0x200, v0
	v_lshrrev_b32_e32 v1, s2, v1
	v_add_u32_e32 v12, s6, v1
	v_cmp_gt_u32_e32 vcc, s7, v12
	s_and_saveexec_b64 s[18:19], vcc
	s_cbranch_execz .LBB57_24
; %bb.20:
	v_mov_b32_e32 v13, 0
	v_lshlrev_b64 v[2:3], 3, v[12:13]
	v_mov_b32_e32 v1, s22
	v_add_co_u32_e32 v2, vcc, s17, v2
	v_addc_co_u32_e32 v3, vcc, v1, v3, vcc
	global_load_dwordx2 v[2:3], v[2:3], off
	v_mov_b32_e32 v1, s9
	s_waitcnt vmcnt(0)
	v_lshlrev_b64 v[2:3], 3, v[2:3]
	v_add_co_u32_e32 v2, vcc, s8, v2
	v_addc_co_u32_e32 v3, vcc, v1, v3, vcc
	global_load_dwordx4 v[2:5], v[2:3], off
	s_waitcnt vmcnt(0)
	v_sub_co_u32_e32 v4, vcc, v4, v2
	v_subb_co_u32_e32 v5, vcc, v5, v3, vcc
	v_cmp_le_i64_e32 vcc, v[4:5], v[10:11]
	s_and_saveexec_b64 s[20:21], vcc
	s_xor_b64 s[20:21], exec, s[20:21]
	s_cbranch_execz .LBB57_22
; %bb.21:
	v_lshlrev_b32_e32 v1, 3, v0
	v_mov_b32_e32 v12, v13
	ds_write_b64 v1, v[12:13] offset:4096
                                        ; implicit-def: $vgpr2_vgpr3
.LBB57_22:
	s_andn2_saveexec_b64 s[20:21], s[20:21]
	s_cbranch_execz .LBB57_24
; %bb.23:
	v_subrev_co_u32_e32 v1, vcc, s16, v2
	v_subbrev_co_u32_e32 v3, vcc, 0, v3, vcc
	v_add_co_u32_e32 v2, vcc, v1, v10
	v_addc_co_u32_e32 v3, vcc, 0, v3, vcc
	v_lshlrev_b64 v[2:3], 3, v[2:3]
	v_mov_b32_e32 v1, s11
	v_add_co_u32_e32 v4, vcc, s10, v2
	v_addc_co_u32_e32 v5, vcc, v1, v3, vcc
	global_load_dwordx2 v[4:5], v[4:5], off
	v_mov_b32_e32 v1, s13
	v_add_co_u32_e32 v2, vcc, s12, v2
	v_addc_co_u32_e32 v3, vcc, v1, v3, vcc
	global_load_dwordx2 v[2:3], v[2:3], off
	v_mov_b32_e32 v12, s15
	v_xor_b32_e32 v14, 0x80000000, v9
	v_mov_b32_e32 v15, v8
	v_lshlrev_b32_e32 v1, 3, v0
	s_waitcnt vmcnt(1)
	v_subrev_co_u32_e32 v4, vcc, s16, v4
	v_subbrev_co_u32_e32 v5, vcc, 0, v5, vcc
	v_lshlrev_b64 v[4:5], 3, v[4:5]
	v_add_co_u32_e32 v4, vcc, s14, v4
	v_addc_co_u32_e32 v5, vcc, v12, v5, vcc
	global_load_dwordx2 v[4:5], v[4:5], off
	s_waitcnt vmcnt(1)
	v_cndmask_b32_e64 v12, v3, -v3, s[0:1]
	v_pk_mul_f32 v[12:13], v[12:13], v[14:15] op_sel_hi:[0,1]
	v_pk_fma_f32 v[2:3], v[8:9], v[2:3], v[12:13] op_sel_hi:[1,0,1]
	s_waitcnt vmcnt(0)
	v_pk_mul_f32 v[12:13], v[4:5], v[2:3] op_sel:[1,1] op_sel_hi:[1,0] neg_lo:[0,1]
	v_pk_fma_f32 v[2:3], v[2:3], v[4:5], v[12:13] op_sel_hi:[1,0,1]
	ds_write_b64 v1, v[2:3] offset:4096
.LBB57_24:
	s_or_b64 exec, exec, s[18:19]
	v_or_b32_e32 v1, 0x300, v0
	v_lshrrev_b32_e32 v1, s2, v1
	v_add_u32_e32 v12, s6, v1
	v_cmp_gt_u32_e32 vcc, s7, v12
	s_and_saveexec_b64 s[18:19], vcc
	s_cbranch_execz .LBB57_29
; %bb.25:
	v_mov_b32_e32 v13, 0
	v_lshlrev_b64 v[2:3], 3, v[12:13]
	v_mov_b32_e32 v1, s22
	v_add_co_u32_e32 v2, vcc, s17, v2
	v_addc_co_u32_e32 v3, vcc, v1, v3, vcc
	global_load_dwordx2 v[2:3], v[2:3], off
	v_mov_b32_e32 v1, s9
	s_waitcnt vmcnt(0)
	v_lshlrev_b64 v[2:3], 3, v[2:3]
	v_add_co_u32_e32 v2, vcc, s8, v2
	v_addc_co_u32_e32 v3, vcc, v1, v3, vcc
	global_load_dwordx4 v[2:5], v[2:3], off
	v_lshlrev_b32_e32 v1, 3, v0
	s_waitcnt vmcnt(0)
	v_sub_co_u32_e32 v4, vcc, v4, v2
	v_subb_co_u32_e32 v5, vcc, v5, v3, vcc
	v_cmp_le_i64_e32 vcc, v[4:5], v[10:11]
	s_and_saveexec_b64 s[8:9], vcc
	s_xor_b64 s[8:9], exec, s[8:9]
	s_cbranch_execz .LBB57_27
; %bb.26:
	v_mov_b32_e32 v12, v13
	ds_write_b64 v1, v[12:13] offset:6144
                                        ; implicit-def: $vgpr2_vgpr3
                                        ; implicit-def: $vgpr10_vgpr11
                                        ; implicit-def: $vgpr9
                                        ; implicit-def: $vgpr1
.LBB57_27:
	s_andn2_saveexec_b64 s[8:9], s[8:9]
	s_cbranch_execz .LBB57_29
; %bb.28:
	v_subrev_co_u32_e32 v2, vcc, s16, v2
	v_subbrev_co_u32_e32 v3, vcc, 0, v3, vcc
	v_add_co_u32_e32 v2, vcc, v2, v10
	v_addc_co_u32_e32 v3, vcc, 0, v3, vcc
	v_lshlrev_b64 v[2:3], 3, v[2:3]
	v_mov_b32_e32 v5, s11
	v_add_co_u32_e32 v4, vcc, s10, v2
	v_addc_co_u32_e32 v5, vcc, v5, v3, vcc
	global_load_dwordx2 v[4:5], v[4:5], off
	v_mov_b32_e32 v10, s13
	v_add_co_u32_e32 v2, vcc, s12, v2
	v_addc_co_u32_e32 v3, vcc, v10, v3, vcc
	global_load_dwordx2 v[2:3], v[2:3], off
	v_mov_b32_e32 v11, s15
	v_xor_b32_e32 v12, 0x80000000, v9
	v_mov_b32_e32 v13, v8
	s_waitcnt vmcnt(1)
	v_subrev_co_u32_e32 v4, vcc, s16, v4
	v_subbrev_co_u32_e32 v5, vcc, 0, v5, vcc
	v_lshlrev_b64 v[4:5], 3, v[4:5]
	v_add_co_u32_e32 v4, vcc, s14, v4
	v_addc_co_u32_e32 v5, vcc, v11, v5, vcc
	global_load_dwordx2 v[4:5], v[4:5], off
	s_waitcnt vmcnt(1)
	v_cndmask_b32_e64 v10, v3, -v3, s[0:1]
	v_pk_mul_f32 v[10:11], v[10:11], v[12:13] op_sel_hi:[0,1]
	v_pk_fma_f32 v[2:3], v[8:9], v[2:3], v[10:11] op_sel_hi:[1,0,1]
	s_waitcnt vmcnt(0)
	v_pk_mul_f32 v[8:9], v[4:5], v[2:3] op_sel:[1,1] op_sel_hi:[1,0] neg_lo:[0,1]
	v_pk_fma_f32 v[2:3], v[2:3], v[4:5], v[8:9] op_sel_hi:[1,0,1]
	ds_write_b64 v1, v[2:3] offset:6144
.LBB57_29:
	s_or_b64 exec, exec, s[18:19]
	s_cmp_lt_u32 s2, 11
	s_waitcnt lgkmcnt(0)
	s_barrier
	s_cbranch_scc0 .LBB57_38
; %bb.30:
	s_load_dwordx2 s[4:5], s[4:5], 0x58
	s_sub_i32 s12, s7, s6
	s_mov_b32 s7, 0
	s_lshl_b64 s[0:1], s[6:7], 3
	s_add_u32 s6, s17, s0
	v_and_b32_e32 v1, 0x7fffffff, v6
	s_addc_u32 s13, s22, s1
	v_cmp_ne_u32_e32 vcc, 0, v1
	v_cmp_neq_f32_e64 s[0:1], 0, v7
	s_or_b64 s[0:1], vcc, s[0:1]
	v_xor_b32_e32 v2, 0x80000000, v7
	v_mov_b32_e32 v3, v6
	v_mov_b32_e32 v5, 0
	s_branch .LBB57_33
.LBB57_31:                              ;   in Loop: Header=BB57_33 Depth=1
	s_or_b64 exec, exec, s[10:11]
	v_mov_b32_e32 v1, s5
	v_add_co_u32_e32 v10, vcc, s4, v10
	v_addc_co_u32_e32 v11, vcc, v1, v11, vcc
	global_store_dwordx2 v[10:11], v[8:9], off
.LBB57_32:                              ;   in Loop: Header=BB57_33 Depth=1
	s_or_b64 exec, exec, s[8:9]
	s_addk_i32 s7, 0x100
	s_cmp_lt_u32 s7, s3
	s_cbranch_scc0 .LBB57_38
.LBB57_33:                              ; =>This Loop Header: Depth=1
                                        ;     Child Loop BB57_35 Depth 2
	v_add_u32_e32 v4, s7, v0
	v_cmp_gt_u32_e32 vcc, s12, v4
	s_and_saveexec_b64 s[8:9], vcc
	s_cbranch_execz .LBB57_32
; %bb.34:                               ;   in Loop: Header=BB57_33 Depth=1
	v_lshlrev_b64 v[8:9], 3, v[4:5]
	v_mov_b32_e32 v1, s13
	v_add_co_u32_e32 v8, vcc, s6, v8
	v_addc_co_u32_e32 v9, vcc, v1, v9, vcc
	global_load_dwordx2 v[10:11], v[8:9], off
	v_lshlrev_b32_e32 v1, s2, v4
	v_mov_b32_e32 v8, 0
	v_lshlrev_b32_e32 v1, 3, v1
	s_mov_b32 s10, 1
	v_mov_b32_e32 v9, v8
.LBB57_35:                              ;   Parent Loop BB57_33 Depth=1
                                        ; =>  This Inner Loop Header: Depth=2
	ds_read_b64 v[12:13], v1
	s_lshr_b32 s11, s10, s2
	s_add_i32 s10, s10, 1
	v_add_u32_e32 v1, 8, v1
	s_cmp_lg_u32 s11, 0
	s_waitcnt lgkmcnt(0)
	v_pk_add_f32 v[8:9], v[8:9], v[12:13]
	s_cbranch_scc0 .LBB57_35
; %bb.36:                               ;   in Loop: Header=BB57_33 Depth=1
	s_waitcnt vmcnt(0)
	v_lshlrev_b64 v[10:11], 3, v[10:11]
	s_and_saveexec_b64 s[10:11], s[0:1]
	s_cbranch_execz .LBB57_31
; %bb.37:                               ;   in Loop: Header=BB57_33 Depth=1
	v_mov_b32_e32 v1, s5
	v_add_co_u32_e32 v12, vcc, s4, v10
	v_addc_co_u32_e32 v13, vcc, v1, v11, vcc
	global_load_dwordx2 v[12:13], v[12:13], off
	s_waitcnt vmcnt(0)
	v_pk_fma_f32 v[8:9], v[6:7], v[12:13], v[8:9] op_sel_hi:[1,0,1]
	v_pk_fma_f32 v[8:9], v[2:3], v[12:13], v[8:9] op_sel:[0,1,0]
	s_branch .LBB57_31
.LBB57_38:
	s_endpgm
.LBB57_39:
	v_pk_mov_b32 v[2:3], s[8:9], s[8:9] op_sel:[0,1]
	flat_load_dword v9, v[2:3] offset:4
	s_and_b64 vcc, exec, s[0:1]
	v_mov_b32_e32 v6, s2
	s_cbranch_vccnz .LBB57_4
.LBB57_40:
	v_pk_mov_b32 v[2:3], s[2:3], s[2:3] op_sel:[0,1]
	flat_load_dword v6, v[2:3]
	s_and_b64 vcc, exec, s[0:1]
	v_mov_b32_e32 v7, s3
	s_cbranch_vccz .LBB57_5
	s_branch .LBB57_6
	.section	.rodata,"a",@progbits
	.p2align	6, 0x0
	.amdhsa_kernel _ZN9rocsparseL30csrmvn_lrb_short_rows_2_kernelIll21rocsparse_complex_numIfES2_S2_S2_EEvbT_PT0_S5_jNS_24const_host_device_scalarIT4_EEPKS3_PKS4_PKT1_PKT2_S8_PT3_21rocsparse_index_base_b
		.amdhsa_group_segment_fixed_size 8192
		.amdhsa_private_segment_fixed_size 0
		.amdhsa_kernarg_size 104
		.amdhsa_user_sgpr_count 6
		.amdhsa_user_sgpr_private_segment_buffer 1
		.amdhsa_user_sgpr_dispatch_ptr 0
		.amdhsa_user_sgpr_queue_ptr 0
		.amdhsa_user_sgpr_kernarg_segment_ptr 1
		.amdhsa_user_sgpr_dispatch_id 0
		.amdhsa_user_sgpr_flat_scratch_init 0
		.amdhsa_user_sgpr_kernarg_preload_length 0
		.amdhsa_user_sgpr_kernarg_preload_offset 0
		.amdhsa_user_sgpr_private_segment_size 0
		.amdhsa_uses_dynamic_stack 0
		.amdhsa_system_sgpr_private_segment_wavefront_offset 0
		.amdhsa_system_sgpr_workgroup_id_x 1
		.amdhsa_system_sgpr_workgroup_id_y 0
		.amdhsa_system_sgpr_workgroup_id_z 0
		.amdhsa_system_sgpr_workgroup_info 0
		.amdhsa_system_vgpr_workitem_id 0
		.amdhsa_next_free_vgpr 16
		.amdhsa_next_free_sgpr 26
		.amdhsa_accum_offset 16
		.amdhsa_reserve_vcc 1
		.amdhsa_reserve_flat_scratch 0
		.amdhsa_float_round_mode_32 0
		.amdhsa_float_round_mode_16_64 0
		.amdhsa_float_denorm_mode_32 3
		.amdhsa_float_denorm_mode_16_64 3
		.amdhsa_dx10_clamp 1
		.amdhsa_ieee_mode 1
		.amdhsa_fp16_overflow 0
		.amdhsa_tg_split 0
		.amdhsa_exception_fp_ieee_invalid_op 0
		.amdhsa_exception_fp_denorm_src 0
		.amdhsa_exception_fp_ieee_div_zero 0
		.amdhsa_exception_fp_ieee_overflow 0
		.amdhsa_exception_fp_ieee_underflow 0
		.amdhsa_exception_fp_ieee_inexact 0
		.amdhsa_exception_int_div_zero 0
	.end_amdhsa_kernel
	.section	.text._ZN9rocsparseL30csrmvn_lrb_short_rows_2_kernelIll21rocsparse_complex_numIfES2_S2_S2_EEvbT_PT0_S5_jNS_24const_host_device_scalarIT4_EEPKS3_PKS4_PKT1_PKT2_S8_PT3_21rocsparse_index_base_b,"axG",@progbits,_ZN9rocsparseL30csrmvn_lrb_short_rows_2_kernelIll21rocsparse_complex_numIfES2_S2_S2_EEvbT_PT0_S5_jNS_24const_host_device_scalarIT4_EEPKS3_PKS4_PKT1_PKT2_S8_PT3_21rocsparse_index_base_b,comdat
.Lfunc_end57:
	.size	_ZN9rocsparseL30csrmvn_lrb_short_rows_2_kernelIll21rocsparse_complex_numIfES2_S2_S2_EEvbT_PT0_S5_jNS_24const_host_device_scalarIT4_EEPKS3_PKS4_PKT1_PKT2_S8_PT3_21rocsparse_index_base_b, .Lfunc_end57-_ZN9rocsparseL30csrmvn_lrb_short_rows_2_kernelIll21rocsparse_complex_numIfES2_S2_S2_EEvbT_PT0_S5_jNS_24const_host_device_scalarIT4_EEPKS3_PKS4_PKT1_PKT2_S8_PT3_21rocsparse_index_base_b
                                        ; -- End function
	.section	.AMDGPU.csdata,"",@progbits
; Kernel info:
; codeLenInByte = 2008
; NumSgprs: 30
; NumVgprs: 16
; NumAgprs: 0
; TotalNumVgprs: 16
; ScratchSize: 0
; MemoryBound: 0
; FloatMode: 240
; IeeeMode: 1
; LDSByteSize: 8192 bytes/workgroup (compile time only)
; SGPRBlocks: 3
; VGPRBlocks: 1
; NumSGPRsForWavesPerEU: 30
; NumVGPRsForWavesPerEU: 16
; AccumOffset: 16
; Occupancy: 8
; WaveLimiterHint : 1
; COMPUTE_PGM_RSRC2:SCRATCH_EN: 0
; COMPUTE_PGM_RSRC2:USER_SGPR: 6
; COMPUTE_PGM_RSRC2:TRAP_HANDLER: 0
; COMPUTE_PGM_RSRC2:TGID_X_EN: 1
; COMPUTE_PGM_RSRC2:TGID_Y_EN: 0
; COMPUTE_PGM_RSRC2:TGID_Z_EN: 0
; COMPUTE_PGM_RSRC2:TIDIG_COMP_CNT: 0
; COMPUTE_PGM_RSRC3_GFX90A:ACCUM_OFFSET: 3
; COMPUTE_PGM_RSRC3_GFX90A:TG_SPLIT: 0
	.section	.text._ZN9rocsparseL41csrmvn_lrb_medium_rows_warp_reduce_kernelILj256ELj32Ell21rocsparse_complex_numIfES2_S2_S2_EEvbT1_lPT2_S5_jNS_24const_host_device_scalarIT6_EEPKS3_PKS4_PKT3_PKT4_S8_PT5_21rocsparse_index_base_b,"axG",@progbits,_ZN9rocsparseL41csrmvn_lrb_medium_rows_warp_reduce_kernelILj256ELj32Ell21rocsparse_complex_numIfES2_S2_S2_EEvbT1_lPT2_S5_jNS_24const_host_device_scalarIT6_EEPKS3_PKS4_PKT3_PKT4_S8_PT5_21rocsparse_index_base_b,comdat
	.globl	_ZN9rocsparseL41csrmvn_lrb_medium_rows_warp_reduce_kernelILj256ELj32Ell21rocsparse_complex_numIfES2_S2_S2_EEvbT1_lPT2_S5_jNS_24const_host_device_scalarIT6_EEPKS3_PKS4_PKT3_PKT4_S8_PT5_21rocsparse_index_base_b ; -- Begin function _ZN9rocsparseL41csrmvn_lrb_medium_rows_warp_reduce_kernelILj256ELj32Ell21rocsparse_complex_numIfES2_S2_S2_EEvbT1_lPT2_S5_jNS_24const_host_device_scalarIT6_EEPKS3_PKS4_PKT3_PKT4_S8_PT5_21rocsparse_index_base_b
	.p2align	8
	.type	_ZN9rocsparseL41csrmvn_lrb_medium_rows_warp_reduce_kernelILj256ELj32Ell21rocsparse_complex_numIfES2_S2_S2_EEvbT1_lPT2_S5_jNS_24const_host_device_scalarIT6_EEPKS3_PKS4_PKT3_PKT4_S8_PT5_21rocsparse_index_base_b,@function
_ZN9rocsparseL41csrmvn_lrb_medium_rows_warp_reduce_kernelILj256ELj32Ell21rocsparse_complex_numIfES2_S2_S2_EEvbT1_lPT2_S5_jNS_24const_host_device_scalarIT6_EEPKS3_PKS4_PKT3_PKT4_S8_PT5_21rocsparse_index_base_b: ; @_ZN9rocsparseL41csrmvn_lrb_medium_rows_warp_reduce_kernelILj256ELj32Ell21rocsparse_complex_numIfES2_S2_S2_EEvbT1_lPT2_S5_jNS_24const_host_device_scalarIT6_EEPKS3_PKS4_PKT3_PKT4_S8_PT5_21rocsparse_index_base_b
; %bb.0:
	s_load_dwordx2 s[2:3], s[4:5], 0x68
	s_load_dwordx2 s[10:11], s[4:5], 0x30
	;; [unrolled: 1-line block ×3, first 2 shown]
	s_waitcnt lgkmcnt(0)
	s_bitcmp1_b32 s3, 0
	s_cselect_b64 s[0:1], -1, 0
	s_xor_b64 s[12:13], s[0:1], -1
	s_and_b64 vcc, exec, s[0:1]
	v_mov_b32_e32 v4, s10
	s_cbranch_vccnz .LBB58_2
; %bb.1:
	v_pk_mov_b32 v[2:3], s[10:11], s[10:11] op_sel:[0,1]
	flat_load_dword v4, v[2:3]
.LBB58_2:
	v_cndmask_b32_e64 v1, 0, 1, s[12:13]
	v_cmp_ne_u32_e64 s[0:1], 1, v1
	s_andn2_b64 vcc, exec, s[12:13]
	v_mov_b32_e32 v5, s11
	s_cbranch_vccz .LBB58_19
; %bb.3:
	s_and_b64 vcc, exec, s[0:1]
	v_mov_b32_e32 v2, s8
	s_cbranch_vccz .LBB58_20
.LBB58_4:
	s_and_b64 vcc, exec, s[0:1]
	v_mov_b32_e32 v3, s9
	s_cbranch_vccnz .LBB58_6
.LBB58_5:
	v_pk_mov_b32 v[6:7], s[8:9], s[8:9] op_sel:[0,1]
	flat_load_dword v3, v[6:7] offset:4
.LBB58_6:
	s_waitcnt vmcnt(0) lgkmcnt(0)
	v_and_b32_e32 v1, 0x7fffffff, v4
	v_cmp_eq_u32_e32 vcc, 0, v1
	v_cmp_eq_f32_e64 s[0:1], 0, v5
	s_and_b64 s[10:11], vcc, s[0:1]
	s_mov_b64 s[0:1], -1
	s_and_saveexec_b64 s[8:9], s[10:11]
; %bb.7:
	v_and_b32_e32 v1, 0x7fffffff, v3
	v_cmp_neq_f32_e32 vcc, 1.0, v2
	v_cmp_ne_u32_e64 s[0:1], 0, v1
	s_or_b64 s[0:1], vcc, s[0:1]
	s_orn2_b64 s[0:1], s[0:1], exec
; %bb.8:
	s_or_b64 exec, exec, s[8:9]
	s_and_saveexec_b64 s[8:9], s[0:1]
	s_cbranch_execz .LBB58_18
; %bb.9:
	s_load_dwordx2 s[0:1], s[4:5], 0x10
	v_lshrrev_b32_e32 v1, 5, v0
	v_lshl_or_b32 v6, s6, 3, v1
	v_ashrrev_i32_e32 v7, 31, v6
	s_waitcnt lgkmcnt(0)
	v_cmp_gt_i64_e32 vcc, s[0:1], v[6:7]
	s_and_b64 exec, exec, vcc
	s_cbranch_execz .LBB58_18
; %bb.10:
	s_load_dword s0, s[4:5], 0x28
	s_load_dwordx4 s[8:11], s[4:5], 0x18
	s_mov_b32 s1, 0
	v_lshlrev_b64 v[6:7], 3, v[6:7]
	v_and_b32_e32 v18, 31, v0
	s_waitcnt lgkmcnt(0)
	s_lshl_b64 s[6:7], s[0:1], 3
	s_add_u32 s6, s10, s6
	s_addc_u32 s7, s11, s7
	s_load_dwordx2 s[6:7], s[6:7], 0x0
	v_mov_b32_e32 v11, 0
	v_mov_b32_e32 v10, v11
	s_waitcnt lgkmcnt(0)
	s_lshl_b64 s[6:7], s[6:7], 3
	s_add_u32 s0, s8, s6
	s_addc_u32 s3, s9, s7
	v_mov_b32_e32 v1, s3
	v_add_co_u32_e32 v6, vcc, s0, v6
	v_addc_co_u32_e32 v7, vcc, v1, v7, vcc
	global_load_dwordx2 v[6:7], v[6:7], off
	s_load_dwordx2 s[6:7], s[4:5], 0x38
	s_waitcnt lgkmcnt(0)
	v_mov_b32_e32 v1, s7
	s_waitcnt vmcnt(0)
	v_lshlrev_b64 v[6:7], 3, v[6:7]
	v_add_co_u32_e32 v8, vcc, s6, v6
	v_addc_co_u32_e32 v9, vcc, v1, v7, vcc
	global_load_dwordx4 v[12:15], v[8:9], off
	v_subrev_co_u32_e32 v8, vcc, s2, v18
	s_load_dwordx2 s[6:7], s[4:5], 0x60
	v_subb_co_u32_e64 v9, s[8:9], 0, 0, vcc
	s_waitcnt vmcnt(0)
	v_subrev_co_u32_e32 v0, vcc, s2, v14
	v_subbrev_co_u32_e32 v1, vcc, 0, v15, vcc
	v_add_co_u32_e32 v8, vcc, v12, v8
	v_addc_co_u32_e32 v9, vcc, v13, v9, vcc
	v_cmp_lt_i64_e32 vcc, v[8:9], v[0:1]
	s_and_saveexec_b64 s[8:9], vcc
	s_cbranch_execz .LBB58_14
; %bb.11:
	s_mov_b32 s0, s1
	s_load_dword s1, s[4:5], 0x0
	s_load_dwordx4 s[12:15], s[4:5], 0x40
	s_load_dwordx2 s[10:11], s[4:5], 0x50
	v_lshlrev_b64 v[10:11], 3, v[8:9]
	v_xor_b32_e32 v12, 0x80000000, v5
	s_waitcnt lgkmcnt(0)
	s_bitcmp1_b32 s1, 0
	v_mov_b32_e32 v14, s15
	v_add_co_u32_e32 v15, vcc, s14, v10
	v_addc_co_u32_e32 v16, vcc, v11, v14, vcc
	v_add_co_u32_e32 v14, vcc, 4, v15
	v_addc_co_u32_e32 v15, vcc, 0, v16, vcc
	v_mov_b32_e32 v17, s13
	v_add_co_u32_e32 v16, vcc, s12, v10
	v_addc_co_u32_e32 v17, vcc, v17, v11, vcc
	v_mov_b32_e32 v11, 0
	v_mov_b32_e32 v13, v4
	s_cselect_b64 s[4:5], -1, 0
	s_mov_b64 s[12:13], 0
	v_mov_b32_e32 v19, s0
	v_mov_b32_e32 v20, s11
	;; [unrolled: 1-line block ×3, first 2 shown]
.LBB58_12:                              ; =>This Inner Loop Header: Depth=1
	global_load_dwordx2 v[22:23], v[16:17], off
	global_load_dwordx2 v[24:25], v[14:15], off offset:-4
	s_waitcnt vmcnt(1)
	v_subrev_co_u32_e32 v22, vcc, s2, v22
	v_subb_co_u32_e32 v23, vcc, v23, v19, vcc
	v_lshlrev_b64 v[22:23], 3, v[22:23]
	v_add_co_u32_e32 v22, vcc, s10, v22
	v_addc_co_u32_e32 v23, vcc, v20, v23, vcc
	global_load_dwordx2 v[22:23], v[22:23], off
	v_add_co_u32_e32 v8, vcc, 32, v8
	v_addc_co_u32_e32 v9, vcc, 0, v9, vcc
	s_waitcnt vmcnt(1)
	v_cndmask_b32_e64 v26, v25, -v25, s[4:5]
	v_add_co_u32_e32 v14, vcc, 0x100, v14
	v_pk_mul_f32 v[26:27], v[26:27], v[12:13] op_sel_hi:[0,1]
	v_addc_co_u32_e32 v15, vcc, 0, v15, vcc
	v_pk_fma_f32 v[24:25], v[4:5], v[24:25], v[26:27] op_sel_hi:[1,0,1]
	v_add_co_u32_e32 v16, vcc, 0x100, v16
	v_cmp_ge_i64_e64 s[0:1], v[8:9], v[0:1]
	v_addc_co_u32_e32 v17, vcc, 0, v17, vcc
	s_or_b64 s[12:13], s[0:1], s[12:13]
	s_waitcnt vmcnt(0)
	v_pk_fma_f32 v[10:11], v[24:25], v[22:23], v[10:11] op_sel_hi:[1,0,1]
	v_pk_fma_f32 v[10:11], v[24:25], v[22:23], v[10:11] op_sel:[1,1,0] op_sel_hi:[0,1,1] neg_lo:[1,0,0]
	s_andn2_b64 exec, exec, s[12:13]
	s_cbranch_execnz .LBB58_12
; %bb.13:
	s_or_b64 exec, exec, s[12:13]
.LBB58_14:
	s_or_b64 exec, exec, s[8:9]
	v_mov_b32_dpp v0, v10 row_shr:1 row_mask:0xf bank_mask:0xf
	v_mov_b32_dpp v1, v11 row_shr:1 row_mask:0xf bank_mask:0xf
	v_pk_add_f32 v[0:1], v[10:11], v[0:1]
	v_cmp_eq_u32_e32 vcc, 31, v18
	s_nop 0
	v_mov_b32_dpp v4, v0 row_shr:2 row_mask:0xf bank_mask:0xf
	v_mov_b32_dpp v5, v1 row_shr:2 row_mask:0xf bank_mask:0xf
	v_pk_add_f32 v[0:1], v[0:1], v[4:5]
	s_nop 1
	v_mov_b32_dpp v4, v0 row_shr:4 row_mask:0xf bank_mask:0xe
	v_mov_b32_dpp v5, v1 row_shr:4 row_mask:0xf bank_mask:0xe
	v_pk_add_f32 v[0:1], v[0:1], v[4:5]
	;; [unrolled: 4-line block ×3, first 2 shown]
	s_nop 1
	v_mov_b32_dpp v4, v0 row_bcast:15 row_mask:0xa bank_mask:0xf
	v_mov_b32_dpp v5, v1 row_bcast:15 row_mask:0xa bank_mask:0xf
	s_and_b64 exec, exec, vcc
	s_cbranch_execz .LBB58_18
; %bb.15:
	v_pk_add_f32 v[0:1], v[0:1], v[4:5]
	v_and_b32_e32 v4, 0x7fffffff, v2
	v_cmp_ne_u32_e32 vcc, 0, v4
	v_cmp_neq_f32_e64 s[0:1], 0, v3
	s_or_b64 s[2:3], vcc, s[0:1]
	s_and_saveexec_b64 s[0:1], s[2:3]
	s_cbranch_execz .LBB58_17
; %bb.16:
	s_waitcnt lgkmcnt(0)
	v_mov_b32_e32 v5, s7
	v_add_co_u32_e32 v4, vcc, s6, v6
	v_addc_co_u32_e32 v5, vcc, v5, v7, vcc
	global_load_dwordx2 v[4:5], v[4:5], off
	v_xor_b32_e32 v8, 0x80000000, v3
	v_mov_b32_e32 v9, v2
	s_waitcnt vmcnt(0)
	v_pk_fma_f32 v[0:1], v[2:3], v[4:5], v[0:1] op_sel_hi:[1,0,1]
	v_pk_fma_f32 v[0:1], v[8:9], v[4:5], v[0:1] op_sel:[0,1,0]
.LBB58_17:
	s_or_b64 exec, exec, s[0:1]
	s_waitcnt lgkmcnt(0)
	v_mov_b32_e32 v3, s7
	v_add_co_u32_e32 v2, vcc, s6, v6
	v_addc_co_u32_e32 v3, vcc, v3, v7, vcc
	global_store_dwordx2 v[2:3], v[0:1], off
.LBB58_18:
	s_endpgm
.LBB58_19:
	v_pk_mov_b32 v[2:3], s[10:11], s[10:11] op_sel:[0,1]
	flat_load_dword v5, v[2:3] offset:4
	s_and_b64 vcc, exec, s[0:1]
	v_mov_b32_e32 v2, s8
	s_cbranch_vccnz .LBB58_4
.LBB58_20:
	v_pk_mov_b32 v[2:3], s[8:9], s[8:9] op_sel:[0,1]
	flat_load_dword v2, v[2:3]
	s_and_b64 vcc, exec, s[0:1]
	v_mov_b32_e32 v3, s9
	s_cbranch_vccz .LBB58_5
	s_branch .LBB58_6
	.section	.rodata,"a",@progbits
	.p2align	6, 0x0
	.amdhsa_kernel _ZN9rocsparseL41csrmvn_lrb_medium_rows_warp_reduce_kernelILj256ELj32Ell21rocsparse_complex_numIfES2_S2_S2_EEvbT1_lPT2_S5_jNS_24const_host_device_scalarIT6_EEPKS3_PKS4_PKT3_PKT4_S8_PT5_21rocsparse_index_base_b
		.amdhsa_group_segment_fixed_size 0
		.amdhsa_private_segment_fixed_size 0
		.amdhsa_kernarg_size 112
		.amdhsa_user_sgpr_count 6
		.amdhsa_user_sgpr_private_segment_buffer 1
		.amdhsa_user_sgpr_dispatch_ptr 0
		.amdhsa_user_sgpr_queue_ptr 0
		.amdhsa_user_sgpr_kernarg_segment_ptr 1
		.amdhsa_user_sgpr_dispatch_id 0
		.amdhsa_user_sgpr_flat_scratch_init 0
		.amdhsa_user_sgpr_kernarg_preload_length 0
		.amdhsa_user_sgpr_kernarg_preload_offset 0
		.amdhsa_user_sgpr_private_segment_size 0
		.amdhsa_uses_dynamic_stack 0
		.amdhsa_system_sgpr_private_segment_wavefront_offset 0
		.amdhsa_system_sgpr_workgroup_id_x 1
		.amdhsa_system_sgpr_workgroup_id_y 0
		.amdhsa_system_sgpr_workgroup_id_z 0
		.amdhsa_system_sgpr_workgroup_info 0
		.amdhsa_system_vgpr_workitem_id 0
		.amdhsa_next_free_vgpr 28
		.amdhsa_next_free_sgpr 16
		.amdhsa_accum_offset 28
		.amdhsa_reserve_vcc 1
		.amdhsa_reserve_flat_scratch 0
		.amdhsa_float_round_mode_32 0
		.amdhsa_float_round_mode_16_64 0
		.amdhsa_float_denorm_mode_32 3
		.amdhsa_float_denorm_mode_16_64 3
		.amdhsa_dx10_clamp 1
		.amdhsa_ieee_mode 1
		.amdhsa_fp16_overflow 0
		.amdhsa_tg_split 0
		.amdhsa_exception_fp_ieee_invalid_op 0
		.amdhsa_exception_fp_denorm_src 0
		.amdhsa_exception_fp_ieee_div_zero 0
		.amdhsa_exception_fp_ieee_overflow 0
		.amdhsa_exception_fp_ieee_underflow 0
		.amdhsa_exception_fp_ieee_inexact 0
		.amdhsa_exception_int_div_zero 0
	.end_amdhsa_kernel
	.section	.text._ZN9rocsparseL41csrmvn_lrb_medium_rows_warp_reduce_kernelILj256ELj32Ell21rocsparse_complex_numIfES2_S2_S2_EEvbT1_lPT2_S5_jNS_24const_host_device_scalarIT6_EEPKS3_PKS4_PKT3_PKT4_S8_PT5_21rocsparse_index_base_b,"axG",@progbits,_ZN9rocsparseL41csrmvn_lrb_medium_rows_warp_reduce_kernelILj256ELj32Ell21rocsparse_complex_numIfES2_S2_S2_EEvbT1_lPT2_S5_jNS_24const_host_device_scalarIT6_EEPKS3_PKS4_PKT3_PKT4_S8_PT5_21rocsparse_index_base_b,comdat
.Lfunc_end58:
	.size	_ZN9rocsparseL41csrmvn_lrb_medium_rows_warp_reduce_kernelILj256ELj32Ell21rocsparse_complex_numIfES2_S2_S2_EEvbT1_lPT2_S5_jNS_24const_host_device_scalarIT6_EEPKS3_PKS4_PKT3_PKT4_S8_PT5_21rocsparse_index_base_b, .Lfunc_end58-_ZN9rocsparseL41csrmvn_lrb_medium_rows_warp_reduce_kernelILj256ELj32Ell21rocsparse_complex_numIfES2_S2_S2_EEvbT1_lPT2_S5_jNS_24const_host_device_scalarIT6_EEPKS3_PKS4_PKT3_PKT4_S8_PT5_21rocsparse_index_base_b
                                        ; -- End function
	.section	.AMDGPU.csdata,"",@progbits
; Kernel info:
; codeLenInByte = 1048
; NumSgprs: 20
; NumVgprs: 28
; NumAgprs: 0
; TotalNumVgprs: 28
; ScratchSize: 0
; MemoryBound: 0
; FloatMode: 240
; IeeeMode: 1
; LDSByteSize: 0 bytes/workgroup (compile time only)
; SGPRBlocks: 2
; VGPRBlocks: 3
; NumSGPRsForWavesPerEU: 20
; NumVGPRsForWavesPerEU: 28
; AccumOffset: 28
; Occupancy: 8
; WaveLimiterHint : 1
; COMPUTE_PGM_RSRC2:SCRATCH_EN: 0
; COMPUTE_PGM_RSRC2:USER_SGPR: 6
; COMPUTE_PGM_RSRC2:TRAP_HANDLER: 0
; COMPUTE_PGM_RSRC2:TGID_X_EN: 1
; COMPUTE_PGM_RSRC2:TGID_Y_EN: 0
; COMPUTE_PGM_RSRC2:TGID_Z_EN: 0
; COMPUTE_PGM_RSRC2:TIDIG_COMP_CNT: 0
; COMPUTE_PGM_RSRC3_GFX90A:ACCUM_OFFSET: 6
; COMPUTE_PGM_RSRC3_GFX90A:TG_SPLIT: 0
	.section	.text._ZN9rocsparseL41csrmvn_lrb_medium_rows_warp_reduce_kernelILj256ELj64Ell21rocsparse_complex_numIfES2_S2_S2_EEvbT1_lPT2_S5_jNS_24const_host_device_scalarIT6_EEPKS3_PKS4_PKT3_PKT4_S8_PT5_21rocsparse_index_base_b,"axG",@progbits,_ZN9rocsparseL41csrmvn_lrb_medium_rows_warp_reduce_kernelILj256ELj64Ell21rocsparse_complex_numIfES2_S2_S2_EEvbT1_lPT2_S5_jNS_24const_host_device_scalarIT6_EEPKS3_PKS4_PKT3_PKT4_S8_PT5_21rocsparse_index_base_b,comdat
	.globl	_ZN9rocsparseL41csrmvn_lrb_medium_rows_warp_reduce_kernelILj256ELj64Ell21rocsparse_complex_numIfES2_S2_S2_EEvbT1_lPT2_S5_jNS_24const_host_device_scalarIT6_EEPKS3_PKS4_PKT3_PKT4_S8_PT5_21rocsparse_index_base_b ; -- Begin function _ZN9rocsparseL41csrmvn_lrb_medium_rows_warp_reduce_kernelILj256ELj64Ell21rocsparse_complex_numIfES2_S2_S2_EEvbT1_lPT2_S5_jNS_24const_host_device_scalarIT6_EEPKS3_PKS4_PKT3_PKT4_S8_PT5_21rocsparse_index_base_b
	.p2align	8
	.type	_ZN9rocsparseL41csrmvn_lrb_medium_rows_warp_reduce_kernelILj256ELj64Ell21rocsparse_complex_numIfES2_S2_S2_EEvbT1_lPT2_S5_jNS_24const_host_device_scalarIT6_EEPKS3_PKS4_PKT3_PKT4_S8_PT5_21rocsparse_index_base_b,@function
_ZN9rocsparseL41csrmvn_lrb_medium_rows_warp_reduce_kernelILj256ELj64Ell21rocsparse_complex_numIfES2_S2_S2_EEvbT1_lPT2_S5_jNS_24const_host_device_scalarIT6_EEPKS3_PKS4_PKT3_PKT4_S8_PT5_21rocsparse_index_base_b: ; @_ZN9rocsparseL41csrmvn_lrb_medium_rows_warp_reduce_kernelILj256ELj64Ell21rocsparse_complex_numIfES2_S2_S2_EEvbT1_lPT2_S5_jNS_24const_host_device_scalarIT6_EEPKS3_PKS4_PKT3_PKT4_S8_PT5_21rocsparse_index_base_b
; %bb.0:
	s_load_dwordx2 s[2:3], s[4:5], 0x68
	s_load_dwordx2 s[10:11], s[4:5], 0x30
	;; [unrolled: 1-line block ×3, first 2 shown]
	s_waitcnt lgkmcnt(0)
	s_bitcmp1_b32 s3, 0
	s_cselect_b64 s[0:1], -1, 0
	s_xor_b64 s[12:13], s[0:1], -1
	s_and_b64 vcc, exec, s[0:1]
	v_mov_b32_e32 v4, s10
	s_cbranch_vccnz .LBB59_2
; %bb.1:
	v_pk_mov_b32 v[2:3], s[10:11], s[10:11] op_sel:[0,1]
	flat_load_dword v4, v[2:3]
.LBB59_2:
	v_cndmask_b32_e64 v1, 0, 1, s[12:13]
	v_cmp_ne_u32_e64 s[0:1], 1, v1
	s_andn2_b64 vcc, exec, s[12:13]
	v_mov_b32_e32 v5, s11
	s_cbranch_vccz .LBB59_19
; %bb.3:
	s_and_b64 vcc, exec, s[0:1]
	v_mov_b32_e32 v2, s8
	s_cbranch_vccz .LBB59_20
.LBB59_4:
	s_and_b64 vcc, exec, s[0:1]
	v_mov_b32_e32 v3, s9
	s_cbranch_vccnz .LBB59_6
.LBB59_5:
	v_pk_mov_b32 v[6:7], s[8:9], s[8:9] op_sel:[0,1]
	flat_load_dword v3, v[6:7] offset:4
.LBB59_6:
	s_waitcnt vmcnt(0) lgkmcnt(0)
	v_and_b32_e32 v1, 0x7fffffff, v4
	v_cmp_eq_u32_e32 vcc, 0, v1
	v_cmp_eq_f32_e64 s[0:1], 0, v5
	s_and_b64 s[10:11], vcc, s[0:1]
	s_mov_b64 s[0:1], -1
	s_and_saveexec_b64 s[8:9], s[10:11]
; %bb.7:
	v_and_b32_e32 v1, 0x7fffffff, v3
	v_cmp_neq_f32_e32 vcc, 1.0, v2
	v_cmp_ne_u32_e64 s[0:1], 0, v1
	s_or_b64 s[0:1], vcc, s[0:1]
	s_orn2_b64 s[0:1], s[0:1], exec
; %bb.8:
	s_or_b64 exec, exec, s[8:9]
	s_and_saveexec_b64 s[8:9], s[0:1]
	s_cbranch_execz .LBB59_18
; %bb.9:
	s_load_dwordx2 s[0:1], s[4:5], 0x10
	v_lshrrev_b32_e32 v1, 6, v0
	v_lshl_or_b32 v6, s6, 2, v1
	v_ashrrev_i32_e32 v7, 31, v6
	s_waitcnt lgkmcnt(0)
	v_cmp_gt_i64_e32 vcc, s[0:1], v[6:7]
	s_and_b64 exec, exec, vcc
	s_cbranch_execz .LBB59_18
; %bb.10:
	s_load_dword s0, s[4:5], 0x28
	s_load_dwordx4 s[8:11], s[4:5], 0x18
	s_mov_b32 s1, 0
	v_lshlrev_b64 v[6:7], 3, v[6:7]
	v_and_b32_e32 v18, 63, v0
	s_waitcnt lgkmcnt(0)
	s_lshl_b64 s[6:7], s[0:1], 3
	s_add_u32 s6, s10, s6
	s_addc_u32 s7, s11, s7
	s_load_dwordx2 s[6:7], s[6:7], 0x0
	v_mov_b32_e32 v11, 0
	v_mov_b32_e32 v10, v11
	s_waitcnt lgkmcnt(0)
	s_lshl_b64 s[6:7], s[6:7], 3
	s_add_u32 s0, s8, s6
	s_addc_u32 s3, s9, s7
	v_mov_b32_e32 v1, s3
	v_add_co_u32_e32 v6, vcc, s0, v6
	v_addc_co_u32_e32 v7, vcc, v1, v7, vcc
	global_load_dwordx2 v[6:7], v[6:7], off
	s_load_dwordx2 s[6:7], s[4:5], 0x38
	s_waitcnt lgkmcnt(0)
	v_mov_b32_e32 v1, s7
	s_waitcnt vmcnt(0)
	v_lshlrev_b64 v[6:7], 3, v[6:7]
	v_add_co_u32_e32 v8, vcc, s6, v6
	v_addc_co_u32_e32 v9, vcc, v1, v7, vcc
	global_load_dwordx4 v[12:15], v[8:9], off
	v_subrev_co_u32_e32 v8, vcc, s2, v18
	s_load_dwordx2 s[6:7], s[4:5], 0x60
	v_subb_co_u32_e64 v9, s[8:9], 0, 0, vcc
	s_waitcnt vmcnt(0)
	v_subrev_co_u32_e32 v0, vcc, s2, v14
	v_subbrev_co_u32_e32 v1, vcc, 0, v15, vcc
	v_add_co_u32_e32 v8, vcc, v12, v8
	v_addc_co_u32_e32 v9, vcc, v13, v9, vcc
	v_cmp_lt_i64_e32 vcc, v[8:9], v[0:1]
	s_and_saveexec_b64 s[8:9], vcc
	s_cbranch_execz .LBB59_14
; %bb.11:
	s_mov_b32 s0, s1
	s_load_dword s1, s[4:5], 0x0
	s_load_dwordx4 s[12:15], s[4:5], 0x40
	s_load_dwordx2 s[10:11], s[4:5], 0x50
	v_lshlrev_b64 v[10:11], 3, v[8:9]
	v_xor_b32_e32 v12, 0x80000000, v5
	s_waitcnt lgkmcnt(0)
	s_bitcmp1_b32 s1, 0
	v_mov_b32_e32 v14, s15
	v_add_co_u32_e32 v15, vcc, s14, v10
	v_addc_co_u32_e32 v16, vcc, v11, v14, vcc
	v_add_co_u32_e32 v14, vcc, 4, v15
	v_addc_co_u32_e32 v15, vcc, 0, v16, vcc
	v_mov_b32_e32 v17, s13
	v_add_co_u32_e32 v16, vcc, s12, v10
	v_mov_b32_e32 v10, 0
	v_mov_b32_e32 v13, v4
	s_cselect_b64 s[4:5], -1, 0
	v_addc_co_u32_e32 v17, vcc, v17, v11, vcc
	s_mov_b64 s[12:13], 0
	v_mov_b32_e32 v19, s0
	v_mov_b32_e32 v20, s11
	;; [unrolled: 1-line block ×3, first 2 shown]
.LBB59_12:                              ; =>This Inner Loop Header: Depth=1
	global_load_dwordx2 v[22:23], v[16:17], off
	global_load_dwordx2 v[24:25], v[14:15], off offset:-4
	s_waitcnt vmcnt(1)
	v_subrev_co_u32_e32 v22, vcc, s2, v22
	v_subb_co_u32_e32 v23, vcc, v23, v19, vcc
	v_lshlrev_b64 v[22:23], 3, v[22:23]
	v_add_co_u32_e32 v22, vcc, s10, v22
	v_addc_co_u32_e32 v23, vcc, v20, v23, vcc
	global_load_dwordx2 v[22:23], v[22:23], off
	v_add_co_u32_e32 v8, vcc, 64, v8
	v_addc_co_u32_e32 v9, vcc, 0, v9, vcc
	s_waitcnt vmcnt(1)
	v_cndmask_b32_e64 v26, v25, -v25, s[4:5]
	v_add_co_u32_e32 v14, vcc, 0x200, v14
	v_pk_mul_f32 v[26:27], v[26:27], v[12:13] op_sel_hi:[0,1]
	v_addc_co_u32_e32 v15, vcc, 0, v15, vcc
	v_pk_fma_f32 v[24:25], v[4:5], v[24:25], v[26:27] op_sel_hi:[1,0,1]
	v_add_co_u32_e32 v16, vcc, 0x200, v16
	v_cmp_ge_i64_e64 s[0:1], v[8:9], v[0:1]
	v_addc_co_u32_e32 v17, vcc, 0, v17, vcc
	s_or_b64 s[12:13], s[0:1], s[12:13]
	s_waitcnt vmcnt(0)
	v_pk_fma_f32 v[10:11], v[24:25], v[22:23], v[10:11] op_sel_hi:[1,0,1]
	v_pk_fma_f32 v[10:11], v[24:25], v[22:23], v[10:11] op_sel:[1,1,0] op_sel_hi:[0,1,1] neg_lo:[1,0,0]
	s_andn2_b64 exec, exec, s[12:13]
	s_cbranch_execnz .LBB59_12
; %bb.13:
	s_or_b64 exec, exec, s[12:13]
.LBB59_14:
	s_or_b64 exec, exec, s[8:9]
	v_mov_b32_dpp v0, v10 row_shr:1 row_mask:0xf bank_mask:0xf
	v_mov_b32_dpp v1, v11 row_shr:1 row_mask:0xf bank_mask:0xf
	v_pk_add_f32 v[0:1], v[10:11], v[0:1]
	v_cmp_eq_u32_e32 vcc, 63, v18
	s_nop 0
	v_mov_b32_dpp v4, v0 row_shr:2 row_mask:0xf bank_mask:0xf
	v_mov_b32_dpp v5, v1 row_shr:2 row_mask:0xf bank_mask:0xf
	v_pk_add_f32 v[0:1], v[0:1], v[4:5]
	s_nop 1
	v_mov_b32_dpp v4, v0 row_shr:4 row_mask:0xf bank_mask:0xe
	v_mov_b32_dpp v5, v1 row_shr:4 row_mask:0xf bank_mask:0xe
	v_pk_add_f32 v[0:1], v[0:1], v[4:5]
	;; [unrolled: 4-line block ×3, first 2 shown]
	s_nop 1
	v_mov_b32_dpp v4, v0 row_bcast:15 row_mask:0xa bank_mask:0xf
	v_mov_b32_dpp v5, v1 row_bcast:15 row_mask:0xa bank_mask:0xf
	v_pk_add_f32 v[0:1], v[0:1], v[4:5]
	s_nop 1
	v_mov_b32_dpp v4, v0 row_bcast:31 row_mask:0xc bank_mask:0xf
	v_mov_b32_dpp v5, v1 row_bcast:31 row_mask:0xc bank_mask:0xf
	s_and_b64 exec, exec, vcc
	s_cbranch_execz .LBB59_18
; %bb.15:
	v_pk_add_f32 v[0:1], v[0:1], v[4:5]
	v_and_b32_e32 v4, 0x7fffffff, v2
	v_cmp_ne_u32_e32 vcc, 0, v4
	v_cmp_neq_f32_e64 s[0:1], 0, v3
	s_or_b64 s[2:3], vcc, s[0:1]
	s_and_saveexec_b64 s[0:1], s[2:3]
	s_cbranch_execz .LBB59_17
; %bb.16:
	s_waitcnt lgkmcnt(0)
	v_mov_b32_e32 v5, s7
	v_add_co_u32_e32 v4, vcc, s6, v6
	v_addc_co_u32_e32 v5, vcc, v5, v7, vcc
	global_load_dwordx2 v[4:5], v[4:5], off
	v_xor_b32_e32 v8, 0x80000000, v3
	v_mov_b32_e32 v9, v2
	s_waitcnt vmcnt(0)
	v_pk_fma_f32 v[0:1], v[2:3], v[4:5], v[0:1] op_sel_hi:[1,0,1]
	v_pk_fma_f32 v[0:1], v[8:9], v[4:5], v[0:1] op_sel:[0,1,0]
.LBB59_17:
	s_or_b64 exec, exec, s[0:1]
	s_waitcnt lgkmcnt(0)
	v_mov_b32_e32 v3, s7
	v_add_co_u32_e32 v2, vcc, s6, v6
	v_addc_co_u32_e32 v3, vcc, v3, v7, vcc
	global_store_dwordx2 v[2:3], v[0:1], off
.LBB59_18:
	s_endpgm
.LBB59_19:
	v_pk_mov_b32 v[2:3], s[10:11], s[10:11] op_sel:[0,1]
	flat_load_dword v5, v[2:3] offset:4
	s_and_b64 vcc, exec, s[0:1]
	v_mov_b32_e32 v2, s8
	s_cbranch_vccnz .LBB59_4
.LBB59_20:
	v_pk_mov_b32 v[2:3], s[8:9], s[8:9] op_sel:[0,1]
	flat_load_dword v2, v[2:3]
	s_and_b64 vcc, exec, s[0:1]
	v_mov_b32_e32 v3, s9
	s_cbranch_vccz .LBB59_5
	s_branch .LBB59_6
	.section	.rodata,"a",@progbits
	.p2align	6, 0x0
	.amdhsa_kernel _ZN9rocsparseL41csrmvn_lrb_medium_rows_warp_reduce_kernelILj256ELj64Ell21rocsparse_complex_numIfES2_S2_S2_EEvbT1_lPT2_S5_jNS_24const_host_device_scalarIT6_EEPKS3_PKS4_PKT3_PKT4_S8_PT5_21rocsparse_index_base_b
		.amdhsa_group_segment_fixed_size 0
		.amdhsa_private_segment_fixed_size 0
		.amdhsa_kernarg_size 112
		.amdhsa_user_sgpr_count 6
		.amdhsa_user_sgpr_private_segment_buffer 1
		.amdhsa_user_sgpr_dispatch_ptr 0
		.amdhsa_user_sgpr_queue_ptr 0
		.amdhsa_user_sgpr_kernarg_segment_ptr 1
		.amdhsa_user_sgpr_dispatch_id 0
		.amdhsa_user_sgpr_flat_scratch_init 0
		.amdhsa_user_sgpr_kernarg_preload_length 0
		.amdhsa_user_sgpr_kernarg_preload_offset 0
		.amdhsa_user_sgpr_private_segment_size 0
		.amdhsa_uses_dynamic_stack 0
		.amdhsa_system_sgpr_private_segment_wavefront_offset 0
		.amdhsa_system_sgpr_workgroup_id_x 1
		.amdhsa_system_sgpr_workgroup_id_y 0
		.amdhsa_system_sgpr_workgroup_id_z 0
		.amdhsa_system_sgpr_workgroup_info 0
		.amdhsa_system_vgpr_workitem_id 0
		.amdhsa_next_free_vgpr 28
		.amdhsa_next_free_sgpr 16
		.amdhsa_accum_offset 28
		.amdhsa_reserve_vcc 1
		.amdhsa_reserve_flat_scratch 0
		.amdhsa_float_round_mode_32 0
		.amdhsa_float_round_mode_16_64 0
		.amdhsa_float_denorm_mode_32 3
		.amdhsa_float_denorm_mode_16_64 3
		.amdhsa_dx10_clamp 1
		.amdhsa_ieee_mode 1
		.amdhsa_fp16_overflow 0
		.amdhsa_tg_split 0
		.amdhsa_exception_fp_ieee_invalid_op 0
		.amdhsa_exception_fp_denorm_src 0
		.amdhsa_exception_fp_ieee_div_zero 0
		.amdhsa_exception_fp_ieee_overflow 0
		.amdhsa_exception_fp_ieee_underflow 0
		.amdhsa_exception_fp_ieee_inexact 0
		.amdhsa_exception_int_div_zero 0
	.end_amdhsa_kernel
	.section	.text._ZN9rocsparseL41csrmvn_lrb_medium_rows_warp_reduce_kernelILj256ELj64Ell21rocsparse_complex_numIfES2_S2_S2_EEvbT1_lPT2_S5_jNS_24const_host_device_scalarIT6_EEPKS3_PKS4_PKT3_PKT4_S8_PT5_21rocsparse_index_base_b,"axG",@progbits,_ZN9rocsparseL41csrmvn_lrb_medium_rows_warp_reduce_kernelILj256ELj64Ell21rocsparse_complex_numIfES2_S2_S2_EEvbT1_lPT2_S5_jNS_24const_host_device_scalarIT6_EEPKS3_PKS4_PKT3_PKT4_S8_PT5_21rocsparse_index_base_b,comdat
.Lfunc_end59:
	.size	_ZN9rocsparseL41csrmvn_lrb_medium_rows_warp_reduce_kernelILj256ELj64Ell21rocsparse_complex_numIfES2_S2_S2_EEvbT1_lPT2_S5_jNS_24const_host_device_scalarIT6_EEPKS3_PKS4_PKT3_PKT4_S8_PT5_21rocsparse_index_base_b, .Lfunc_end59-_ZN9rocsparseL41csrmvn_lrb_medium_rows_warp_reduce_kernelILj256ELj64Ell21rocsparse_complex_numIfES2_S2_S2_EEvbT1_lPT2_S5_jNS_24const_host_device_scalarIT6_EEPKS3_PKS4_PKT3_PKT4_S8_PT5_21rocsparse_index_base_b
                                        ; -- End function
	.section	.AMDGPU.csdata,"",@progbits
; Kernel info:
; codeLenInByte = 1076
; NumSgprs: 20
; NumVgprs: 28
; NumAgprs: 0
; TotalNumVgprs: 28
; ScratchSize: 0
; MemoryBound: 0
; FloatMode: 240
; IeeeMode: 1
; LDSByteSize: 0 bytes/workgroup (compile time only)
; SGPRBlocks: 2
; VGPRBlocks: 3
; NumSGPRsForWavesPerEU: 20
; NumVGPRsForWavesPerEU: 28
; AccumOffset: 28
; Occupancy: 8
; WaveLimiterHint : 1
; COMPUTE_PGM_RSRC2:SCRATCH_EN: 0
; COMPUTE_PGM_RSRC2:USER_SGPR: 6
; COMPUTE_PGM_RSRC2:TRAP_HANDLER: 0
; COMPUTE_PGM_RSRC2:TGID_X_EN: 1
; COMPUTE_PGM_RSRC2:TGID_Y_EN: 0
; COMPUTE_PGM_RSRC2:TGID_Z_EN: 0
; COMPUTE_PGM_RSRC2:TIDIG_COMP_CNT: 0
; COMPUTE_PGM_RSRC3_GFX90A:ACCUM_OFFSET: 6
; COMPUTE_PGM_RSRC3_GFX90A:TG_SPLIT: 0
	.section	.text._ZN9rocsparseL29csrmvn_lrb_medium_rows_kernelILj256Ell21rocsparse_complex_numIfES2_S2_S2_EEvbT0_PT1_S5_jNS_24const_host_device_scalarIT5_EEPKS3_PKS4_PKT2_PKT3_S8_PT4_21rocsparse_index_base_b,"axG",@progbits,_ZN9rocsparseL29csrmvn_lrb_medium_rows_kernelILj256Ell21rocsparse_complex_numIfES2_S2_S2_EEvbT0_PT1_S5_jNS_24const_host_device_scalarIT5_EEPKS3_PKS4_PKT2_PKT3_S8_PT4_21rocsparse_index_base_b,comdat
	.globl	_ZN9rocsparseL29csrmvn_lrb_medium_rows_kernelILj256Ell21rocsparse_complex_numIfES2_S2_S2_EEvbT0_PT1_S5_jNS_24const_host_device_scalarIT5_EEPKS3_PKS4_PKT2_PKT3_S8_PT4_21rocsparse_index_base_b ; -- Begin function _ZN9rocsparseL29csrmvn_lrb_medium_rows_kernelILj256Ell21rocsparse_complex_numIfES2_S2_S2_EEvbT0_PT1_S5_jNS_24const_host_device_scalarIT5_EEPKS3_PKS4_PKT2_PKT3_S8_PT4_21rocsparse_index_base_b
	.p2align	8
	.type	_ZN9rocsparseL29csrmvn_lrb_medium_rows_kernelILj256Ell21rocsparse_complex_numIfES2_S2_S2_EEvbT0_PT1_S5_jNS_24const_host_device_scalarIT5_EEPKS3_PKS4_PKT2_PKT3_S8_PT4_21rocsparse_index_base_b,@function
_ZN9rocsparseL29csrmvn_lrb_medium_rows_kernelILj256Ell21rocsparse_complex_numIfES2_S2_S2_EEvbT0_PT1_S5_jNS_24const_host_device_scalarIT5_EEPKS3_PKS4_PKT2_PKT3_S8_PT4_21rocsparse_index_base_b: ; @_ZN9rocsparseL29csrmvn_lrb_medium_rows_kernelILj256Ell21rocsparse_complex_numIfES2_S2_S2_EEvbT0_PT1_S5_jNS_24const_host_device_scalarIT5_EEPKS3_PKS4_PKT2_PKT3_S8_PT4_21rocsparse_index_base_b
; %bb.0:
	s_load_dwordx2 s[8:9], s[4:5], 0x60
	s_load_dwordx2 s[10:11], s[4:5], 0x28
	;; [unrolled: 1-line block ×3, first 2 shown]
	s_waitcnt lgkmcnt(0)
	s_bitcmp1_b32 s9, 0
	s_cselect_b64 s[0:1], -1, 0
	s_xor_b64 s[12:13], s[0:1], -1
	s_and_b64 vcc, exec, s[0:1]
	v_mov_b32_e32 v4, s10
	s_cbranch_vccnz .LBB60_2
; %bb.1:
	v_pk_mov_b32 v[2:3], s[10:11], s[10:11] op_sel:[0,1]
	flat_load_dword v4, v[2:3]
.LBB60_2:
	v_cndmask_b32_e64 v1, 0, 1, s[12:13]
	v_cmp_ne_u32_e64 s[0:1], 1, v1
	s_andn2_b64 vcc, exec, s[12:13]
	v_mov_b32_e32 v5, s11
	s_cbranch_vccz .LBB60_34
; %bb.3:
	s_and_b64 vcc, exec, s[0:1]
	v_mov_b32_e32 v2, s2
	s_cbranch_vccz .LBB60_35
.LBB60_4:
	s_and_b64 vcc, exec, s[0:1]
	v_mov_b32_e32 v3, s3
	s_cbranch_vccnz .LBB60_6
.LBB60_5:
	v_pk_mov_b32 v[6:7], s[2:3], s[2:3] op_sel:[0,1]
	flat_load_dword v3, v[6:7] offset:4
.LBB60_6:
	s_waitcnt vmcnt(0) lgkmcnt(0)
	v_and_b32_e32 v1, 0x7fffffff, v4
	v_cmp_eq_u32_e32 vcc, 0, v1
	v_cmp_eq_f32_e64 s[0:1], 0, v5
	s_and_b64 s[10:11], vcc, s[0:1]
	s_mov_b64 s[0:1], -1
	s_and_saveexec_b64 s[2:3], s[10:11]
; %bb.7:
	v_and_b32_e32 v1, 0x7fffffff, v3
	v_cmp_neq_f32_e32 vcc, 1.0, v2
	v_cmp_ne_u32_e64 s[0:1], 0, v1
	s_or_b64 s[0:1], vcc, s[0:1]
	s_orn2_b64 s[0:1], s[0:1], exec
; %bb.8:
	s_or_b64 exec, exec, s[2:3]
	s_and_saveexec_b64 s[2:3], s[0:1]
	s_cbranch_execz .LBB60_33
; %bb.9:
	s_load_dword s10, s[4:5], 0x20
	s_load_dwordx4 s[0:3], s[4:5], 0x10
	s_mov_b32 s11, 0
	v_subrev_co_u32_e32 v1, vcc, s8, v0
	s_waitcnt lgkmcnt(0)
	s_lshl_b64 s[12:13], s[10:11], 3
	s_add_u32 s2, s2, s12
	s_addc_u32 s3, s3, s13
	s_load_dwordx2 s[2:3], s[2:3], 0x0
	s_ashr_i32 s7, s6, 31
	v_mov_b32_e32 v9, 0
	s_waitcnt lgkmcnt(0)
	s_lshl_b64 s[2:3], s[2:3], 3
	s_add_u32 s2, s0, s2
	s_addc_u32 s3, s1, s3
	s_lshl_b64 s[0:1], s[6:7], 3
	s_add_u32 s0, s2, s0
	s_addc_u32 s1, s3, s1
	s_load_dwordx2 s[6:7], s[0:1], 0x0
	s_load_dwordx2 s[12:13], s[4:5], 0x30
	;; [unrolled: 1-line block ×3, first 2 shown]
	s_waitcnt lgkmcnt(0)
	s_lshl_b64 s[6:7], s[6:7], 3
	s_add_u32 s0, s12, s6
	s_addc_u32 s1, s13, s7
	s_load_dwordx4 s[12:15], s[0:1], 0x0
	v_subb_co_u32_e64 v7, s[0:1], 0, 0, vcc
	s_mov_b32 s0, s11
	s_waitcnt lgkmcnt(0)
	s_sub_u32 s10, s14, s8
	v_mov_b32_e32 v8, s13
	v_add_co_u32_e32 v6, vcc, s12, v1
	s_subb_u32 s11, s15, 0
	v_addc_co_u32_e32 v7, vcc, v8, v7, vcc
	v_cmp_gt_i64_e32 vcc, s[10:11], v[6:7]
	v_mov_b32_e32 v8, v9
	s_and_saveexec_b64 s[12:13], vcc
	s_cbranch_execz .LBB60_13
; %bb.10:
	s_load_dword s1, s[4:5], 0x0
	s_load_dwordx4 s[16:19], s[4:5], 0x38
	s_load_dwordx2 s[14:15], s[4:5], 0x48
	v_lshlrev_b64 v[8:9], 3, v[6:7]
	v_xor_b32_e32 v10, 0x80000000, v5
	s_waitcnt lgkmcnt(0)
	s_bitcmp1_b32 s1, 0
	v_mov_b32_e32 v1, s19
	v_add_co_u32_e32 v12, vcc, s18, v8
	v_addc_co_u32_e32 v1, vcc, v9, v1, vcc
	v_add_co_u32_e32 v12, vcc, 4, v12
	v_addc_co_u32_e32 v13, vcc, 0, v1, vcc
	v_mov_b32_e32 v1, s17
	v_add_co_u32_e32 v14, vcc, s16, v8
	v_mov_b32_e32 v8, 0
	v_mov_b32_e32 v11, v4
	s_cselect_b64 s[4:5], -1, 0
	v_addc_co_u32_e32 v15, vcc, v1, v9, vcc
	s_mov_b64 s[16:17], 0
	v_mov_b32_e32 v1, s0
	v_mov_b32_e32 v16, s15
	s_movk_i32 s9, 0x100
	v_mov_b32_e32 v9, v8
.LBB60_11:                              ; =>This Inner Loop Header: Depth=1
	global_load_dwordx2 v[18:19], v[14:15], off
	global_load_dwordx2 v[20:21], v[12:13], off offset:-4
	s_waitcnt vmcnt(1)
	v_subrev_co_u32_e32 v18, vcc, s8, v18
	v_subb_co_u32_e32 v19, vcc, v19, v1, vcc
	v_lshlrev_b64 v[18:19], 3, v[18:19]
	v_add_co_u32_e32 v18, vcc, s14, v18
	v_addc_co_u32_e32 v19, vcc, v16, v19, vcc
	global_load_dwordx2 v[18:19], v[18:19], off
	v_add_co_u32_e32 v6, vcc, s9, v6
	v_addc_co_u32_e32 v7, vcc, 0, v7, vcc
	s_waitcnt vmcnt(1)
	v_cndmask_b32_e64 v22, v21, -v21, s[4:5]
	v_add_co_u32_e32 v12, vcc, 0x800, v12
	v_pk_mul_f32 v[22:23], v[22:23], v[10:11] op_sel_hi:[0,1]
	v_addc_co_u32_e32 v13, vcc, 0, v13, vcc
	v_pk_fma_f32 v[20:21], v[4:5], v[20:21], v[22:23] op_sel_hi:[1,0,1]
	v_add_co_u32_e32 v14, vcc, 0x800, v14
	v_cmp_le_i64_e64 s[0:1], s[10:11], v[6:7]
	v_addc_co_u32_e32 v15, vcc, 0, v15, vcc
	s_or_b64 s[16:17], s[0:1], s[16:17]
	s_waitcnt vmcnt(0)
	v_pk_fma_f32 v[8:9], v[20:21], v[18:19], v[8:9] op_sel_hi:[1,0,1]
	v_pk_fma_f32 v[8:9], v[20:21], v[18:19], v[8:9] op_sel:[1,1,0] op_sel_hi:[0,1,1] neg_lo:[1,0,0]
	s_andn2_b64 exec, exec, s[16:17]
	s_cbranch_execnz .LBB60_11
; %bb.12:
	s_or_b64 exec, exec, s[16:17]
.LBB60_13:
	s_or_b64 exec, exec, s[12:13]
	s_movk_i32 s0, 0x80
	v_lshlrev_b32_e32 v1, 3, v0
	v_cmp_gt_u32_e32 vcc, s0, v0
	ds_write_b64 v1, v[8:9]
	s_waitcnt lgkmcnt(0)
	s_barrier
	s_and_saveexec_b64 s[0:1], vcc
	s_cbranch_execz .LBB60_15
; %bb.14:
	ds_read2st64_b64 v[4:7], v1 offset1:2
	s_waitcnt lgkmcnt(0)
	v_pk_add_f32 v[4:5], v[6:7], v[4:5]
	ds_write_b64 v1, v[4:5]
.LBB60_15:
	s_or_b64 exec, exec, s[0:1]
	v_cmp_gt_u32_e32 vcc, 64, v0
	s_waitcnt lgkmcnt(0)
	s_barrier
	s_and_saveexec_b64 s[0:1], vcc
	s_cbranch_execz .LBB60_17
; %bb.16:
	ds_read2st64_b64 v[4:7], v1 offset1:1
	s_waitcnt lgkmcnt(0)
	v_pk_add_f32 v[4:5], v[6:7], v[4:5]
	ds_write_b64 v1, v[4:5]
.LBB60_17:
	s_or_b64 exec, exec, s[0:1]
	v_cmp_gt_u32_e32 vcc, 32, v0
	s_waitcnt lgkmcnt(0)
	s_barrier
	s_and_saveexec_b64 s[0:1], vcc
	s_cbranch_execz .LBB60_19
; %bb.18:
	ds_read2_b64 v[4:7], v1 offset1:32
	s_waitcnt lgkmcnt(0)
	v_pk_add_f32 v[4:5], v[6:7], v[4:5]
	ds_write_b64 v1, v[4:5]
.LBB60_19:
	s_or_b64 exec, exec, s[0:1]
	v_cmp_gt_u32_e32 vcc, 16, v0
	s_waitcnt lgkmcnt(0)
	s_barrier
	s_and_saveexec_b64 s[0:1], vcc
	s_cbranch_execz .LBB60_21
; %bb.20:
	ds_read2_b64 v[4:7], v1 offset1:16
	s_waitcnt lgkmcnt(0)
	v_pk_add_f32 v[4:5], v[6:7], v[4:5]
	ds_write_b64 v1, v[4:5]
.LBB60_21:
	;; [unrolled: 12-line block ×5, first 2 shown]
	s_or_b64 exec, exec, s[0:1]
	v_cmp_eq_u32_e32 vcc, 0, v0
	s_waitcnt lgkmcnt(0)
	s_barrier
	s_and_saveexec_b64 s[0:1], vcc
	s_cbranch_execz .LBB60_29
; %bb.28:
	v_mov_b32_e32 v8, 0
	ds_read2_b64 v[4:7], v8 offset1:1
	s_waitcnt lgkmcnt(0)
	v_pk_add_f32 v[0:1], v[6:7], v[4:5]
	ds_write_b64 v8, v[0:1]
.LBB60_29:
	s_or_b64 exec, exec, s[0:1]
	s_waitcnt lgkmcnt(0)
	s_barrier
	s_and_b64 exec, exec, vcc
	s_cbranch_execz .LBB60_33
; %bb.30:
	v_mov_b32_e32 v4, 0
	ds_read_b64 v[0:1], v4
	v_and_b32_e32 v5, 0x7fffffff, v2
	v_cmp_ne_u32_e32 vcc, 0, v5
	v_cmp_neq_f32_e64 s[0:1], 0, v3
	s_or_b64 s[4:5], vcc, s[0:1]
	s_and_saveexec_b64 s[0:1], s[4:5]
	s_cbranch_execz .LBB60_32
; %bb.31:
	s_add_u32 s4, s2, s6
	s_addc_u32 s5, s3, s7
	s_load_dwordx2 s[4:5], s[4:5], 0x0
	v_xor_b32_e32 v6, 0x80000000, v3
	v_mov_b32_e32 v7, v2
	s_waitcnt lgkmcnt(0)
	v_pk_fma_f32 v[0:1], v[2:3], s[4:5], v[0:1] op_sel_hi:[1,0,1]
	v_pk_fma_f32 v[0:1], v[6:7], s[4:5], v[0:1] op_sel:[0,1,0]
.LBB60_32:
	s_or_b64 exec, exec, s[0:1]
	s_add_u32 s0, s2, s6
	s_addc_u32 s1, s3, s7
	s_waitcnt lgkmcnt(0)
	global_store_dwordx2 v4, v[0:1], s[0:1]
.LBB60_33:
	s_endpgm
.LBB60_34:
	v_pk_mov_b32 v[2:3], s[10:11], s[10:11] op_sel:[0,1]
	flat_load_dword v5, v[2:3] offset:4
	s_and_b64 vcc, exec, s[0:1]
	v_mov_b32_e32 v2, s2
	s_cbranch_vccnz .LBB60_4
.LBB60_35:
	v_pk_mov_b32 v[2:3], s[2:3], s[2:3] op_sel:[0,1]
	flat_load_dword v2, v[2:3]
	s_and_b64 vcc, exec, s[0:1]
	v_mov_b32_e32 v3, s3
	s_cbranch_vccz .LBB60_5
	s_branch .LBB60_6
	.section	.rodata,"a",@progbits
	.p2align	6, 0x0
	.amdhsa_kernel _ZN9rocsparseL29csrmvn_lrb_medium_rows_kernelILj256Ell21rocsparse_complex_numIfES2_S2_S2_EEvbT0_PT1_S5_jNS_24const_host_device_scalarIT5_EEPKS3_PKS4_PKT2_PKT3_S8_PT4_21rocsparse_index_base_b
		.amdhsa_group_segment_fixed_size 2048
		.amdhsa_private_segment_fixed_size 0
		.amdhsa_kernarg_size 104
		.amdhsa_user_sgpr_count 6
		.amdhsa_user_sgpr_private_segment_buffer 1
		.amdhsa_user_sgpr_dispatch_ptr 0
		.amdhsa_user_sgpr_queue_ptr 0
		.amdhsa_user_sgpr_kernarg_segment_ptr 1
		.amdhsa_user_sgpr_dispatch_id 0
		.amdhsa_user_sgpr_flat_scratch_init 0
		.amdhsa_user_sgpr_kernarg_preload_length 0
		.amdhsa_user_sgpr_kernarg_preload_offset 0
		.amdhsa_user_sgpr_private_segment_size 0
		.amdhsa_uses_dynamic_stack 0
		.amdhsa_system_sgpr_private_segment_wavefront_offset 0
		.amdhsa_system_sgpr_workgroup_id_x 1
		.amdhsa_system_sgpr_workgroup_id_y 0
		.amdhsa_system_sgpr_workgroup_id_z 0
		.amdhsa_system_sgpr_workgroup_info 0
		.amdhsa_system_vgpr_workitem_id 0
		.amdhsa_next_free_vgpr 24
		.amdhsa_next_free_sgpr 20
		.amdhsa_accum_offset 24
		.amdhsa_reserve_vcc 1
		.amdhsa_reserve_flat_scratch 0
		.amdhsa_float_round_mode_32 0
		.amdhsa_float_round_mode_16_64 0
		.amdhsa_float_denorm_mode_32 3
		.amdhsa_float_denorm_mode_16_64 3
		.amdhsa_dx10_clamp 1
		.amdhsa_ieee_mode 1
		.amdhsa_fp16_overflow 0
		.amdhsa_tg_split 0
		.amdhsa_exception_fp_ieee_invalid_op 0
		.amdhsa_exception_fp_denorm_src 0
		.amdhsa_exception_fp_ieee_div_zero 0
		.amdhsa_exception_fp_ieee_overflow 0
		.amdhsa_exception_fp_ieee_underflow 0
		.amdhsa_exception_fp_ieee_inexact 0
		.amdhsa_exception_int_div_zero 0
	.end_amdhsa_kernel
	.section	.text._ZN9rocsparseL29csrmvn_lrb_medium_rows_kernelILj256Ell21rocsparse_complex_numIfES2_S2_S2_EEvbT0_PT1_S5_jNS_24const_host_device_scalarIT5_EEPKS3_PKS4_PKT2_PKT3_S8_PT4_21rocsparse_index_base_b,"axG",@progbits,_ZN9rocsparseL29csrmvn_lrb_medium_rows_kernelILj256Ell21rocsparse_complex_numIfES2_S2_S2_EEvbT0_PT1_S5_jNS_24const_host_device_scalarIT5_EEPKS3_PKS4_PKT2_PKT3_S8_PT4_21rocsparse_index_base_b,comdat
.Lfunc_end60:
	.size	_ZN9rocsparseL29csrmvn_lrb_medium_rows_kernelILj256Ell21rocsparse_complex_numIfES2_S2_S2_EEvbT0_PT1_S5_jNS_24const_host_device_scalarIT5_EEPKS3_PKS4_PKT2_PKT3_S8_PT4_21rocsparse_index_base_b, .Lfunc_end60-_ZN9rocsparseL29csrmvn_lrb_medium_rows_kernelILj256Ell21rocsparse_complex_numIfES2_S2_S2_EEvbT0_PT1_S5_jNS_24const_host_device_scalarIT5_EEPKS3_PKS4_PKT2_PKT3_S8_PT4_21rocsparse_index_base_b
                                        ; -- End function
	.section	.AMDGPU.csdata,"",@progbits
; Kernel info:
; codeLenInByte = 1300
; NumSgprs: 24
; NumVgprs: 24
; NumAgprs: 0
; TotalNumVgprs: 24
; ScratchSize: 0
; MemoryBound: 0
; FloatMode: 240
; IeeeMode: 1
; LDSByteSize: 2048 bytes/workgroup (compile time only)
; SGPRBlocks: 2
; VGPRBlocks: 2
; NumSGPRsForWavesPerEU: 24
; NumVGPRsForWavesPerEU: 24
; AccumOffset: 24
; Occupancy: 8
; WaveLimiterHint : 1
; COMPUTE_PGM_RSRC2:SCRATCH_EN: 0
; COMPUTE_PGM_RSRC2:USER_SGPR: 6
; COMPUTE_PGM_RSRC2:TRAP_HANDLER: 0
; COMPUTE_PGM_RSRC2:TGID_X_EN: 1
; COMPUTE_PGM_RSRC2:TGID_Y_EN: 0
; COMPUTE_PGM_RSRC2:TGID_Z_EN: 0
; COMPUTE_PGM_RSRC2:TIDIG_COMP_CNT: 0
; COMPUTE_PGM_RSRC3_GFX90A:ACCUM_OFFSET: 5
; COMPUTE_PGM_RSRC3_GFX90A:TG_SPLIT: 0
	.section	.text._ZN9rocsparseL27csrmvn_lrb_long_rows_kernelIll21rocsparse_complex_numIfES2_S2_S2_EEvbT_PjPT0_S6_jNS_24const_host_device_scalarIT4_EEPKS3_PKS5_PKT1_PKT2_S9_PT3_21rocsparse_index_base_b,"axG",@progbits,_ZN9rocsparseL27csrmvn_lrb_long_rows_kernelIll21rocsparse_complex_numIfES2_S2_S2_EEvbT_PjPT0_S6_jNS_24const_host_device_scalarIT4_EEPKS3_PKS5_PKT1_PKT2_S9_PT3_21rocsparse_index_base_b,comdat
	.globl	_ZN9rocsparseL27csrmvn_lrb_long_rows_kernelIll21rocsparse_complex_numIfES2_S2_S2_EEvbT_PjPT0_S6_jNS_24const_host_device_scalarIT4_EEPKS3_PKS5_PKT1_PKT2_S9_PT3_21rocsparse_index_base_b ; -- Begin function _ZN9rocsparseL27csrmvn_lrb_long_rows_kernelIll21rocsparse_complex_numIfES2_S2_S2_EEvbT_PjPT0_S6_jNS_24const_host_device_scalarIT4_EEPKS3_PKS5_PKT1_PKT2_S9_PT3_21rocsparse_index_base_b
	.p2align	8
	.type	_ZN9rocsparseL27csrmvn_lrb_long_rows_kernelIll21rocsparse_complex_numIfES2_S2_S2_EEvbT_PjPT0_S6_jNS_24const_host_device_scalarIT4_EEPKS3_PKS5_PKT1_PKT2_S9_PT3_21rocsparse_index_base_b,@function
_ZN9rocsparseL27csrmvn_lrb_long_rows_kernelIll21rocsparse_complex_numIfES2_S2_S2_EEvbT_PjPT0_S6_jNS_24const_host_device_scalarIT4_EEPKS3_PKS5_PKT1_PKT2_S9_PT3_21rocsparse_index_base_b: ; @_ZN9rocsparseL27csrmvn_lrb_long_rows_kernelIll21rocsparse_complex_numIfES2_S2_S2_EEvbT_PjPT0_S6_jNS_24const_host_device_scalarIT4_EEPKS3_PKS5_PKT1_PKT2_S9_PT3_21rocsparse_index_base_b
; %bb.0:
	s_load_dwordx2 s[14:15], s[4:5], 0x68
	s_load_dwordx2 s[8:9], s[4:5], 0x30
	;; [unrolled: 1-line block ×3, first 2 shown]
	s_waitcnt lgkmcnt(0)
	s_bitcmp1_b32 s15, 0
	s_cselect_b64 s[0:1], -1, 0
	s_xor_b64 s[10:11], s[0:1], -1
	s_and_b64 vcc, exec, s[0:1]
	v_mov_b32_e32 v2, s8
	s_cbranch_vccnz .LBB61_2
; %bb.1:
	v_pk_mov_b32 v[2:3], s[8:9], s[8:9] op_sel:[0,1]
	flat_load_dword v2, v[2:3]
.LBB61_2:
	v_cndmask_b32_e64 v1, 0, 1, s[10:11]
	v_cmp_ne_u32_e64 s[0:1], 1, v1
	s_andn2_b64 vcc, exec, s[10:11]
	v_mov_b32_e32 v3, s9
	s_cbranch_vccz .LBB61_39
; %bb.3:
	s_and_b64 vcc, exec, s[0:1]
	v_mov_b32_e32 v1, s2
	s_cbranch_vccz .LBB61_40
.LBB61_4:
	s_and_b64 vcc, exec, s[0:1]
	v_mov_b32_e32 v5, s3
	s_cbranch_vccnz .LBB61_6
.LBB61_5:
	v_pk_mov_b32 v[4:5], s[2:3], s[2:3] op_sel:[0,1]
	flat_load_dword v5, v[4:5] offset:4
.LBB61_6:
	s_waitcnt vmcnt(0) lgkmcnt(0)
	v_and_b32_e32 v4, 0x7fffffff, v2
	v_cmp_eq_u32_e32 vcc, 0, v4
	v_cmp_eq_f32_e64 s[0:1], 0, v3
	s_and_b64 s[8:9], vcc, s[0:1]
	s_mov_b64 s[0:1], -1
	s_and_saveexec_b64 s[2:3], s[8:9]
; %bb.7:
	v_cmp_neq_f32_e32 vcc, 1.0, v1
	v_cmp_neq_f32_e64 s[0:1], 0, v5
	s_or_b64 s[0:1], vcc, s[0:1]
	s_orn2_b64 s[0:1], s[0:1], exec
; %bb.8:
	s_or_b64 exec, exec, s[2:3]
	s_and_saveexec_b64 s[2:3], s[0:1]
	s_cbranch_execz .LBB61_48
; %bb.9:
	s_load_dword s0, s[4:5], 0x28
	s_load_dwordx2 s[2:3], s[4:5], 0x20
	s_mov_b32 s27, 0
	s_mov_b32 s1, s27
	;; [unrolled: 1-line block ×3, first 2 shown]
	s_waitcnt lgkmcnt(0)
	s_lshl_b64 s[8:9], s[0:1], 3
	s_add_u32 s2, s2, s8
	s_addc_u32 s3, s3, s9
	s_lshl_b32 s0, -1, s0
	s_not_b32 s0, s0
	s_mul_hi_u32 s0, s0, 0x2aaaaaab
	s_lshr_b32 s0, s0, 7
	s_add_i32 s7, s0, 1
	v_cvt_f32_u32_e32 v4, s7
	s_not_b32 s0, s0
	s_load_dwordx2 s[2:3], s[2:3], 0x0
	s_mov_b32 s19, s27
	v_rcp_iflag_f32_e32 v4, v4
	s_load_dwordx4 s[8:11], s[4:5], 0x10
	v_pk_mov_b32 v[6:7], s[18:19], s[18:19] op_sel:[0,1]
	v_mul_f32_e32 v4, 0x4f7ffffe, v4
	v_cvt_u32_f32_e32 v4, v4
	v_readfirstlane_b32 s12, v4
	s_mul_i32 s0, s0, s12
	s_mul_hi_u32 s0, s12, s0
	s_add_i32 s12, s12, s0
	s_mul_hi_u32 s0, s6, s12
	s_mul_i32 s12, s0, s7
	s_sub_i32 s12, s6, s12
	s_add_i32 s13, s0, 1
	s_sub_i32 s15, s12, s7
	s_cmp_ge_u32 s12, s7
	s_cselect_b32 s0, s13, s0
	s_cselect_b32 s12, s15, s12
	s_add_i32 s13, s0, 1
	s_cmp_ge_u32 s12, s7
	s_cselect_b32 s0, s13, s0
	s_mul_i32 s7, s0, s7
	s_waitcnt lgkmcnt(0)
	s_lshl_b64 s[2:3], s[2:3], 3
	s_sub_i32 s15, s6, s7
	s_add_u32 s2, s10, s2
	s_addc_u32 s3, s11, s3
	s_lshl_b64 s[0:1], s[0:1], 3
	s_add_u32 s0, s2, s0
	s_addc_u32 s1, s3, s1
	s_load_dwordx2 s[2:3], s[0:1], 0x0
	s_load_dwordx2 s[16:17], s[4:5], 0x38
	;; [unrolled: 1-line block ×3, first 2 shown]
	v_or_b32_e32 v4, s15, v0
	v_cmp_eq_u32_e32 vcc, 0, v4
	s_waitcnt lgkmcnt(0)
	s_lshl_b64 s[12:13], s[2:3], 3
	s_add_u32 s0, s16, s12
	s_addc_u32 s1, s17, s13
	s_ashr_i32 s7, s6, 31
	s_sub_u32 s16, s6, s15
	s_subb_u32 s17, s7, 0
	s_lshl_b64 s[6:7], s[6:7], 2
	s_add_u32 s6, s8, s6
	s_addc_u32 s7, s9, s7
	s_load_dwordx4 s[0:3], s[0:1], 0x0
	s_nop 0
	s_load_dword s26, s[6:7], 0x0
	s_and_saveexec_b64 s[18:19], vcc
	s_cbranch_execz .LBB61_13
; %bb.10:
	s_add_u32 s20, s10, s12
	s_addc_u32 s21, s11, s13
	s_load_dwordx2 s[20:21], s[20:21], 0x0
	s_mov_b64 s[22:23], exec
	v_add_f32_e32 v7, -1.0, v1
	v_mbcnt_lo_u32_b32 v1, s22, 0
	v_xor_b32_e32 v6, 0x80000000, v5
	v_mbcnt_hi_u32_b32 v1, s23, v1
	v_mov_b32_e32 v4, v7
	s_waitcnt lgkmcnt(0)
	v_pk_mul_f32 v[6:7], s[20:21], v[6:7] op_sel:[1,0]
	v_cmp_eq_u32_e32 vcc, 0, v1
	s_waitcnt vmcnt(0) expcnt(0) lgkmcnt(0)
	s_and_saveexec_b64 s[24:25], vcc
	s_cbranch_execz .LBB61_12
; %bb.11:
	s_lshl_b64 s[28:29], s[16:17], 2
	s_add_u32 s28, s8, s28
	s_addc_u32 s29, s9, s29
	s_bcnt1_i32_b64 s22, s[22:23]
	s_and_b32 s22, s22, 1
	v_mov_b32_e32 v1, 0
	v_mov_b32_e32 v8, s22
	global_atomic_xor v1, v8, s[28:29]
.LBB61_12:
	s_or_b64 exec, exec, s[24:25]
	v_pk_fma_f32 v[6:7], v[4:5], s[20:21], v[6:7] op_sel_hi:[1,0,1]
.LBB61_13:
	s_or_b64 exec, exec, s[18:19]
	s_waitcnt lgkmcnt(0)
	s_sub_u32 s0, s0, s14
	s_mul_i32 s19, s15, 0x300
	s_subb_u32 s1, s1, 0
	s_mul_hi_u32 s18, s15, 0x300
	s_add_u32 s20, s0, s19
	s_addc_u32 s21, s1, s18
	s_sub_u32 s0, s2, s14
	s_subb_u32 s1, s3, 0
	s_add_u32 s2, s20, 0x300
	s_addc_u32 s3, s21, 0
	v_pk_mov_b32 v[4:5], s[0:1], s[0:1] op_sel:[0,1]
	v_cmp_lt_i64_e32 vcc, s[2:3], v[4:5]
	s_and_b64 s[18:19], vcc, exec
	v_mov_b32_e32 v1, s21
	v_add_co_u32_e32 v4, vcc, s20, v0
	s_cselect_b32 s3, s3, s1
	s_cselect_b32 s2, s2, s0
	v_addc_co_u32_e32 v5, vcc, 0, v1, vcc
	v_cmp_gt_i64_e32 vcc, s[2:3], v[4:5]
	s_and_saveexec_b64 s[18:19], vcc
	s_cbranch_execz .LBB61_17
; %bb.14:
	s_load_dword s0, s[4:5], 0x0
	s_load_dwordx4 s[28:31], s[4:5], 0x40
	s_load_dwordx2 s[20:21], s[4:5], 0x50
	v_lshlrev_b64 v[12:13], 3, v[4:5]
	v_xor_b32_e32 v8, 0x80000000, v3
	s_waitcnt lgkmcnt(0)
	s_bitcmp1_b32 s0, 0
	v_mov_b32_e32 v1, s31
	v_add_co_u32_e32 v10, vcc, s30, v12
	v_addc_co_u32_e32 v1, vcc, v13, v1, vcc
	v_add_co_u32_e32 v10, vcc, 4, v10
	v_addc_co_u32_e32 v11, vcc, 0, v1, vcc
	v_mov_b32_e32 v1, s29
	v_add_co_u32_e32 v12, vcc, s28, v12
	v_mov_b32_e32 v9, v2
	s_cselect_b64 s[4:5], -1, 0
	v_addc_co_u32_e32 v13, vcc, v1, v13, vcc
	s_mov_b64 s[22:23], 0
	v_mov_b32_e32 v1, s27
	v_mov_b32_e32 v14, s21
	s_movk_i32 s21, 0x100
.LBB61_15:                              ; =>This Inner Loop Header: Depth=1
	global_load_dwordx2 v[16:17], v[12:13], off
	global_load_dwordx2 v[18:19], v[10:11], off offset:-4
	s_waitcnt vmcnt(1)
	v_subrev_co_u32_e32 v16, vcc, s14, v16
	v_subb_co_u32_e32 v17, vcc, v17, v1, vcc
	v_lshlrev_b64 v[16:17], 3, v[16:17]
	v_add_co_u32_e32 v16, vcc, s20, v16
	v_addc_co_u32_e32 v17, vcc, v14, v17, vcc
	global_load_dwordx2 v[16:17], v[16:17], off
	v_add_co_u32_e32 v4, vcc, s21, v4
	v_addc_co_u32_e32 v5, vcc, 0, v5, vcc
	s_waitcnt vmcnt(1)
	v_cndmask_b32_e64 v20, v19, -v19, s[4:5]
	v_add_co_u32_e32 v10, vcc, 0x800, v10
	v_pk_mul_f32 v[20:21], v[20:21], v[8:9] op_sel_hi:[0,1]
	v_addc_co_u32_e32 v11, vcc, 0, v11, vcc
	v_pk_fma_f32 v[18:19], v[2:3], v[18:19], v[20:21] op_sel_hi:[1,0,1]
	v_add_co_u32_e32 v12, vcc, 0x800, v12
	v_cmp_le_i64_e64 s[0:1], s[2:3], v[4:5]
	v_addc_co_u32_e32 v13, vcc, 0, v13, vcc
	s_or_b64 s[22:23], s[0:1], s[22:23]
	s_waitcnt vmcnt(0)
	v_pk_fma_f32 v[6:7], v[18:19], v[16:17], v[6:7] op_sel_hi:[1,0,1]
	v_pk_fma_f32 v[6:7], v[18:19], v[16:17], v[6:7] op_sel:[1,1,0] op_sel_hi:[0,1,1] neg_lo:[1,0,0]
	s_andn2_b64 exec, exec, s[22:23]
	s_cbranch_execnz .LBB61_15
; %bb.16:
	s_or_b64 exec, exec, s[22:23]
.LBB61_17:
	s_or_b64 exec, exec, s[18:19]
	s_movk_i32 s0, 0x80
	v_lshlrev_b32_e32 v1, 3, v0
	v_cmp_gt_u32_e32 vcc, s0, v0
	ds_write_b64 v1, v[6:7]
	s_waitcnt lgkmcnt(0)
	s_barrier
	s_and_saveexec_b64 s[0:1], vcc
	s_cbranch_execz .LBB61_19
; %bb.18:
	ds_read2st64_b64 v[2:5], v1 offset1:2
	s_waitcnt lgkmcnt(0)
	v_pk_add_f32 v[2:3], v[4:5], v[2:3]
	ds_write_b64 v1, v[2:3]
.LBB61_19:
	s_or_b64 exec, exec, s[0:1]
	v_cmp_gt_u32_e32 vcc, 64, v0
	s_waitcnt lgkmcnt(0)
	s_barrier
	s_and_saveexec_b64 s[0:1], vcc
	s_cbranch_execz .LBB61_21
; %bb.20:
	ds_read2st64_b64 v[2:5], v1 offset1:1
	s_waitcnt lgkmcnt(0)
	v_pk_add_f32 v[2:3], v[4:5], v[2:3]
	ds_write_b64 v1, v[2:3]
.LBB61_21:
	s_or_b64 exec, exec, s[0:1]
	v_cmp_gt_u32_e32 vcc, 32, v0
	s_waitcnt lgkmcnt(0)
	s_barrier
	s_and_saveexec_b64 s[0:1], vcc
	s_cbranch_execz .LBB61_23
; %bb.22:
	ds_read2_b64 v[2:5], v1 offset1:32
	s_waitcnt lgkmcnt(0)
	v_pk_add_f32 v[2:3], v[4:5], v[2:3]
	ds_write_b64 v1, v[2:3]
.LBB61_23:
	s_or_b64 exec, exec, s[0:1]
	v_cmp_gt_u32_e32 vcc, 16, v0
	s_waitcnt lgkmcnt(0)
	s_barrier
	s_and_saveexec_b64 s[0:1], vcc
	s_cbranch_execz .LBB61_25
; %bb.24:
	ds_read2_b64 v[2:5], v1 offset1:16
	s_waitcnt lgkmcnt(0)
	v_pk_add_f32 v[2:3], v[4:5], v[2:3]
	ds_write_b64 v1, v[2:3]
.LBB61_25:
	;; [unrolled: 12-line block ×5, first 2 shown]
	s_or_b64 exec, exec, s[0:1]
	v_cmp_eq_u32_e32 vcc, 0, v0
	s_waitcnt lgkmcnt(0)
	s_barrier
	s_and_saveexec_b64 s[0:1], vcc
	s_cbranch_execz .LBB61_33
; %bb.32:
	v_mov_b32_e32 v4, 0
	ds_read2_b64 v[0:3], v4 offset1:1
	s_waitcnt lgkmcnt(0)
	v_pk_add_f32 v[0:1], v[2:3], v[0:1]
	ds_write_b64 v4, v[0:1]
.LBB61_33:
	s_or_b64 exec, exec, s[0:1]
	s_waitcnt lgkmcnt(0)
	s_barrier
	s_and_b64 exec, exec, vcc
	s_cbranch_execz .LBB61_48
; %bb.34:
	s_cmp_eq_u32 s15, 0
	s_cbranch_scc1 .LBB61_42
; %bb.35:
	s_lshl_b64 s[0:1], s[16:17], 2
	s_add_u32 s0, s8, s0
	s_addc_u32 s1, s9, s1
	v_mov_b32_e32 v0, 0
	s_branch .LBB61_37
.LBB61_36:                              ;   in Loop: Header=BB61_37 Depth=1
	s_or_b64 exec, exec, s[2:3]
	s_waitcnt vmcnt(0)
	v_readfirstlane_b32 s2, v1
	s_cmp_eq_u32 s2, s26
	s_cbranch_scc0 .LBB61_41
.LBB61_37:                              ; =>This Inner Loop Header: Depth=1
	v_mbcnt_lo_u32_b32 v1, exec_lo, 0
	v_mbcnt_hi_u32_b32 v1, exec_hi, v1
	v_cmp_eq_u32_e32 vcc, 0, v1
                                        ; implicit-def: $vgpr1
	s_and_saveexec_b64 s[2:3], vcc
	s_cbranch_execz .LBB61_36
; %bb.38:                               ;   in Loop: Header=BB61_37 Depth=1
	global_load_dword v1, v0, s[0:1] glc
	s_branch .LBB61_36
.LBB61_39:
	v_pk_mov_b32 v[4:5], s[8:9], s[8:9] op_sel:[0,1]
	flat_load_dword v3, v[4:5] offset:4
	s_and_b64 vcc, exec, s[0:1]
	v_mov_b32_e32 v1, s2
	s_cbranch_vccnz .LBB61_4
.LBB61_40:
	v_pk_mov_b32 v[4:5], s[2:3], s[2:3] op_sel:[0,1]
	flat_load_dword v1, v[4:5]
	s_and_b64 vcc, exec, s[0:1]
	v_mov_b32_e32 v5, s3
	s_cbranch_vccz .LBB61_5
	s_branch .LBB61_6
.LBB61_41:
	v_mov_b32_e32 v0, 0
	global_load_dword v1, v0, s[6:7]
	s_waitcnt vmcnt(0)
	v_xor_b32_e32 v1, 1, v1
	global_store_dword v0, v1, s[6:7]
.LBB61_42:
	v_mov_b32_e32 v4, 0
	ds_read_b64 v[0:1], v4
	s_mov_b64 s[4:5], exec
	v_mbcnt_lo_u32_b32 v2, s4, 0
	s_add_u32 s0, s10, s12
	v_mbcnt_hi_u32_b32 v2, s5, v2
	s_addc_u32 s1, s11, s13
	v_cmp_eq_u32_e32 vcc, 0, v2
	s_and_saveexec_b64 s[2:3], vcc
	s_cbranch_execz .LBB61_45
; %bb.43:
	global_load_dword v3, v4, s[0:1]
	s_bcnt1_i32_b64 s4, s[4:5]
	v_cvt_f32_ubyte0_e32 v2, s4
	s_waitcnt lgkmcnt(0)
	v_mul_f32_e32 v0, v0, v2
	s_mov_b64 s[4:5], 0
.LBB61_44:                              ; =>This Inner Loop Header: Depth=1
	s_waitcnt vmcnt(0)
	v_add_f32_e32 v2, v3, v0
	global_atomic_cmpswap v2, v4, v[2:3], s[0:1] glc
	s_waitcnt vmcnt(0)
	v_cmp_eq_u32_e32 vcc, v2, v3
	s_or_b64 s[4:5], vcc, s[4:5]
	v_mov_b32_e32 v3, v2
	s_andn2_b64 exec, exec, s[4:5]
	s_cbranch_execnz .LBB61_44
.LBB61_45:
	s_or_b64 exec, exec, s[2:3]
	s_mov_b64 s[2:3], exec
	s_waitcnt lgkmcnt(0)
	v_mbcnt_lo_u32_b32 v0, s2, 0
	v_mbcnt_hi_u32_b32 v0, s3, v0
	v_cmp_eq_u32_e32 vcc, 0, v0
	s_and_b64 s[4:5], exec, vcc
	s_mov_b64 exec, s[4:5]
	s_cbranch_execz .LBB61_48
; %bb.46:
	v_mov_b32_e32 v0, 0
	global_load_dword v3, v0, s[0:1] offset:4
	s_bcnt1_i32_b64 s2, s[2:3]
	v_cvt_f32_ubyte0_e32 v2, s2
	v_mul_f32_e32 v1, v1, v2
	s_mov_b64 s[2:3], 0
.LBB61_47:                              ; =>This Inner Loop Header: Depth=1
	s_waitcnt vmcnt(0)
	v_add_f32_e32 v2, v3, v1
	global_atomic_cmpswap v2, v0, v[2:3], s[0:1] offset:4 glc
	s_waitcnt vmcnt(0)
	v_cmp_eq_u32_e32 vcc, v2, v3
	s_or_b64 s[2:3], vcc, s[2:3]
	v_mov_b32_e32 v3, v2
	s_andn2_b64 exec, exec, s[2:3]
	s_cbranch_execnz .LBB61_47
.LBB61_48:
	s_endpgm
	.section	.rodata,"a",@progbits
	.p2align	6, 0x0
	.amdhsa_kernel _ZN9rocsparseL27csrmvn_lrb_long_rows_kernelIll21rocsparse_complex_numIfES2_S2_S2_EEvbT_PjPT0_S6_jNS_24const_host_device_scalarIT4_EEPKS3_PKS5_PKT1_PKT2_S9_PT3_21rocsparse_index_base_b
		.amdhsa_group_segment_fixed_size 2048
		.amdhsa_private_segment_fixed_size 0
		.amdhsa_kernarg_size 112
		.amdhsa_user_sgpr_count 6
		.amdhsa_user_sgpr_private_segment_buffer 1
		.amdhsa_user_sgpr_dispatch_ptr 0
		.amdhsa_user_sgpr_queue_ptr 0
		.amdhsa_user_sgpr_kernarg_segment_ptr 1
		.amdhsa_user_sgpr_dispatch_id 0
		.amdhsa_user_sgpr_flat_scratch_init 0
		.amdhsa_user_sgpr_kernarg_preload_length 0
		.amdhsa_user_sgpr_kernarg_preload_offset 0
		.amdhsa_user_sgpr_private_segment_size 0
		.amdhsa_uses_dynamic_stack 0
		.amdhsa_system_sgpr_private_segment_wavefront_offset 0
		.amdhsa_system_sgpr_workgroup_id_x 1
		.amdhsa_system_sgpr_workgroup_id_y 0
		.amdhsa_system_sgpr_workgroup_id_z 0
		.amdhsa_system_sgpr_workgroup_info 0
		.amdhsa_system_vgpr_workitem_id 0
		.amdhsa_next_free_vgpr 22
		.amdhsa_next_free_sgpr 32
		.amdhsa_accum_offset 24
		.amdhsa_reserve_vcc 1
		.amdhsa_reserve_flat_scratch 0
		.amdhsa_float_round_mode_32 0
		.amdhsa_float_round_mode_16_64 0
		.amdhsa_float_denorm_mode_32 3
		.amdhsa_float_denorm_mode_16_64 3
		.amdhsa_dx10_clamp 1
		.amdhsa_ieee_mode 1
		.amdhsa_fp16_overflow 0
		.amdhsa_tg_split 0
		.amdhsa_exception_fp_ieee_invalid_op 0
		.amdhsa_exception_fp_denorm_src 0
		.amdhsa_exception_fp_ieee_div_zero 0
		.amdhsa_exception_fp_ieee_overflow 0
		.amdhsa_exception_fp_ieee_underflow 0
		.amdhsa_exception_fp_ieee_inexact 0
		.amdhsa_exception_int_div_zero 0
	.end_amdhsa_kernel
	.section	.text._ZN9rocsparseL27csrmvn_lrb_long_rows_kernelIll21rocsparse_complex_numIfES2_S2_S2_EEvbT_PjPT0_S6_jNS_24const_host_device_scalarIT4_EEPKS3_PKS5_PKT1_PKT2_S9_PT3_21rocsparse_index_base_b,"axG",@progbits,_ZN9rocsparseL27csrmvn_lrb_long_rows_kernelIll21rocsparse_complex_numIfES2_S2_S2_EEvbT_PjPT0_S6_jNS_24const_host_device_scalarIT4_EEPKS3_PKS5_PKT1_PKT2_S9_PT3_21rocsparse_index_base_b,comdat
.Lfunc_end61:
	.size	_ZN9rocsparseL27csrmvn_lrb_long_rows_kernelIll21rocsparse_complex_numIfES2_S2_S2_EEvbT_PjPT0_S6_jNS_24const_host_device_scalarIT4_EEPKS3_PKS5_PKT1_PKT2_S9_PT3_21rocsparse_index_base_b, .Lfunc_end61-_ZN9rocsparseL27csrmvn_lrb_long_rows_kernelIll21rocsparse_complex_numIfES2_S2_S2_EEvbT_PjPT0_S6_jNS_24const_host_device_scalarIT4_EEPKS3_PKS5_PKT1_PKT2_S9_PT3_21rocsparse_index_base_b
                                        ; -- End function
	.section	.AMDGPU.csdata,"",@progbits
; Kernel info:
; codeLenInByte = 1884
; NumSgprs: 36
; NumVgprs: 22
; NumAgprs: 0
; TotalNumVgprs: 22
; ScratchSize: 0
; MemoryBound: 0
; FloatMode: 240
; IeeeMode: 1
; LDSByteSize: 2048 bytes/workgroup (compile time only)
; SGPRBlocks: 4
; VGPRBlocks: 2
; NumSGPRsForWavesPerEU: 36
; NumVGPRsForWavesPerEU: 22
; AccumOffset: 24
; Occupancy: 8
; WaveLimiterHint : 1
; COMPUTE_PGM_RSRC2:SCRATCH_EN: 0
; COMPUTE_PGM_RSRC2:USER_SGPR: 6
; COMPUTE_PGM_RSRC2:TRAP_HANDLER: 0
; COMPUTE_PGM_RSRC2:TGID_X_EN: 1
; COMPUTE_PGM_RSRC2:TGID_Y_EN: 0
; COMPUTE_PGM_RSRC2:TGID_Z_EN: 0
; COMPUTE_PGM_RSRC2:TIDIG_COMP_CNT: 0
; COMPUTE_PGM_RSRC3_GFX90A:ACCUM_OFFSET: 5
; COMPUTE_PGM_RSRC3_GFX90A:TG_SPLIT: 0
	.section	.text._ZN9rocsparseL28csrmvn_lrb_short_rows_kernelIii21rocsparse_complex_numIdES2_S2_S2_EEvbT_PT0_S5_jNS_24const_host_device_scalarIT4_EEPKS3_PKS4_PKT1_PKT2_S8_PT3_21rocsparse_index_base_b,"axG",@progbits,_ZN9rocsparseL28csrmvn_lrb_short_rows_kernelIii21rocsparse_complex_numIdES2_S2_S2_EEvbT_PT0_S5_jNS_24const_host_device_scalarIT4_EEPKS3_PKS4_PKT1_PKT2_S8_PT3_21rocsparse_index_base_b,comdat
	.globl	_ZN9rocsparseL28csrmvn_lrb_short_rows_kernelIii21rocsparse_complex_numIdES2_S2_S2_EEvbT_PT0_S5_jNS_24const_host_device_scalarIT4_EEPKS3_PKS4_PKT1_PKT2_S8_PT3_21rocsparse_index_base_b ; -- Begin function _ZN9rocsparseL28csrmvn_lrb_short_rows_kernelIii21rocsparse_complex_numIdES2_S2_S2_EEvbT_PT0_S5_jNS_24const_host_device_scalarIT4_EEPKS3_PKS4_PKT1_PKT2_S8_PT3_21rocsparse_index_base_b
	.p2align	8
	.type	_ZN9rocsparseL28csrmvn_lrb_short_rows_kernelIii21rocsparse_complex_numIdES2_S2_S2_EEvbT_PT0_S5_jNS_24const_host_device_scalarIT4_EEPKS3_PKS4_PKT1_PKT2_S8_PT3_21rocsparse_index_base_b,@function
_ZN9rocsparseL28csrmvn_lrb_short_rows_kernelIii21rocsparse_complex_numIdES2_S2_S2_EEvbT_PT0_S5_jNS_24const_host_device_scalarIT4_EEPKS3_PKS4_PKT1_PKT2_S8_PT3_21rocsparse_index_base_b: ; @_ZN9rocsparseL28csrmvn_lrb_short_rows_kernelIii21rocsparse_complex_numIdES2_S2_S2_EEvbT_PT0_S5_jNS_24const_host_device_scalarIT4_EEPKS3_PKS4_PKT1_PKT2_S8_PT3_21rocsparse_index_base_b
; %bb.0:
	s_add_u32 flat_scratch_lo, s6, s9
	s_load_dwordx2 s[20:21], s[4:5], 0x68
	s_load_dwordx4 s[16:19], s[4:5], 0x20
	s_addc_u32 flat_scratch_hi, s7, 0
	s_add_u32 s0, s0, s9
	s_load_dwordx4 s[12:15], s[4:5], 0x50
	s_addc_u32 s1, s1, 0
	s_waitcnt lgkmcnt(0)
	s_bitcmp1_b32 s21, 0
	v_mov_b32_e32 v1, 0
	v_mov_b32_e32 v3, s16
	s_cselect_b64 s[6:7], -1, 0
	v_cndmask_b32_e64 v2, v3, v1, s[6:7]
	v_mov_b32_e32 v1, s17
	s_mov_b64 s[10:11], src_private_base
	s_and_b64 vcc, s[6:7], exec
	buffer_store_dword v1, off, s[0:3], 0 offset:4
	buffer_store_dword v3, off, s[0:3], 0
	v_mov_b32_e32 v1, s13
	s_cselect_b32 s9, s11, s17
	buffer_store_dword v1, off, s[0:3], 0 offset:12
	v_mov_b32_e32 v1, s12
	buffer_store_dword v1, off, s[0:3], 0 offset:8
	v_mov_b32_e32 v3, s9
	flat_load_dwordx2 v[2:3], v[2:3]
	s_xor_b64 s[22:23], s[6:7], -1
	v_pk_mov_b32 v[8:9], s[18:19], s[18:19] op_sel:[0,1]
	s_cbranch_vccnz .LBB62_2
; %bb.1:
	v_pk_mov_b32 v[4:5], s[16:17], s[16:17] op_sel:[0,1]
	flat_load_dwordx2 v[8:9], v[4:5] offset:8
.LBB62_2:
	s_and_b64 s[16:17], s[6:7], exec
	s_cselect_b32 s9, s11, s13
	v_mov_b32_e32 v1, 8
	v_mov_b32_e32 v4, s12
	v_cndmask_b32_e64 v4, v4, v1, s[6:7]
	v_mov_b32_e32 v5, s9
	flat_load_dwordx2 v[4:5], v[4:5]
	s_andn2_b64 vcc, exec, s[22:23]
	v_pk_mov_b32 v[6:7], s[14:15], s[14:15] op_sel:[0,1]
	s_cbranch_vccnz .LBB62_4
; %bb.3:
	v_pk_mov_b32 v[6:7], s[12:13], s[12:13] op_sel:[0,1]
	flat_load_dwordx2 v[6:7], v[6:7] offset:8
.LBB62_4:
	s_waitcnt vmcnt(0) lgkmcnt(0)
	v_cmp_eq_f64_e32 vcc, 0, v[2:3]
	v_cmp_eq_f64_e64 s[6:7], 0, v[8:9]
	s_and_b64 s[12:13], vcc, s[6:7]
	s_mov_b64 s[6:7], -1
	s_and_saveexec_b64 s[10:11], s[12:13]
; %bb.5:
	v_cmp_neq_f64_e32 vcc, 1.0, v[4:5]
	v_cmp_neq_f64_e64 s[6:7], 0, v[6:7]
	s_or_b64 s[6:7], vcc, s[6:7]
	s_orn2_b64 s[6:7], s[6:7], exec
; %bb.6:
	s_or_b64 exec, exec, s[10:11]
	s_and_saveexec_b64 s[10:11], s[6:7]
	s_cbranch_execz .LBB62_20
; %bb.7:
	s_load_dword s22, s[4:5], 0x18
	s_load_dwordx4 s[16:19], s[4:5], 0x8
	s_mov_b32 s23, 0
	s_mov_b32 s7, s23
	s_waitcnt lgkmcnt(0)
	s_lshl_b64 s[10:11], s[22:23], 2
	s_add_u32 s10, s18, s10
	s_addc_u32 s11, s19, s11
	s_add_i32 s6, s22, 1
	s_lshl_b64 s[6:7], s[6:7], 2
	s_add_u32 s6, s18, s6
	s_addc_u32 s7, s19, s7
	s_load_dword s21, s[10:11], 0x0
	s_load_dword s9, s[6:7], 0x0
	s_lshl_b32 s26, s8, 8
	s_add_i32 s7, s26, 0x100
	s_waitcnt lgkmcnt(0)
	s_sub_i32 s6, s9, s21
	s_min_u32 s27, s6, s7
	s_cmp_gt_u32 s22, 23
	s_cbranch_scc1 .LBB62_14
; %bb.8:
	s_load_dword s6, s[4:5], 0x0
	s_load_dwordx8 s[8:15], s[4:5], 0x30
	s_lshl_b32 s28, 0x100, s22
	v_bfe_u32 v1, v0, 0, s22
	v_subrev_u32_e32 v18, s20, v1
	s_waitcnt lgkmcnt(0)
	s_bitcmp1_b32 s6, 0
	s_cselect_b64 vcc, -1, 0
	v_lshl_add_u32 v19, v0, 4, 0
	v_mov_b32_e32 v11, 0
	s_branch .LBB62_11
.LBB62_9:                               ;   in Loop: Header=BB62_11 Depth=1
	s_or_b64 exec, exec, s[24:25]
	ds_write2_b64 v19, v[12:13], v[14:15] offset1:1
.LBB62_10:                              ;   in Loop: Header=BB62_11 Depth=1
	s_or_b64 exec, exec, s[18:19]
	s_addk_i32 s23, 0x100
	s_cmp_ge_u32 s23, s28
	v_add_u32_e32 v19, 0x1000, v19
	s_cbranch_scc1 .LBB62_14
.LBB62_11:                              ; =>This Inner Loop Header: Depth=1
	v_add_u32_e32 v10, s23, v0
	v_lshrrev_b32_e32 v10, s22, v10
	v_add_u32_e32 v10, s26, v10
	v_cmp_gt_u32_e64 s[6:7], s27, v10
	s_and_saveexec_b64 s[18:19], s[6:7]
	s_cbranch_execz .LBB62_10
; %bb.12:                               ;   in Loop: Header=BB62_11 Depth=1
	v_add_u32_e32 v10, s21, v10
	v_lshlrev_b64 v[12:13], 2, v[10:11]
	v_mov_b32_e32 v10, s17
	v_add_co_u32_e64 v12, s[6:7], s16, v12
	v_addc_co_u32_e64 v13, s[6:7], v10, v13, s[6:7]
	global_load_dword v12, v[12:13], off
	v_mov_b32_e32 v10, s9
	s_waitcnt vmcnt(0)
	v_ashrrev_i32_e32 v13, 31, v12
	v_lshlrev_b64 v[12:13], 2, v[12:13]
	v_add_co_u32_e64 v12, s[6:7], s8, v12
	v_addc_co_u32_e64 v13, s[6:7], v10, v13, s[6:7]
	global_load_dwordx2 v[16:17], v[12:13], off
	v_pk_mov_b32 v[12:13], 0, 0
	v_pk_mov_b32 v[14:15], v[12:13], v[12:13] op_sel:[0,1]
	s_waitcnt vmcnt(0)
	v_sub_u32_e32 v10, v17, v16
	v_cmp_lt_u32_e64 s[6:7], v1, v10
	s_and_saveexec_b64 s[24:25], s[6:7]
	s_cbranch_execz .LBB62_9
; %bb.13:                               ;   in Loop: Header=BB62_11 Depth=1
	v_add_u32_e32 v10, v18, v16
	v_lshlrev_b64 v[12:13], 2, v[10:11]
	v_mov_b32_e32 v14, s11
	v_add_co_u32_e64 v12, s[6:7], s10, v12
	v_addc_co_u32_e64 v13, s[6:7], v14, v13, s[6:7]
	global_load_dword v16, v[12:13], off
	v_lshlrev_b64 v[12:13], 4, v[10:11]
	v_mov_b32_e32 v14, s13
	v_add_co_u32_e64 v12, s[6:7], s12, v12
	v_addc_co_u32_e64 v13, s[6:7], v14, v13, s[6:7]
	global_load_dwordx4 v[12:15], v[12:13], off
	v_mov_b32_e32 v20, s15
	s_waitcnt vmcnt(1)
	v_subrev_u32_e32 v16, s20, v16
	v_ashrrev_i32_e32 v17, 31, v16
	v_lshlrev_b64 v[16:17], 4, v[16:17]
	v_add_co_u32_e64 v16, s[6:7], s14, v16
	v_addc_co_u32_e64 v17, s[6:7], v20, v17, s[6:7]
	global_load_dwordx4 v[20:23], v[16:17], off
	s_waitcnt vmcnt(1)
	v_xor_b32_e32 v10, 0x80000000, v15
	v_cndmask_b32_e32 v15, v15, v10, vcc
	v_mul_f64 v[16:17], v[14:15], -v[8:9]
	v_mul_f64 v[24:25], v[2:3], v[14:15]
	v_fmac_f64_e32 v[16:17], v[2:3], v[12:13]
	v_fmac_f64_e32 v[24:25], v[8:9], v[12:13]
	s_waitcnt vmcnt(0)
	v_mul_f64 v[12:13], v[22:23], -v[24:25]
	v_mul_f64 v[14:15], v[16:17], v[22:23]
	v_fmac_f64_e32 v[12:13], v[16:17], v[20:21]
	v_fmac_f64_e32 v[14:15], v[24:25], v[20:21]
	s_branch .LBB62_9
.LBB62_14:
	s_sub_i32 s6, s27, s26
	v_cmp_gt_u32_e32 vcc, s6, v0
	s_waitcnt lgkmcnt(0)
	s_barrier
	s_and_b64 exec, exec, vcc
	s_cbranch_execz .LBB62_20
; %bb.15:
	s_add_i32 s21, s21, s26
	v_add_u32_e32 v2, s21, v0
	v_mov_b32_e32 v3, 0
	v_lshlrev_b64 v[2:3], 2, v[2:3]
	v_mov_b32_e32 v1, s17
	v_add_co_u32_e32 v2, vcc, s16, v2
	v_addc_co_u32_e32 v3, vcc, v1, v3, vcc
	global_load_dword v8, v[2:3], off
	s_load_dwordx2 s[6:7], s[4:5], 0x60
	v_lshlrev_b32_e32 v0, s22, v0
	v_pk_mov_b32 v[2:3], 0, 0
	v_lshl_add_u32 v9, v0, 4, 0
	s_mov_b32 s4, 1
	v_pk_mov_b32 v[0:1], v[2:3], v[2:3] op_sel:[0,1]
.LBB62_16:                              ; =>This Inner Loop Header: Depth=1
	ds_read2_b64 v[10:13], v9 offset1:1
	s_lshr_b32 s5, s4, s22
	s_add_i32 s4, s4, 1
	v_add_u32_e32 v9, 16, v9
	s_cmp_lg_u32 s5, 0
	s_waitcnt lgkmcnt(0)
	v_add_f64 v[0:1], v[0:1], v[10:11]
	v_add_f64 v[2:3], v[2:3], v[12:13]
	s_cbranch_scc0 .LBB62_16
; %bb.17:
	v_cmp_neq_f64_e32 vcc, 0, v[4:5]
	v_cmp_neq_f64_e64 s[4:5], 0, v[6:7]
	s_waitcnt vmcnt(0)
	v_ashrrev_i32_e32 v9, 31, v8
	s_or_b64 s[8:9], vcc, s[4:5]
	v_lshlrev_b64 v[8:9], 4, v[8:9]
	s_and_saveexec_b64 s[4:5], s[8:9]
	s_cbranch_execz .LBB62_19
; %bb.18:
	v_mov_b32_e32 v11, s7
	v_add_co_u32_e32 v10, vcc, s6, v8
	v_addc_co_u32_e32 v11, vcc, v11, v9, vcc
	global_load_dwordx4 v[10:13], v[10:11], off
	s_waitcnt vmcnt(0)
	v_fmac_f64_e32 v[0:1], v[4:5], v[10:11]
	v_fmac_f64_e32 v[2:3], v[6:7], v[10:11]
	v_fma_f64 v[0:1], -v[6:7], v[12:13], v[0:1]
	v_fmac_f64_e32 v[2:3], v[4:5], v[12:13]
.LBB62_19:
	s_or_b64 exec, exec, s[4:5]
	v_mov_b32_e32 v5, s7
	v_add_co_u32_e32 v4, vcc, s6, v8
	v_addc_co_u32_e32 v5, vcc, v5, v9, vcc
	global_store_dwordx4 v[4:5], v[0:3], off
.LBB62_20:
	s_endpgm
	.section	.rodata,"a",@progbits
	.p2align	6, 0x0
	.amdhsa_kernel _ZN9rocsparseL28csrmvn_lrb_short_rows_kernelIii21rocsparse_complex_numIdES2_S2_S2_EEvbT_PT0_S5_jNS_24const_host_device_scalarIT4_EEPKS3_PKS4_PKT1_PKT2_S8_PT3_21rocsparse_index_base_b
		.amdhsa_group_segment_fixed_size 0
		.amdhsa_private_segment_fixed_size 24
		.amdhsa_kernarg_size 112
		.amdhsa_user_sgpr_count 8
		.amdhsa_user_sgpr_private_segment_buffer 1
		.amdhsa_user_sgpr_dispatch_ptr 0
		.amdhsa_user_sgpr_queue_ptr 0
		.amdhsa_user_sgpr_kernarg_segment_ptr 1
		.amdhsa_user_sgpr_dispatch_id 0
		.amdhsa_user_sgpr_flat_scratch_init 1
		.amdhsa_user_sgpr_kernarg_preload_length 0
		.amdhsa_user_sgpr_kernarg_preload_offset 0
		.amdhsa_user_sgpr_private_segment_size 0
		.amdhsa_uses_dynamic_stack 0
		.amdhsa_system_sgpr_private_segment_wavefront_offset 1
		.amdhsa_system_sgpr_workgroup_id_x 1
		.amdhsa_system_sgpr_workgroup_id_y 0
		.amdhsa_system_sgpr_workgroup_id_z 0
		.amdhsa_system_sgpr_workgroup_info 0
		.amdhsa_system_vgpr_workitem_id 0
		.amdhsa_next_free_vgpr 26
		.amdhsa_next_free_sgpr 29
		.amdhsa_accum_offset 28
		.amdhsa_reserve_vcc 1
		.amdhsa_reserve_flat_scratch 1
		.amdhsa_float_round_mode_32 0
		.amdhsa_float_round_mode_16_64 0
		.amdhsa_float_denorm_mode_32 3
		.amdhsa_float_denorm_mode_16_64 3
		.amdhsa_dx10_clamp 1
		.amdhsa_ieee_mode 1
		.amdhsa_fp16_overflow 0
		.amdhsa_tg_split 0
		.amdhsa_exception_fp_ieee_invalid_op 0
		.amdhsa_exception_fp_denorm_src 0
		.amdhsa_exception_fp_ieee_div_zero 0
		.amdhsa_exception_fp_ieee_overflow 0
		.amdhsa_exception_fp_ieee_underflow 0
		.amdhsa_exception_fp_ieee_inexact 0
		.amdhsa_exception_int_div_zero 0
	.end_amdhsa_kernel
	.section	.text._ZN9rocsparseL28csrmvn_lrb_short_rows_kernelIii21rocsparse_complex_numIdES2_S2_S2_EEvbT_PT0_S5_jNS_24const_host_device_scalarIT4_EEPKS3_PKS4_PKT1_PKT2_S8_PT3_21rocsparse_index_base_b,"axG",@progbits,_ZN9rocsparseL28csrmvn_lrb_short_rows_kernelIii21rocsparse_complex_numIdES2_S2_S2_EEvbT_PT0_S5_jNS_24const_host_device_scalarIT4_EEPKS3_PKS4_PKT1_PKT2_S8_PT3_21rocsparse_index_base_b,comdat
.Lfunc_end62:
	.size	_ZN9rocsparseL28csrmvn_lrb_short_rows_kernelIii21rocsparse_complex_numIdES2_S2_S2_EEvbT_PT0_S5_jNS_24const_host_device_scalarIT4_EEPKS3_PKS4_PKT1_PKT2_S8_PT3_21rocsparse_index_base_b, .Lfunc_end62-_ZN9rocsparseL28csrmvn_lrb_short_rows_kernelIii21rocsparse_complex_numIdES2_S2_S2_EEvbT_PT0_S5_jNS_24const_host_device_scalarIT4_EEPKS3_PKS4_PKT1_PKT2_S8_PT3_21rocsparse_index_base_b
                                        ; -- End function
	.section	.AMDGPU.csdata,"",@progbits
; Kernel info:
; codeLenInByte = 1112
; NumSgprs: 35
; NumVgprs: 26
; NumAgprs: 0
; TotalNumVgprs: 26
; ScratchSize: 24
; MemoryBound: 0
; FloatMode: 240
; IeeeMode: 1
; LDSByteSize: 0 bytes/workgroup (compile time only)
; SGPRBlocks: 4
; VGPRBlocks: 3
; NumSGPRsForWavesPerEU: 35
; NumVGPRsForWavesPerEU: 26
; AccumOffset: 28
; Occupancy: 8
; WaveLimiterHint : 1
; COMPUTE_PGM_RSRC2:SCRATCH_EN: 1
; COMPUTE_PGM_RSRC2:USER_SGPR: 8
; COMPUTE_PGM_RSRC2:TRAP_HANDLER: 0
; COMPUTE_PGM_RSRC2:TGID_X_EN: 1
; COMPUTE_PGM_RSRC2:TGID_Y_EN: 0
; COMPUTE_PGM_RSRC2:TGID_Z_EN: 0
; COMPUTE_PGM_RSRC2:TIDIG_COMP_CNT: 0
; COMPUTE_PGM_RSRC3_GFX90A:ACCUM_OFFSET: 6
; COMPUTE_PGM_RSRC3_GFX90A:TG_SPLIT: 0
	.section	.text._ZN9rocsparseL30csrmvn_lrb_short_rows_2_kernelIii21rocsparse_complex_numIdES2_S2_S2_EEvbT_PT0_S5_jNS_24const_host_device_scalarIT4_EEPKS3_PKS4_PKT1_PKT2_S8_PT3_21rocsparse_index_base_b,"axG",@progbits,_ZN9rocsparseL30csrmvn_lrb_short_rows_2_kernelIii21rocsparse_complex_numIdES2_S2_S2_EEvbT_PT0_S5_jNS_24const_host_device_scalarIT4_EEPKS3_PKS4_PKT1_PKT2_S8_PT3_21rocsparse_index_base_b,comdat
	.globl	_ZN9rocsparseL30csrmvn_lrb_short_rows_2_kernelIii21rocsparse_complex_numIdES2_S2_S2_EEvbT_PT0_S5_jNS_24const_host_device_scalarIT4_EEPKS3_PKS4_PKT1_PKT2_S8_PT3_21rocsparse_index_base_b ; -- Begin function _ZN9rocsparseL30csrmvn_lrb_short_rows_2_kernelIii21rocsparse_complex_numIdES2_S2_S2_EEvbT_PT0_S5_jNS_24const_host_device_scalarIT4_EEPKS3_PKS4_PKT1_PKT2_S8_PT3_21rocsparse_index_base_b
	.p2align	8
	.type	_ZN9rocsparseL30csrmvn_lrb_short_rows_2_kernelIii21rocsparse_complex_numIdES2_S2_S2_EEvbT_PT0_S5_jNS_24const_host_device_scalarIT4_EEPKS3_PKS4_PKT1_PKT2_S8_PT3_21rocsparse_index_base_b,@function
_ZN9rocsparseL30csrmvn_lrb_short_rows_2_kernelIii21rocsparse_complex_numIdES2_S2_S2_EEvbT_PT0_S5_jNS_24const_host_device_scalarIT4_EEPKS3_PKS4_PKT1_PKT2_S8_PT3_21rocsparse_index_base_b: ; @_ZN9rocsparseL30csrmvn_lrb_short_rows_2_kernelIii21rocsparse_complex_numIdES2_S2_S2_EEvbT_PT0_S5_jNS_24const_host_device_scalarIT4_EEPKS3_PKS4_PKT1_PKT2_S8_PT3_21rocsparse_index_base_b
; %bb.0:
	s_add_u32 flat_scratch_lo, s6, s9
	s_load_dwordx2 s[24:25], s[4:5], 0x68
	s_load_dwordx4 s[16:19], s[4:5], 0x20
	s_addc_u32 flat_scratch_hi, s7, 0
	s_add_u32 s0, s0, s9
	s_load_dwordx4 s[12:15], s[4:5], 0x50
	s_addc_u32 s1, s1, 0
	s_waitcnt lgkmcnt(0)
	s_bitcmp1_b32 s25, 0
	v_mov_b32_e32 v1, 0
	v_mov_b32_e32 v3, s16
	s_cselect_b64 s[6:7], -1, 0
	v_cndmask_b32_e64 v2, v3, v1, s[6:7]
	v_mov_b32_e32 v1, s17
	s_mov_b64 s[10:11], src_private_base
	s_and_b64 vcc, s[6:7], exec
	buffer_store_dword v1, off, s[0:3], 0 offset:4
	buffer_store_dword v3, off, s[0:3], 0
	v_mov_b32_e32 v1, s13
	s_cselect_b32 s9, s11, s17
	buffer_store_dword v1, off, s[0:3], 0 offset:12
	v_mov_b32_e32 v1, s12
	buffer_store_dword v1, off, s[0:3], 0 offset:8
	v_mov_b32_e32 v3, s9
	flat_load_dwordx2 v[10:11], v[2:3]
	s_xor_b64 s[20:21], s[6:7], -1
	v_pk_mov_b32 v[12:13], s[18:19], s[18:19] op_sel:[0,1]
	s_cbranch_vccnz .LBB63_2
; %bb.1:
	v_pk_mov_b32 v[2:3], s[16:17], s[16:17] op_sel:[0,1]
	flat_load_dwordx2 v[12:13], v[2:3] offset:8
.LBB63_2:
	s_and_b64 s[16:17], s[6:7], exec
	s_cselect_b32 s9, s11, s13
	v_mov_b32_e32 v1, 8
	v_mov_b32_e32 v2, s12
	v_cndmask_b32_e64 v2, v2, v1, s[6:7]
	v_mov_b32_e32 v3, s9
	flat_load_dwordx2 v[6:7], v[2:3]
	s_andn2_b64 vcc, exec, s[20:21]
	v_pk_mov_b32 v[8:9], s[14:15], s[14:15] op_sel:[0,1]
	s_cbranch_vccnz .LBB63_4
; %bb.3:
	v_pk_mov_b32 v[2:3], s[12:13], s[12:13] op_sel:[0,1]
	flat_load_dwordx2 v[8:9], v[2:3] offset:8
.LBB63_4:
	s_waitcnt vmcnt(0) lgkmcnt(0)
	v_cmp_eq_f64_e32 vcc, 0, v[10:11]
	v_cmp_eq_f64_e64 s[6:7], 0, v[12:13]
	s_and_b64 s[12:13], vcc, s[6:7]
	s_mov_b64 s[6:7], -1
	s_and_saveexec_b64 s[10:11], s[12:13]
; %bb.5:
	v_cmp_neq_f64_e32 vcc, 1.0, v[6:7]
	v_cmp_neq_f64_e64 s[6:7], 0, v[8:9]
	s_or_b64 s[6:7], vcc, s[6:7]
	s_orn2_b64 s[6:7], s[6:7], exec
; %bb.6:
	s_or_b64 exec, exec, s[10:11]
	s_and_saveexec_b64 s[10:11], s[6:7]
	s_cbranch_execz .LBB63_32
; %bb.7:
	s_load_dword s6, s[4:5], 0x18
	s_load_dword s9, s[4:5], 0x0
	s_load_dwordx4 s[20:23], s[4:5], 0x8
	s_mov_b32 s7, 0
	s_waitcnt lgkmcnt(0)
	v_lshrrev_b32_e32 v2, s6, v0
	s_bitcmp1_b32 s9, 0
	s_cselect_b64 vcc, -1, 0
	s_lshl_b64 s[10:11], s[6:7], 2
	s_add_u32 s26, s22, s10
	s_addc_u32 s27, s23, s11
	s_add_i32 s10, s6, 1
	s_mov_b32 s11, s7
	s_lshl_b64 s[10:11], s[10:11], 2
	s_add_u32 s22, s22, s10
	s_addc_u32 s23, s23, s11
	s_load_dword s25, s[26:27], 0x0
	s_load_dword s7, s[22:23], 0x0
	s_load_dwordx2 s[10:11], s[4:5], 0x60
	s_load_dwordx8 s[12:19], s[4:5], 0x30
	v_bfe_u32 v18, v0, 0, s6
	v_subrev_u32_e32 v1, s24, v18
	s_waitcnt lgkmcnt(0)
	s_sub_i32 s4, s7, s25
	s_lshr_b32 s7, 0x400, s6
	s_mul_i32 s26, s7, s8
	s_add_i32 s5, s26, s7
	s_min_u32 s27, s4, s5
	v_add_u32_e32 v2, s26, v2
	v_cmp_gt_u32_e64 s[4:5], s27, v2
	s_and_saveexec_b64 s[8:9], s[4:5]
	s_cbranch_execz .LBB63_11
; %bb.8:
	v_add_u32_e32 v14, s25, v2
	v_mov_b32_e32 v15, 0
	v_lshlrev_b64 v[2:3], 2, v[14:15]
	v_mov_b32_e32 v4, s21
	v_add_co_u32_e64 v2, s[4:5], s20, v2
	v_addc_co_u32_e64 v3, s[4:5], v4, v3, s[4:5]
	global_load_dword v2, v[2:3], off
	v_mov_b32_e32 v4, s13
	s_waitcnt vmcnt(0)
	v_ashrrev_i32_e32 v3, 31, v2
	v_lshlrev_b64 v[2:3], 2, v[2:3]
	v_add_co_u32_e64 v2, s[4:5], s12, v2
	v_addc_co_u32_e64 v3, s[4:5], v4, v3, s[4:5]
	global_load_dwordx2 v[16:17], v[2:3], off
	v_pk_mov_b32 v[2:3], 0, 0
	s_waitcnt vmcnt(0)
	v_sub_u32_e32 v4, v17, v16
	v_cmp_lt_u32_e64 s[4:5], v18, v4
	v_pk_mov_b32 v[4:5], v[2:3], v[2:3] op_sel:[0,1]
	s_and_saveexec_b64 s[22:23], s[4:5]
	s_cbranch_execz .LBB63_10
; %bb.9:
	v_add_u32_e32 v14, v16, v1
	v_lshlrev_b64 v[2:3], 2, v[14:15]
	v_mov_b32_e32 v4, s15
	v_add_co_u32_e64 v2, s[4:5], s14, v2
	v_addc_co_u32_e64 v3, s[4:5], v4, v3, s[4:5]
	global_load_dword v16, v[2:3], off
	v_lshlrev_b64 v[2:3], 4, v[14:15]
	v_mov_b32_e32 v4, s17
	v_add_co_u32_e64 v2, s[4:5], s16, v2
	v_addc_co_u32_e64 v3, s[4:5], v4, v3, s[4:5]
	global_load_dwordx4 v[2:5], v[2:3], off
	v_mov_b32_e32 v17, s19
	s_waitcnt vmcnt(1)
	v_subrev_u32_e32 v14, s24, v16
	v_ashrrev_i32_e32 v15, 31, v14
	v_lshlrev_b64 v[14:15], 4, v[14:15]
	v_add_co_u32_e64 v14, s[4:5], s18, v14
	v_addc_co_u32_e64 v15, s[4:5], v17, v15, s[4:5]
	global_load_dwordx4 v[14:17], v[14:15], off
	s_waitcnt vmcnt(1)
	v_xor_b32_e32 v19, 0x80000000, v5
	v_cndmask_b32_e32 v5, v5, v19, vcc
	v_mul_f64 v[20:21], v[4:5], -v[12:13]
	v_mul_f64 v[22:23], v[10:11], v[4:5]
	v_fmac_f64_e32 v[20:21], v[10:11], v[2:3]
	v_fmac_f64_e32 v[22:23], v[12:13], v[2:3]
	s_waitcnt vmcnt(0)
	v_mul_f64 v[2:3], v[16:17], -v[22:23]
	v_mul_f64 v[4:5], v[20:21], v[16:17]
	v_fmac_f64_e32 v[2:3], v[20:21], v[14:15]
	v_fmac_f64_e32 v[4:5], v[22:23], v[14:15]
.LBB63_10:
	s_or_b64 exec, exec, s[22:23]
	v_lshlrev_b32_e32 v14, 4, v0
	ds_write_b128 v14, v[2:5]
.LBB63_11:
	s_or_b64 exec, exec, s[8:9]
	v_or_b32_e32 v2, 0x100, v0
	v_lshrrev_b32_e32 v2, s6, v2
	v_add_u32_e32 v2, s26, v2
	v_cmp_gt_u32_e64 s[4:5], s27, v2
	s_and_saveexec_b64 s[8:9], s[4:5]
	s_cbranch_execz .LBB63_15
; %bb.12:
	v_add_u32_e32 v14, s25, v2
	v_mov_b32_e32 v15, 0
	v_lshlrev_b64 v[2:3], 2, v[14:15]
	v_mov_b32_e32 v4, s21
	v_add_co_u32_e64 v2, s[4:5], s20, v2
	v_addc_co_u32_e64 v3, s[4:5], v4, v3, s[4:5]
	global_load_dword v2, v[2:3], off
	v_mov_b32_e32 v4, s13
	s_waitcnt vmcnt(0)
	v_ashrrev_i32_e32 v3, 31, v2
	v_lshlrev_b64 v[2:3], 2, v[2:3]
	v_add_co_u32_e64 v2, s[4:5], s12, v2
	v_addc_co_u32_e64 v3, s[4:5], v4, v3, s[4:5]
	global_load_dwordx2 v[16:17], v[2:3], off
	v_pk_mov_b32 v[2:3], 0, 0
	s_waitcnt vmcnt(0)
	v_sub_u32_e32 v4, v17, v16
	v_cmp_lt_u32_e64 s[4:5], v18, v4
	v_pk_mov_b32 v[4:5], v[2:3], v[2:3] op_sel:[0,1]
	s_and_saveexec_b64 s[22:23], s[4:5]
	s_cbranch_execz .LBB63_14
; %bb.13:
	v_add_u32_e32 v14, v16, v1
	v_lshlrev_b64 v[2:3], 2, v[14:15]
	v_mov_b32_e32 v4, s15
	v_add_co_u32_e64 v2, s[4:5], s14, v2
	v_addc_co_u32_e64 v3, s[4:5], v4, v3, s[4:5]
	global_load_dword v16, v[2:3], off
	v_lshlrev_b64 v[2:3], 4, v[14:15]
	v_mov_b32_e32 v4, s17
	v_add_co_u32_e64 v2, s[4:5], s16, v2
	v_addc_co_u32_e64 v3, s[4:5], v4, v3, s[4:5]
	global_load_dwordx4 v[2:5], v[2:3], off
	v_mov_b32_e32 v17, s19
	s_waitcnt vmcnt(1)
	v_subrev_u32_e32 v14, s24, v16
	v_ashrrev_i32_e32 v15, 31, v14
	v_lshlrev_b64 v[14:15], 4, v[14:15]
	v_add_co_u32_e64 v14, s[4:5], s18, v14
	v_addc_co_u32_e64 v15, s[4:5], v17, v15, s[4:5]
	global_load_dwordx4 v[14:17], v[14:15], off
	s_waitcnt vmcnt(1)
	v_xor_b32_e32 v19, 0x80000000, v5
	v_cndmask_b32_e32 v5, v5, v19, vcc
	v_mul_f64 v[20:21], v[4:5], -v[12:13]
	v_mul_f64 v[22:23], v[10:11], v[4:5]
	v_fmac_f64_e32 v[20:21], v[10:11], v[2:3]
	v_fmac_f64_e32 v[22:23], v[12:13], v[2:3]
	s_waitcnt vmcnt(0)
	v_mul_f64 v[2:3], v[16:17], -v[22:23]
	v_mul_f64 v[4:5], v[20:21], v[16:17]
	v_fmac_f64_e32 v[2:3], v[20:21], v[14:15]
	v_fmac_f64_e32 v[4:5], v[22:23], v[14:15]
.LBB63_14:
	s_or_b64 exec, exec, s[22:23]
	v_lshlrev_b32_e32 v14, 4, v0
	ds_write_b128 v14, v[2:5] offset:4096
.LBB63_15:
	s_or_b64 exec, exec, s[8:9]
	v_or_b32_e32 v2, 0x200, v0
	v_lshrrev_b32_e32 v2, s6, v2
	v_add_u32_e32 v2, s26, v2
	v_cmp_gt_u32_e64 s[4:5], s27, v2
	s_and_saveexec_b64 s[8:9], s[4:5]
	s_cbranch_execz .LBB63_19
; %bb.16:
	v_add_u32_e32 v14, s25, v2
	v_mov_b32_e32 v15, 0
	v_lshlrev_b64 v[2:3], 2, v[14:15]
	v_mov_b32_e32 v4, s21
	v_add_co_u32_e64 v2, s[4:5], s20, v2
	v_addc_co_u32_e64 v3, s[4:5], v4, v3, s[4:5]
	global_load_dword v2, v[2:3], off
	v_mov_b32_e32 v4, s13
	s_waitcnt vmcnt(0)
	v_ashrrev_i32_e32 v3, 31, v2
	v_lshlrev_b64 v[2:3], 2, v[2:3]
	v_add_co_u32_e64 v2, s[4:5], s12, v2
	v_addc_co_u32_e64 v3, s[4:5], v4, v3, s[4:5]
	global_load_dwordx2 v[16:17], v[2:3], off
	v_pk_mov_b32 v[2:3], 0, 0
	s_waitcnt vmcnt(0)
	v_sub_u32_e32 v4, v17, v16
	v_cmp_lt_u32_e64 s[4:5], v18, v4
	v_pk_mov_b32 v[4:5], v[2:3], v[2:3] op_sel:[0,1]
	s_and_saveexec_b64 s[22:23], s[4:5]
	s_cbranch_execz .LBB63_18
; %bb.17:
	v_add_u32_e32 v14, v16, v1
	v_lshlrev_b64 v[2:3], 2, v[14:15]
	v_mov_b32_e32 v4, s15
	v_add_co_u32_e64 v2, s[4:5], s14, v2
	v_addc_co_u32_e64 v3, s[4:5], v4, v3, s[4:5]
	global_load_dword v16, v[2:3], off
	v_lshlrev_b64 v[2:3], 4, v[14:15]
	v_mov_b32_e32 v4, s17
	v_add_co_u32_e64 v2, s[4:5], s16, v2
	v_addc_co_u32_e64 v3, s[4:5], v4, v3, s[4:5]
	global_load_dwordx4 v[2:5], v[2:3], off
	v_mov_b32_e32 v17, s19
	s_waitcnt vmcnt(1)
	v_subrev_u32_e32 v14, s24, v16
	v_ashrrev_i32_e32 v15, 31, v14
	v_lshlrev_b64 v[14:15], 4, v[14:15]
	v_add_co_u32_e64 v14, s[4:5], s18, v14
	v_addc_co_u32_e64 v15, s[4:5], v17, v15, s[4:5]
	global_load_dwordx4 v[14:17], v[14:15], off
	s_waitcnt vmcnt(1)
	v_xor_b32_e32 v19, 0x80000000, v5
	v_cndmask_b32_e32 v5, v5, v19, vcc
	v_mul_f64 v[20:21], v[4:5], -v[12:13]
	v_mul_f64 v[22:23], v[10:11], v[4:5]
	v_fmac_f64_e32 v[20:21], v[10:11], v[2:3]
	v_fmac_f64_e32 v[22:23], v[12:13], v[2:3]
	s_waitcnt vmcnt(0)
	v_mul_f64 v[2:3], v[16:17], -v[22:23]
	v_mul_f64 v[4:5], v[20:21], v[16:17]
	v_fmac_f64_e32 v[2:3], v[20:21], v[14:15]
	v_fmac_f64_e32 v[4:5], v[22:23], v[14:15]
.LBB63_18:
	s_or_b64 exec, exec, s[22:23]
	v_lshlrev_b32_e32 v14, 4, v0
	ds_write_b128 v14, v[2:5] offset:8192
.LBB63_19:
	s_or_b64 exec, exec, s[8:9]
	v_or_b32_e32 v2, 0x300, v0
	v_lshrrev_b32_e32 v2, s6, v2
	v_add_u32_e32 v2, s26, v2
	v_cmp_gt_u32_e64 s[4:5], s27, v2
	s_and_saveexec_b64 s[8:9], s[4:5]
	s_cbranch_execz .LBB63_23
; %bb.20:
	v_add_u32_e32 v14, s25, v2
	v_mov_b32_e32 v15, 0
	v_lshlrev_b64 v[2:3], 2, v[14:15]
	v_mov_b32_e32 v4, s21
	v_add_co_u32_e64 v2, s[4:5], s20, v2
	v_addc_co_u32_e64 v3, s[4:5], v4, v3, s[4:5]
	global_load_dword v2, v[2:3], off
	v_mov_b32_e32 v4, s13
	s_waitcnt vmcnt(0)
	v_ashrrev_i32_e32 v3, 31, v2
	v_lshlrev_b64 v[2:3], 2, v[2:3]
	v_add_co_u32_e64 v2, s[4:5], s12, v2
	v_addc_co_u32_e64 v3, s[4:5], v4, v3, s[4:5]
	global_load_dwordx2 v[16:17], v[2:3], off
	v_pk_mov_b32 v[2:3], 0, 0
	s_waitcnt vmcnt(0)
	v_sub_u32_e32 v4, v17, v16
	v_cmp_lt_u32_e64 s[4:5], v18, v4
	v_pk_mov_b32 v[4:5], v[2:3], v[2:3] op_sel:[0,1]
	s_and_saveexec_b64 s[12:13], s[4:5]
	s_cbranch_execz .LBB63_22
; %bb.21:
	v_add_u32_e32 v14, v16, v1
	v_lshlrev_b64 v[2:3], 2, v[14:15]
	v_mov_b32_e32 v1, s15
	v_add_co_u32_e64 v2, s[4:5], s14, v2
	v_addc_co_u32_e64 v3, s[4:5], v1, v3, s[4:5]
	global_load_dword v1, v[2:3], off
	v_lshlrev_b64 v[2:3], 4, v[14:15]
	v_mov_b32_e32 v4, s17
	v_add_co_u32_e64 v2, s[4:5], s16, v2
	v_addc_co_u32_e64 v3, s[4:5], v4, v3, s[4:5]
	global_load_dwordx4 v[2:5], v[2:3], off
	v_mov_b32_e32 v16, s19
	s_waitcnt vmcnt(1)
	v_subrev_u32_e32 v14, s24, v1
	v_ashrrev_i32_e32 v15, 31, v14
	v_lshlrev_b64 v[14:15], 4, v[14:15]
	v_add_co_u32_e64 v14, s[4:5], s18, v14
	v_addc_co_u32_e64 v15, s[4:5], v16, v15, s[4:5]
	global_load_dwordx4 v[14:17], v[14:15], off
	s_waitcnt vmcnt(1)
	v_xor_b32_e32 v1, 0x80000000, v5
	v_cndmask_b32_e32 v5, v5, v1, vcc
	v_mul_f64 v[18:19], v[4:5], -v[12:13]
	v_mul_f64 v[20:21], v[10:11], v[4:5]
	v_fmac_f64_e32 v[18:19], v[10:11], v[2:3]
	v_fmac_f64_e32 v[20:21], v[12:13], v[2:3]
	s_waitcnt vmcnt(0)
	v_mul_f64 v[2:3], v[16:17], -v[20:21]
	v_mul_f64 v[4:5], v[18:19], v[16:17]
	v_fmac_f64_e32 v[2:3], v[18:19], v[14:15]
	v_fmac_f64_e32 v[4:5], v[20:21], v[14:15]
.LBB63_22:
	s_or_b64 exec, exec, s[12:13]
	v_lshlrev_b32_e32 v1, 4, v0
	ds_write_b128 v1, v[2:5] offset:12288
.LBB63_23:
	s_or_b64 exec, exec, s[8:9]
	s_cmp_lt_u32 s6, 11
	s_waitcnt lgkmcnt(0)
	s_barrier
	s_cbranch_scc0 .LBB63_32
; %bb.24:
	v_cmp_neq_f64_e32 vcc, 0, v[6:7]
	v_cmp_neq_f64_e64 s[4:5], 0, v[8:9]
	s_sub_i32 s14, s27, s26
	s_add_i32 s25, s25, s26
	s_or_b64 s[4:5], vcc, s[4:5]
	s_mov_b32 s15, 0
	v_mov_b32_e32 v11, 0
	s_branch .LBB63_27
.LBB63_25:                              ;   in Loop: Header=BB63_27 Depth=1
	s_or_b64 exec, exec, s[12:13]
	v_mov_b32_e32 v1, s11
	v_add_co_u32_e32 v12, vcc, s10, v12
	v_addc_co_u32_e32 v13, vcc, v1, v13, vcc
	global_store_dwordx4 v[12:13], v[2:5], off
.LBB63_26:                              ;   in Loop: Header=BB63_27 Depth=1
	s_or_b64 exec, exec, s[8:9]
	s_addk_i32 s15, 0x100
	s_cmp_lt_u32 s15, s7
	s_cbranch_scc0 .LBB63_32
.LBB63_27:                              ; =>This Loop Header: Depth=1
                                        ;     Child Loop BB63_29 Depth 2
	v_add_u32_e32 v1, s15, v0
	v_cmp_gt_u32_e32 vcc, s14, v1
	s_and_saveexec_b64 s[8:9], vcc
	s_cbranch_execz .LBB63_26
; %bb.28:                               ;   in Loop: Header=BB63_27 Depth=1
	v_add_u32_e32 v10, s25, v1
	v_lshlrev_b64 v[2:3], 2, v[10:11]
	v_mov_b32_e32 v4, s21
	v_add_co_u32_e32 v2, vcc, s20, v2
	v_addc_co_u32_e32 v3, vcc, v4, v3, vcc
	global_load_dword v12, v[2:3], off
	v_lshlrev_b32_e32 v1, s6, v1
	v_pk_mov_b32 v[4:5], 0, 0
	v_lshlrev_b32_e32 v1, 4, v1
	s_mov_b32 s12, 1
	v_pk_mov_b32 v[2:3], v[4:5], v[4:5] op_sel:[0,1]
.LBB63_29:                              ;   Parent Loop BB63_27 Depth=1
                                        ; =>  This Inner Loop Header: Depth=2
	ds_read_b128 v[14:17], v1
	s_lshr_b32 s13, s12, s6
	s_add_i32 s12, s12, 1
	v_add_u32_e32 v1, 16, v1
	s_cmp_lg_u32 s13, 0
	s_waitcnt lgkmcnt(0)
	v_add_f64 v[2:3], v[2:3], v[14:15]
	v_add_f64 v[4:5], v[4:5], v[16:17]
	s_cbranch_scc0 .LBB63_29
; %bb.30:                               ;   in Loop: Header=BB63_27 Depth=1
	s_waitcnt vmcnt(0)
	v_ashrrev_i32_e32 v13, 31, v12
	v_lshlrev_b64 v[12:13], 4, v[12:13]
	s_and_saveexec_b64 s[12:13], s[4:5]
	s_cbranch_execz .LBB63_25
; %bb.31:                               ;   in Loop: Header=BB63_27 Depth=1
	v_mov_b32_e32 v1, s11
	v_add_co_u32_e32 v14, vcc, s10, v12
	v_addc_co_u32_e32 v15, vcc, v1, v13, vcc
	global_load_dwordx4 v[14:17], v[14:15], off
	s_waitcnt vmcnt(0)
	v_fmac_f64_e32 v[2:3], v[6:7], v[14:15]
	v_fmac_f64_e32 v[4:5], v[8:9], v[14:15]
	v_fma_f64 v[2:3], -v[8:9], v[16:17], v[2:3]
	v_fmac_f64_e32 v[4:5], v[6:7], v[16:17]
	s_branch .LBB63_25
.LBB63_32:
	s_endpgm
	.section	.rodata,"a",@progbits
	.p2align	6, 0x0
	.amdhsa_kernel _ZN9rocsparseL30csrmvn_lrb_short_rows_2_kernelIii21rocsparse_complex_numIdES2_S2_S2_EEvbT_PT0_S5_jNS_24const_host_device_scalarIT4_EEPKS3_PKS4_PKT1_PKT2_S8_PT3_21rocsparse_index_base_b
		.amdhsa_group_segment_fixed_size 16384
		.amdhsa_private_segment_fixed_size 24
		.amdhsa_kernarg_size 112
		.amdhsa_user_sgpr_count 8
		.amdhsa_user_sgpr_private_segment_buffer 1
		.amdhsa_user_sgpr_dispatch_ptr 0
		.amdhsa_user_sgpr_queue_ptr 0
		.amdhsa_user_sgpr_kernarg_segment_ptr 1
		.amdhsa_user_sgpr_dispatch_id 0
		.amdhsa_user_sgpr_flat_scratch_init 1
		.amdhsa_user_sgpr_kernarg_preload_length 0
		.amdhsa_user_sgpr_kernarg_preload_offset 0
		.amdhsa_user_sgpr_private_segment_size 0
		.amdhsa_uses_dynamic_stack 0
		.amdhsa_system_sgpr_private_segment_wavefront_offset 1
		.amdhsa_system_sgpr_workgroup_id_x 1
		.amdhsa_system_sgpr_workgroup_id_y 0
		.amdhsa_system_sgpr_workgroup_id_z 0
		.amdhsa_system_sgpr_workgroup_info 0
		.amdhsa_system_vgpr_workitem_id 0
		.amdhsa_next_free_vgpr 24
		.amdhsa_next_free_sgpr 28
		.amdhsa_accum_offset 24
		.amdhsa_reserve_vcc 1
		.amdhsa_reserve_flat_scratch 1
		.amdhsa_float_round_mode_32 0
		.amdhsa_float_round_mode_16_64 0
		.amdhsa_float_denorm_mode_32 3
		.amdhsa_float_denorm_mode_16_64 3
		.amdhsa_dx10_clamp 1
		.amdhsa_ieee_mode 1
		.amdhsa_fp16_overflow 0
		.amdhsa_tg_split 0
		.amdhsa_exception_fp_ieee_invalid_op 0
		.amdhsa_exception_fp_denorm_src 0
		.amdhsa_exception_fp_ieee_div_zero 0
		.amdhsa_exception_fp_ieee_overflow 0
		.amdhsa_exception_fp_ieee_underflow 0
		.amdhsa_exception_fp_ieee_inexact 0
		.amdhsa_exception_int_div_zero 0
	.end_amdhsa_kernel
	.section	.text._ZN9rocsparseL30csrmvn_lrb_short_rows_2_kernelIii21rocsparse_complex_numIdES2_S2_S2_EEvbT_PT0_S5_jNS_24const_host_device_scalarIT4_EEPKS3_PKS4_PKT1_PKT2_S8_PT3_21rocsparse_index_base_b,"axG",@progbits,_ZN9rocsparseL30csrmvn_lrb_short_rows_2_kernelIii21rocsparse_complex_numIdES2_S2_S2_EEvbT_PT0_S5_jNS_24const_host_device_scalarIT4_EEPKS3_PKS4_PKT1_PKT2_S8_PT3_21rocsparse_index_base_b,comdat
.Lfunc_end63:
	.size	_ZN9rocsparseL30csrmvn_lrb_short_rows_2_kernelIii21rocsparse_complex_numIdES2_S2_S2_EEvbT_PT0_S5_jNS_24const_host_device_scalarIT4_EEPKS3_PKS4_PKT1_PKT2_S8_PT3_21rocsparse_index_base_b, .Lfunc_end63-_ZN9rocsparseL30csrmvn_lrb_short_rows_2_kernelIii21rocsparse_complex_numIdES2_S2_S2_EEvbT_PT0_S5_jNS_24const_host_device_scalarIT4_EEPKS3_PKS4_PKT1_PKT2_S8_PT3_21rocsparse_index_base_b
                                        ; -- End function
	.section	.AMDGPU.csdata,"",@progbits
; Kernel info:
; codeLenInByte = 2212
; NumSgprs: 34
; NumVgprs: 24
; NumAgprs: 0
; TotalNumVgprs: 24
; ScratchSize: 24
; MemoryBound: 0
; FloatMode: 240
; IeeeMode: 1
; LDSByteSize: 16384 bytes/workgroup (compile time only)
; SGPRBlocks: 4
; VGPRBlocks: 2
; NumSGPRsForWavesPerEU: 34
; NumVGPRsForWavesPerEU: 24
; AccumOffset: 24
; Occupancy: 4
; WaveLimiterHint : 1
; COMPUTE_PGM_RSRC2:SCRATCH_EN: 1
; COMPUTE_PGM_RSRC2:USER_SGPR: 8
; COMPUTE_PGM_RSRC2:TRAP_HANDLER: 0
; COMPUTE_PGM_RSRC2:TGID_X_EN: 1
; COMPUTE_PGM_RSRC2:TGID_Y_EN: 0
; COMPUTE_PGM_RSRC2:TGID_Z_EN: 0
; COMPUTE_PGM_RSRC2:TIDIG_COMP_CNT: 0
; COMPUTE_PGM_RSRC3_GFX90A:ACCUM_OFFSET: 5
; COMPUTE_PGM_RSRC3_GFX90A:TG_SPLIT: 0
	.section	.text._ZN9rocsparseL41csrmvn_lrb_medium_rows_warp_reduce_kernelILj256ELj32Eii21rocsparse_complex_numIdES2_S2_S2_EEvbT1_lPT2_S5_jNS_24const_host_device_scalarIT6_EEPKS3_PKS4_PKT3_PKT4_S8_PT5_21rocsparse_index_base_b,"axG",@progbits,_ZN9rocsparseL41csrmvn_lrb_medium_rows_warp_reduce_kernelILj256ELj32Eii21rocsparse_complex_numIdES2_S2_S2_EEvbT1_lPT2_S5_jNS_24const_host_device_scalarIT6_EEPKS3_PKS4_PKT3_PKT4_S8_PT5_21rocsparse_index_base_b,comdat
	.globl	_ZN9rocsparseL41csrmvn_lrb_medium_rows_warp_reduce_kernelILj256ELj32Eii21rocsparse_complex_numIdES2_S2_S2_EEvbT1_lPT2_S5_jNS_24const_host_device_scalarIT6_EEPKS3_PKS4_PKT3_PKT4_S8_PT5_21rocsparse_index_base_b ; -- Begin function _ZN9rocsparseL41csrmvn_lrb_medium_rows_warp_reduce_kernelILj256ELj32Eii21rocsparse_complex_numIdES2_S2_S2_EEvbT1_lPT2_S5_jNS_24const_host_device_scalarIT6_EEPKS3_PKS4_PKT3_PKT4_S8_PT5_21rocsparse_index_base_b
	.p2align	8
	.type	_ZN9rocsparseL41csrmvn_lrb_medium_rows_warp_reduce_kernelILj256ELj32Eii21rocsparse_complex_numIdES2_S2_S2_EEvbT1_lPT2_S5_jNS_24const_host_device_scalarIT6_EEPKS3_PKS4_PKT3_PKT4_S8_PT5_21rocsparse_index_base_b,@function
_ZN9rocsparseL41csrmvn_lrb_medium_rows_warp_reduce_kernelILj256ELj32Eii21rocsparse_complex_numIdES2_S2_S2_EEvbT1_lPT2_S5_jNS_24const_host_device_scalarIT6_EEPKS3_PKS4_PKT3_PKT4_S8_PT5_21rocsparse_index_base_b: ; @_ZN9rocsparseL41csrmvn_lrb_medium_rows_warp_reduce_kernelILj256ELj32Eii21rocsparse_complex_numIdES2_S2_S2_EEvbT1_lPT2_S5_jNS_24const_host_device_scalarIT6_EEPKS3_PKS4_PKT3_PKT4_S8_PT5_21rocsparse_index_base_b
; %bb.0:
	s_load_dwordx2 s[2:3], s[6:7], 0x70
	s_load_dwordx4 s[12:15], s[6:7], 0x28
	s_load_dwordx2 s[20:21], s[4:5], 0x4
	s_load_dwordx4 s[16:19], s[6:7], 0x58
	s_mov_b64 s[10:11], src_shared_base
	v_and_b32_e32 v10, 0x3ff, v0
	s_waitcnt lgkmcnt(0)
	s_bitcmp1_b32 s3, 0
	s_cselect_b64 s[0:1], -1, 0
	s_and_b64 vcc, s[0:1], exec
	s_cselect_b32 s3, s11, s13
	s_lshr_b32 s4, s20, 16
	s_mul_i32 s4, s4, s21
	v_mul_lo_u32 v1, s4, v10
	v_bfe_u32 v2, v0, 10, 10
	v_mad_u32_u24 v1, v2, s21, v1
	v_bfe_u32 v0, v0, 20, 10
	v_add_lshl_u32 v4, v1, v0, 3
	v_mov_b32_e32 v5, s12
	v_add_u32_e32 v6, 0x800, v4
	v_pk_mov_b32 v[0:1], s[12:13], s[12:13] op_sel:[0,1]
	v_pk_mov_b32 v[2:3], s[16:17], s[16:17] op_sel:[0,1]
	ds_write2st64_b64 v4, v[2:3], v[0:1] offset1:4
	v_cndmask_b32_e64 v0, v5, v6, s[0:1]
	v_mov_b32_e32 v1, s3
	flat_load_dwordx2 v[0:1], v[0:1]
	s_xor_b64 s[4:5], s[0:1], -1
	v_pk_mov_b32 v[2:3], s[14:15], s[14:15] op_sel:[0,1]
	s_cbranch_vccnz .LBB64_2
; %bb.1:
	v_pk_mov_b32 v[2:3], s[12:13], s[12:13] op_sel:[0,1]
	flat_load_dwordx2 v[2:3], v[2:3] offset:8
.LBB64_2:
	s_and_b64 s[12:13], s[0:1], exec
	s_cselect_b32 s3, s11, s17
	v_mov_b32_e32 v5, s16
	v_cndmask_b32_e64 v4, v5, v4, s[0:1]
	v_mov_b32_e32 v5, s3
	flat_load_dwordx2 v[4:5], v[4:5]
	s_andn2_b64 vcc, exec, s[4:5]
	v_pk_mov_b32 v[6:7], s[18:19], s[18:19] op_sel:[0,1]
	s_cbranch_vccnz .LBB64_4
; %bb.3:
	v_pk_mov_b32 v[6:7], s[16:17], s[16:17] op_sel:[0,1]
	flat_load_dwordx2 v[6:7], v[6:7] offset:8
.LBB64_4:
	s_waitcnt vmcnt(0) lgkmcnt(0)
	v_cmp_eq_f64_e32 vcc, 0, v[0:1]
	v_cmp_eq_f64_e64 s[0:1], 0, v[2:3]
	s_and_b64 s[10:11], vcc, s[0:1]
	s_mov_b64 s[0:1], -1
	s_and_saveexec_b64 s[4:5], s[10:11]
; %bb.5:
	v_cmp_neq_f64_e32 vcc, 1.0, v[4:5]
	v_cmp_neq_f64_e64 s[0:1], 0, v[6:7]
	s_or_b64 s[0:1], vcc, s[0:1]
	s_orn2_b64 s[0:1], s[0:1], exec
; %bb.6:
	s_or_b64 exec, exec, s[4:5]
	s_and_saveexec_b64 s[4:5], s[0:1]
	s_cbranch_execz .LBB64_16
; %bb.7:
	s_load_dwordx2 s[0:1], s[6:7], 0x8
	v_lshrrev_b32_e32 v8, 5, v10
	v_lshl_or_b32 v8, s8, 3, v8
	v_ashrrev_i32_e32 v9, 31, v8
	s_waitcnt lgkmcnt(0)
	v_cmp_gt_i64_e32 vcc, s[0:1], v[8:9]
	s_and_b64 exec, exec, vcc
	s_cbranch_execz .LBB64_16
; %bb.8:
	s_load_dword s0, s[6:7], 0x20
	s_load_dwordx4 s[8:11], s[6:7], 0x10
	s_mov_b32 s1, 0
	v_and_b32_e32 v16, 31, v10
	v_subrev_u32_e32 v14, s2, v16
	s_waitcnt lgkmcnt(0)
	s_lshl_b64 s[0:1], s[0:1], 2
	s_add_u32 s0, s10, s0
	s_addc_u32 s1, s11, s1
	s_load_dword s0, s[0:1], 0x0
	v_mov_b32_e32 v11, s9
	s_load_dwordx2 s[4:5], s[6:7], 0x68
	s_waitcnt lgkmcnt(0)
	v_add_u32_e32 v8, s0, v8
	v_ashrrev_i32_e32 v9, 31, v8
	v_lshlrev_b64 v[8:9], 2, v[8:9]
	v_add_co_u32_e32 v8, vcc, s8, v8
	v_addc_co_u32_e32 v9, vcc, v11, v9, vcc
	global_load_dword v8, v[8:9], off
	s_load_dwordx2 s[0:1], s[6:7], 0x38
	s_waitcnt lgkmcnt(0)
	v_mov_b32_e32 v11, s1
	s_waitcnt vmcnt(0)
	v_ashrrev_i32_e32 v9, 31, v8
	v_lshlrev_b64 v[12:13], 2, v[8:9]
	v_add_co_u32_e32 v12, vcc, s0, v12
	v_addc_co_u32_e32 v13, vcc, v11, v13, vcc
	global_load_dwordx2 v[12:13], v[12:13], off
	v_pk_mov_b32 v[10:11], 0, 0
	s_waitcnt vmcnt(0)
	v_subrev_u32_e32 v17, s2, v13
	v_add_u32_e32 v12, v12, v14
	v_cmp_lt_i32_e32 vcc, v12, v17
	v_pk_mov_b32 v[14:15], v[10:11], v[10:11] op_sel:[0,1]
	s_and_saveexec_b64 s[12:13], vcc
	s_cbranch_execz .LBB64_12
; %bb.9:
	s_load_dword s0, s[6:7], 0x0
	s_load_dwordx4 s[8:11], s[6:7], 0x40
	s_load_dwordx2 s[14:15], s[6:7], 0x50
	v_pk_mov_b32 v[10:11], 0, 0
	s_mov_b64 s[6:7], 0
	s_waitcnt lgkmcnt(0)
	s_bitcmp1_b32 s0, 0
	s_cselect_b64 vcc, -1, 0
	v_mov_b32_e32 v18, s11
	v_mov_b32_e32 v19, s9
	;; [unrolled: 1-line block ×3, first 2 shown]
	v_pk_mov_b32 v[14:15], v[10:11], v[10:11] op_sel:[0,1]
.LBB64_10:                              ; =>This Inner Loop Header: Depth=1
	v_ashrrev_i32_e32 v13, 31, v12
	v_lshlrev_b64 v[22:23], 2, v[12:13]
	v_add_co_u32_e64 v22, s[0:1], s8, v22
	v_addc_co_u32_e64 v23, s[0:1], v19, v23, s[0:1]
	global_load_dword v21, v[22:23], off
	v_lshlrev_b64 v[22:23], 4, v[12:13]
	v_add_co_u32_e64 v22, s[0:1], s10, v22
	v_addc_co_u32_e64 v23, s[0:1], v18, v23, s[0:1]
	global_load_dwordx4 v[22:25], v[22:23], off
	v_add_u32_e32 v12, 32, v12
	s_waitcnt vmcnt(1)
	v_subrev_u32_e32 v26, s2, v21
	v_ashrrev_i32_e32 v27, 31, v26
	v_lshlrev_b64 v[26:27], 4, v[26:27]
	v_add_co_u32_e64 v26, s[0:1], s14, v26
	v_addc_co_u32_e64 v27, s[0:1], v20, v27, s[0:1]
	global_load_dwordx4 v[26:29], v[26:27], off
	s_waitcnt vmcnt(1)
	v_xor_b32_e32 v13, 0x80000000, v25
	v_cndmask_b32_e32 v25, v25, v13, vcc
	v_mul_f64 v[30:31], v[24:25], -v[2:3]
	v_mul_f64 v[24:25], v[0:1], v[24:25]
	v_fmac_f64_e32 v[30:31], v[0:1], v[22:23]
	v_fmac_f64_e32 v[24:25], v[2:3], v[22:23]
	v_cmp_ge_i32_e64 s[0:1], v12, v17
	s_or_b64 s[6:7], s[0:1], s[6:7]
	s_waitcnt vmcnt(0)
	v_fmac_f64_e32 v[14:15], v[30:31], v[26:27]
	v_fmac_f64_e32 v[10:11], v[24:25], v[26:27]
	v_fma_f64 v[14:15], -v[24:25], v[28:29], v[14:15]
	v_fmac_f64_e32 v[10:11], v[30:31], v[28:29]
	s_andn2_b64 exec, exec, s[6:7]
	s_cbranch_execnz .LBB64_10
; %bb.11:
	s_or_b64 exec, exec, s[6:7]
.LBB64_12:
	s_or_b64 exec, exec, s[12:13]
	v_mov_b32_dpp v0, v14 row_shr:1 row_mask:0xf bank_mask:0xf
	v_mov_b32_dpp v1, v15 row_shr:1 row_mask:0xf bank_mask:0xf
	;; [unrolled: 1-line block ×4, first 2 shown]
	v_add_f64 v[0:1], v[14:15], v[0:1]
	v_add_f64 v[10:11], v[10:11], v[12:13]
	v_cmp_eq_u32_e32 vcc, 31, v16
	v_mov_b32_dpp v2, v0 row_shr:2 row_mask:0xf bank_mask:0xf
	v_mov_b32_dpp v3, v1 row_shr:2 row_mask:0xf bank_mask:0xf
	v_mov_b32_dpp v12, v10 row_shr:2 row_mask:0xf bank_mask:0xf
	v_mov_b32_dpp v13, v11 row_shr:2 row_mask:0xf bank_mask:0xf
	v_add_f64 v[0:1], v[0:1], v[2:3]
	v_add_f64 v[10:11], v[10:11], v[12:13]
	s_nop 0
	v_mov_b32_dpp v2, v0 row_shr:4 row_mask:0xf bank_mask:0xe
	v_mov_b32_dpp v3, v1 row_shr:4 row_mask:0xf bank_mask:0xe
	v_mov_b32_dpp v12, v10 row_shr:4 row_mask:0xf bank_mask:0xe
	v_mov_b32_dpp v13, v11 row_shr:4 row_mask:0xf bank_mask:0xe
	v_add_f64 v[0:1], v[0:1], v[2:3]
	v_add_f64 v[10:11], v[10:11], v[12:13]
	s_nop 0
	;; [unrolled: 7-line block ×3, first 2 shown]
	v_mov_b32_dpp v2, v0 row_bcast:15 row_mask:0xa bank_mask:0xf
	v_mov_b32_dpp v3, v1 row_bcast:15 row_mask:0xa bank_mask:0xf
	;; [unrolled: 1-line block ×4, first 2 shown]
	s_and_b64 exec, exec, vcc
	s_cbranch_execz .LBB64_16
; %bb.13:
	v_cmp_neq_f64_e32 vcc, 0, v[4:5]
	v_cmp_neq_f64_e64 s[0:1], 0, v[6:7]
	v_add_f64 v[0:1], v[0:1], v[2:3]
	v_add_f64 v[2:3], v[10:11], v[12:13]
	s_or_b64 s[2:3], vcc, s[0:1]
	v_lshlrev_b64 v[8:9], 4, v[8:9]
	s_and_saveexec_b64 s[0:1], s[2:3]
	s_cbranch_execz .LBB64_15
; %bb.14:
	v_mov_b32_e32 v11, s5
	v_add_co_u32_e32 v10, vcc, s4, v8
	v_addc_co_u32_e32 v11, vcc, v11, v9, vcc
	global_load_dwordx4 v[10:13], v[10:11], off
	s_waitcnt vmcnt(0)
	v_fmac_f64_e32 v[0:1], v[4:5], v[10:11]
	v_fmac_f64_e32 v[2:3], v[6:7], v[10:11]
	v_fma_f64 v[0:1], -v[6:7], v[12:13], v[0:1]
	v_fmac_f64_e32 v[2:3], v[4:5], v[12:13]
.LBB64_15:
	s_or_b64 exec, exec, s[0:1]
	v_mov_b32_e32 v5, s5
	v_add_co_u32_e32 v4, vcc, s4, v8
	v_addc_co_u32_e32 v5, vcc, v5, v9, vcc
	global_store_dwordx4 v[4:5], v[0:3], off
.LBB64_16:
	s_endpgm
	.section	.rodata,"a",@progbits
	.p2align	6, 0x0
	.amdhsa_kernel _ZN9rocsparseL41csrmvn_lrb_medium_rows_warp_reduce_kernelILj256ELj32Eii21rocsparse_complex_numIdES2_S2_S2_EEvbT1_lPT2_S5_jNS_24const_host_device_scalarIT6_EEPKS3_PKS4_PKT3_PKT4_S8_PT5_21rocsparse_index_base_b
		.amdhsa_group_segment_fixed_size 4096
		.amdhsa_private_segment_fixed_size 0
		.amdhsa_kernarg_size 120
		.amdhsa_user_sgpr_count 8
		.amdhsa_user_sgpr_private_segment_buffer 1
		.amdhsa_user_sgpr_dispatch_ptr 1
		.amdhsa_user_sgpr_queue_ptr 0
		.amdhsa_user_sgpr_kernarg_segment_ptr 1
		.amdhsa_user_sgpr_dispatch_id 0
		.amdhsa_user_sgpr_flat_scratch_init 0
		.amdhsa_user_sgpr_kernarg_preload_length 0
		.amdhsa_user_sgpr_kernarg_preload_offset 0
		.amdhsa_user_sgpr_private_segment_size 0
		.amdhsa_uses_dynamic_stack 0
		.amdhsa_system_sgpr_private_segment_wavefront_offset 0
		.amdhsa_system_sgpr_workgroup_id_x 1
		.amdhsa_system_sgpr_workgroup_id_y 0
		.amdhsa_system_sgpr_workgroup_id_z 0
		.amdhsa_system_sgpr_workgroup_info 0
		.amdhsa_system_vgpr_workitem_id 2
		.amdhsa_next_free_vgpr 32
		.amdhsa_next_free_sgpr 22
		.amdhsa_accum_offset 32
		.amdhsa_reserve_vcc 1
		.amdhsa_reserve_flat_scratch 0
		.amdhsa_float_round_mode_32 0
		.amdhsa_float_round_mode_16_64 0
		.amdhsa_float_denorm_mode_32 3
		.amdhsa_float_denorm_mode_16_64 3
		.amdhsa_dx10_clamp 1
		.amdhsa_ieee_mode 1
		.amdhsa_fp16_overflow 0
		.amdhsa_tg_split 0
		.amdhsa_exception_fp_ieee_invalid_op 0
		.amdhsa_exception_fp_denorm_src 0
		.amdhsa_exception_fp_ieee_div_zero 0
		.amdhsa_exception_fp_ieee_overflow 0
		.amdhsa_exception_fp_ieee_underflow 0
		.amdhsa_exception_fp_ieee_inexact 0
		.amdhsa_exception_int_div_zero 0
	.end_amdhsa_kernel
	.section	.text._ZN9rocsparseL41csrmvn_lrb_medium_rows_warp_reduce_kernelILj256ELj32Eii21rocsparse_complex_numIdES2_S2_S2_EEvbT1_lPT2_S5_jNS_24const_host_device_scalarIT6_EEPKS3_PKS4_PKT3_PKT4_S8_PT5_21rocsparse_index_base_b,"axG",@progbits,_ZN9rocsparseL41csrmvn_lrb_medium_rows_warp_reduce_kernelILj256ELj32Eii21rocsparse_complex_numIdES2_S2_S2_EEvbT1_lPT2_S5_jNS_24const_host_device_scalarIT6_EEPKS3_PKS4_PKT3_PKT4_S8_PT5_21rocsparse_index_base_b,comdat
.Lfunc_end64:
	.size	_ZN9rocsparseL41csrmvn_lrb_medium_rows_warp_reduce_kernelILj256ELj32Eii21rocsparse_complex_numIdES2_S2_S2_EEvbT1_lPT2_S5_jNS_24const_host_device_scalarIT6_EEPKS3_PKS4_PKT3_PKT4_S8_PT5_21rocsparse_index_base_b, .Lfunc_end64-_ZN9rocsparseL41csrmvn_lrb_medium_rows_warp_reduce_kernelILj256ELj32Eii21rocsparse_complex_numIdES2_S2_S2_EEvbT1_lPT2_S5_jNS_24const_host_device_scalarIT6_EEPKS3_PKS4_PKT3_PKT4_S8_PT5_21rocsparse_index_base_b
                                        ; -- End function
	.section	.AMDGPU.csdata,"",@progbits
; Kernel info:
; codeLenInByte = 1196
; NumSgprs: 26
; NumVgprs: 32
; NumAgprs: 0
; TotalNumVgprs: 32
; ScratchSize: 0
; MemoryBound: 0
; FloatMode: 240
; IeeeMode: 1
; LDSByteSize: 4096 bytes/workgroup (compile time only)
; SGPRBlocks: 3
; VGPRBlocks: 3
; NumSGPRsForWavesPerEU: 26
; NumVGPRsForWavesPerEU: 32
; AccumOffset: 32
; Occupancy: 8
; WaveLimiterHint : 1
; COMPUTE_PGM_RSRC2:SCRATCH_EN: 0
; COMPUTE_PGM_RSRC2:USER_SGPR: 8
; COMPUTE_PGM_RSRC2:TRAP_HANDLER: 0
; COMPUTE_PGM_RSRC2:TGID_X_EN: 1
; COMPUTE_PGM_RSRC2:TGID_Y_EN: 0
; COMPUTE_PGM_RSRC2:TGID_Z_EN: 0
; COMPUTE_PGM_RSRC2:TIDIG_COMP_CNT: 2
; COMPUTE_PGM_RSRC3_GFX90A:ACCUM_OFFSET: 7
; COMPUTE_PGM_RSRC3_GFX90A:TG_SPLIT: 0
	.section	.text._ZN9rocsparseL41csrmvn_lrb_medium_rows_warp_reduce_kernelILj256ELj64Eii21rocsparse_complex_numIdES2_S2_S2_EEvbT1_lPT2_S5_jNS_24const_host_device_scalarIT6_EEPKS3_PKS4_PKT3_PKT4_S8_PT5_21rocsparse_index_base_b,"axG",@progbits,_ZN9rocsparseL41csrmvn_lrb_medium_rows_warp_reduce_kernelILj256ELj64Eii21rocsparse_complex_numIdES2_S2_S2_EEvbT1_lPT2_S5_jNS_24const_host_device_scalarIT6_EEPKS3_PKS4_PKT3_PKT4_S8_PT5_21rocsparse_index_base_b,comdat
	.globl	_ZN9rocsparseL41csrmvn_lrb_medium_rows_warp_reduce_kernelILj256ELj64Eii21rocsparse_complex_numIdES2_S2_S2_EEvbT1_lPT2_S5_jNS_24const_host_device_scalarIT6_EEPKS3_PKS4_PKT3_PKT4_S8_PT5_21rocsparse_index_base_b ; -- Begin function _ZN9rocsparseL41csrmvn_lrb_medium_rows_warp_reduce_kernelILj256ELj64Eii21rocsparse_complex_numIdES2_S2_S2_EEvbT1_lPT2_S5_jNS_24const_host_device_scalarIT6_EEPKS3_PKS4_PKT3_PKT4_S8_PT5_21rocsparse_index_base_b
	.p2align	8
	.type	_ZN9rocsparseL41csrmvn_lrb_medium_rows_warp_reduce_kernelILj256ELj64Eii21rocsparse_complex_numIdES2_S2_S2_EEvbT1_lPT2_S5_jNS_24const_host_device_scalarIT6_EEPKS3_PKS4_PKT3_PKT4_S8_PT5_21rocsparse_index_base_b,@function
_ZN9rocsparseL41csrmvn_lrb_medium_rows_warp_reduce_kernelILj256ELj64Eii21rocsparse_complex_numIdES2_S2_S2_EEvbT1_lPT2_S5_jNS_24const_host_device_scalarIT6_EEPKS3_PKS4_PKT3_PKT4_S8_PT5_21rocsparse_index_base_b: ; @_ZN9rocsparseL41csrmvn_lrb_medium_rows_warp_reduce_kernelILj256ELj64Eii21rocsparse_complex_numIdES2_S2_S2_EEvbT1_lPT2_S5_jNS_24const_host_device_scalarIT6_EEPKS3_PKS4_PKT3_PKT4_S8_PT5_21rocsparse_index_base_b
; %bb.0:
	s_load_dwordx2 s[2:3], s[6:7], 0x70
	s_load_dwordx4 s[12:15], s[6:7], 0x28
	s_load_dwordx2 s[20:21], s[4:5], 0x4
	s_load_dwordx4 s[16:19], s[6:7], 0x58
	s_mov_b64 s[10:11], src_shared_base
	v_and_b32_e32 v10, 0x3ff, v0
	s_waitcnt lgkmcnt(0)
	s_bitcmp1_b32 s3, 0
	s_cselect_b64 s[0:1], -1, 0
	s_and_b64 vcc, s[0:1], exec
	s_cselect_b32 s3, s11, s13
	s_lshr_b32 s4, s20, 16
	s_mul_i32 s4, s4, s21
	v_mul_lo_u32 v1, s4, v10
	v_bfe_u32 v2, v0, 10, 10
	v_mad_u32_u24 v1, v2, s21, v1
	v_bfe_u32 v0, v0, 20, 10
	v_add_lshl_u32 v4, v1, v0, 3
	v_mov_b32_e32 v5, s12
	v_add_u32_e32 v6, 0x800, v4
	v_pk_mov_b32 v[0:1], s[12:13], s[12:13] op_sel:[0,1]
	v_pk_mov_b32 v[2:3], s[16:17], s[16:17] op_sel:[0,1]
	ds_write2st64_b64 v4, v[2:3], v[0:1] offset1:4
	v_cndmask_b32_e64 v0, v5, v6, s[0:1]
	v_mov_b32_e32 v1, s3
	flat_load_dwordx2 v[0:1], v[0:1]
	s_xor_b64 s[4:5], s[0:1], -1
	v_pk_mov_b32 v[2:3], s[14:15], s[14:15] op_sel:[0,1]
	s_cbranch_vccnz .LBB65_2
; %bb.1:
	v_pk_mov_b32 v[2:3], s[12:13], s[12:13] op_sel:[0,1]
	flat_load_dwordx2 v[2:3], v[2:3] offset:8
.LBB65_2:
	s_and_b64 s[12:13], s[0:1], exec
	s_cselect_b32 s3, s11, s17
	v_mov_b32_e32 v5, s16
	v_cndmask_b32_e64 v4, v5, v4, s[0:1]
	v_mov_b32_e32 v5, s3
	flat_load_dwordx2 v[4:5], v[4:5]
	s_andn2_b64 vcc, exec, s[4:5]
	v_pk_mov_b32 v[6:7], s[18:19], s[18:19] op_sel:[0,1]
	s_cbranch_vccnz .LBB65_4
; %bb.3:
	v_pk_mov_b32 v[6:7], s[16:17], s[16:17] op_sel:[0,1]
	flat_load_dwordx2 v[6:7], v[6:7] offset:8
.LBB65_4:
	s_waitcnt vmcnt(0) lgkmcnt(0)
	v_cmp_eq_f64_e32 vcc, 0, v[0:1]
	v_cmp_eq_f64_e64 s[0:1], 0, v[2:3]
	s_and_b64 s[10:11], vcc, s[0:1]
	s_mov_b64 s[0:1], -1
	s_and_saveexec_b64 s[4:5], s[10:11]
; %bb.5:
	v_cmp_neq_f64_e32 vcc, 1.0, v[4:5]
	v_cmp_neq_f64_e64 s[0:1], 0, v[6:7]
	s_or_b64 s[0:1], vcc, s[0:1]
	s_orn2_b64 s[0:1], s[0:1], exec
; %bb.6:
	s_or_b64 exec, exec, s[4:5]
	s_and_saveexec_b64 s[4:5], s[0:1]
	s_cbranch_execz .LBB65_16
; %bb.7:
	s_load_dwordx2 s[0:1], s[6:7], 0x8
	v_lshrrev_b32_e32 v8, 6, v10
	v_lshl_or_b32 v8, s8, 2, v8
	v_ashrrev_i32_e32 v9, 31, v8
	s_waitcnt lgkmcnt(0)
	v_cmp_gt_i64_e32 vcc, s[0:1], v[8:9]
	s_and_b64 exec, exec, vcc
	s_cbranch_execz .LBB65_16
; %bb.8:
	s_load_dword s0, s[6:7], 0x20
	s_load_dwordx4 s[8:11], s[6:7], 0x10
	s_mov_b32 s1, 0
	v_and_b32_e32 v16, 63, v10
	v_subrev_u32_e32 v14, s2, v16
	s_waitcnt lgkmcnt(0)
	s_lshl_b64 s[0:1], s[0:1], 2
	s_add_u32 s0, s10, s0
	s_addc_u32 s1, s11, s1
	s_load_dword s0, s[0:1], 0x0
	v_mov_b32_e32 v11, s9
	s_load_dwordx2 s[4:5], s[6:7], 0x68
	s_waitcnt lgkmcnt(0)
	v_add_u32_e32 v8, s0, v8
	v_ashrrev_i32_e32 v9, 31, v8
	v_lshlrev_b64 v[8:9], 2, v[8:9]
	v_add_co_u32_e32 v8, vcc, s8, v8
	v_addc_co_u32_e32 v9, vcc, v11, v9, vcc
	global_load_dword v8, v[8:9], off
	s_load_dwordx2 s[0:1], s[6:7], 0x38
	s_waitcnt lgkmcnt(0)
	v_mov_b32_e32 v11, s1
	s_waitcnt vmcnt(0)
	v_ashrrev_i32_e32 v9, 31, v8
	v_lshlrev_b64 v[12:13], 2, v[8:9]
	v_add_co_u32_e32 v12, vcc, s0, v12
	v_addc_co_u32_e32 v13, vcc, v11, v13, vcc
	global_load_dwordx2 v[12:13], v[12:13], off
	v_pk_mov_b32 v[10:11], 0, 0
	s_waitcnt vmcnt(0)
	v_subrev_u32_e32 v17, s2, v13
	v_add_u32_e32 v12, v12, v14
	v_cmp_lt_i32_e32 vcc, v12, v17
	v_pk_mov_b32 v[14:15], v[10:11], v[10:11] op_sel:[0,1]
	s_and_saveexec_b64 s[12:13], vcc
	s_cbranch_execz .LBB65_12
; %bb.9:
	s_load_dword s0, s[6:7], 0x0
	s_load_dwordx4 s[8:11], s[6:7], 0x40
	s_load_dwordx2 s[14:15], s[6:7], 0x50
	v_pk_mov_b32 v[10:11], 0, 0
	s_mov_b64 s[6:7], 0
	s_waitcnt lgkmcnt(0)
	s_bitcmp1_b32 s0, 0
	s_cselect_b64 vcc, -1, 0
	v_mov_b32_e32 v18, s11
	v_mov_b32_e32 v19, s9
	;; [unrolled: 1-line block ×3, first 2 shown]
	v_pk_mov_b32 v[14:15], v[10:11], v[10:11] op_sel:[0,1]
.LBB65_10:                              ; =>This Inner Loop Header: Depth=1
	v_ashrrev_i32_e32 v13, 31, v12
	v_lshlrev_b64 v[22:23], 2, v[12:13]
	v_add_co_u32_e64 v22, s[0:1], s8, v22
	v_addc_co_u32_e64 v23, s[0:1], v19, v23, s[0:1]
	global_load_dword v21, v[22:23], off
	v_lshlrev_b64 v[22:23], 4, v[12:13]
	v_add_co_u32_e64 v22, s[0:1], s10, v22
	v_addc_co_u32_e64 v23, s[0:1], v18, v23, s[0:1]
	global_load_dwordx4 v[22:25], v[22:23], off
	v_add_u32_e32 v12, 64, v12
	s_waitcnt vmcnt(1)
	v_subrev_u32_e32 v26, s2, v21
	v_ashrrev_i32_e32 v27, 31, v26
	v_lshlrev_b64 v[26:27], 4, v[26:27]
	v_add_co_u32_e64 v26, s[0:1], s14, v26
	v_addc_co_u32_e64 v27, s[0:1], v20, v27, s[0:1]
	global_load_dwordx4 v[26:29], v[26:27], off
	s_waitcnt vmcnt(1)
	v_xor_b32_e32 v13, 0x80000000, v25
	v_cndmask_b32_e32 v25, v25, v13, vcc
	v_mul_f64 v[30:31], v[24:25], -v[2:3]
	v_mul_f64 v[24:25], v[0:1], v[24:25]
	v_fmac_f64_e32 v[30:31], v[0:1], v[22:23]
	v_fmac_f64_e32 v[24:25], v[2:3], v[22:23]
	v_cmp_ge_i32_e64 s[0:1], v12, v17
	s_or_b64 s[6:7], s[0:1], s[6:7]
	s_waitcnt vmcnt(0)
	v_fmac_f64_e32 v[14:15], v[30:31], v[26:27]
	v_fmac_f64_e32 v[10:11], v[24:25], v[26:27]
	v_fma_f64 v[14:15], -v[24:25], v[28:29], v[14:15]
	v_fmac_f64_e32 v[10:11], v[30:31], v[28:29]
	s_andn2_b64 exec, exec, s[6:7]
	s_cbranch_execnz .LBB65_10
; %bb.11:
	s_or_b64 exec, exec, s[6:7]
.LBB65_12:
	s_or_b64 exec, exec, s[12:13]
	v_mov_b32_dpp v0, v14 row_shr:1 row_mask:0xf bank_mask:0xf
	v_mov_b32_dpp v1, v15 row_shr:1 row_mask:0xf bank_mask:0xf
	v_mov_b32_dpp v12, v10 row_shr:1 row_mask:0xf bank_mask:0xf
	v_mov_b32_dpp v13, v11 row_shr:1 row_mask:0xf bank_mask:0xf
	v_add_f64 v[0:1], v[14:15], v[0:1]
	v_add_f64 v[10:11], v[10:11], v[12:13]
	v_cmp_eq_u32_e32 vcc, 63, v16
	v_mov_b32_dpp v2, v0 row_shr:2 row_mask:0xf bank_mask:0xf
	v_mov_b32_dpp v3, v1 row_shr:2 row_mask:0xf bank_mask:0xf
	v_mov_b32_dpp v12, v10 row_shr:2 row_mask:0xf bank_mask:0xf
	v_mov_b32_dpp v13, v11 row_shr:2 row_mask:0xf bank_mask:0xf
	v_add_f64 v[0:1], v[0:1], v[2:3]
	v_add_f64 v[10:11], v[10:11], v[12:13]
	s_nop 0
	v_mov_b32_dpp v2, v0 row_shr:4 row_mask:0xf bank_mask:0xe
	v_mov_b32_dpp v3, v1 row_shr:4 row_mask:0xf bank_mask:0xe
	v_mov_b32_dpp v12, v10 row_shr:4 row_mask:0xf bank_mask:0xe
	v_mov_b32_dpp v13, v11 row_shr:4 row_mask:0xf bank_mask:0xe
	v_add_f64 v[0:1], v[0:1], v[2:3]
	v_add_f64 v[10:11], v[10:11], v[12:13]
	s_nop 0
	;; [unrolled: 7-line block ×3, first 2 shown]
	v_mov_b32_dpp v2, v0 row_bcast:15 row_mask:0xa bank_mask:0xf
	v_mov_b32_dpp v3, v1 row_bcast:15 row_mask:0xa bank_mask:0xf
	;; [unrolled: 1-line block ×4, first 2 shown]
	v_add_f64 v[0:1], v[0:1], v[2:3]
	v_add_f64 v[10:11], v[10:11], v[12:13]
	s_nop 0
	v_mov_b32_dpp v2, v0 row_bcast:31 row_mask:0xc bank_mask:0xf
	v_mov_b32_dpp v3, v1 row_bcast:31 row_mask:0xc bank_mask:0xf
	;; [unrolled: 1-line block ×4, first 2 shown]
	s_and_b64 exec, exec, vcc
	s_cbranch_execz .LBB65_16
; %bb.13:
	v_cmp_neq_f64_e32 vcc, 0, v[4:5]
	v_cmp_neq_f64_e64 s[0:1], 0, v[6:7]
	v_add_f64 v[0:1], v[0:1], v[2:3]
	v_add_f64 v[2:3], v[10:11], v[12:13]
	s_or_b64 s[2:3], vcc, s[0:1]
	v_lshlrev_b64 v[8:9], 4, v[8:9]
	s_and_saveexec_b64 s[0:1], s[2:3]
	s_cbranch_execz .LBB65_15
; %bb.14:
	v_mov_b32_e32 v11, s5
	v_add_co_u32_e32 v10, vcc, s4, v8
	v_addc_co_u32_e32 v11, vcc, v11, v9, vcc
	global_load_dwordx4 v[10:13], v[10:11], off
	s_waitcnt vmcnt(0)
	v_fmac_f64_e32 v[0:1], v[4:5], v[10:11]
	v_fmac_f64_e32 v[2:3], v[6:7], v[10:11]
	v_fma_f64 v[0:1], -v[6:7], v[12:13], v[0:1]
	v_fmac_f64_e32 v[2:3], v[4:5], v[12:13]
.LBB65_15:
	s_or_b64 exec, exec, s[0:1]
	v_mov_b32_e32 v5, s5
	v_add_co_u32_e32 v4, vcc, s4, v8
	v_addc_co_u32_e32 v5, vcc, v5, v9, vcc
	global_store_dwordx4 v[4:5], v[0:3], off
.LBB65_16:
	s_endpgm
	.section	.rodata,"a",@progbits
	.p2align	6, 0x0
	.amdhsa_kernel _ZN9rocsparseL41csrmvn_lrb_medium_rows_warp_reduce_kernelILj256ELj64Eii21rocsparse_complex_numIdES2_S2_S2_EEvbT1_lPT2_S5_jNS_24const_host_device_scalarIT6_EEPKS3_PKS4_PKT3_PKT4_S8_PT5_21rocsparse_index_base_b
		.amdhsa_group_segment_fixed_size 4096
		.amdhsa_private_segment_fixed_size 0
		.amdhsa_kernarg_size 120
		.amdhsa_user_sgpr_count 8
		.amdhsa_user_sgpr_private_segment_buffer 1
		.amdhsa_user_sgpr_dispatch_ptr 1
		.amdhsa_user_sgpr_queue_ptr 0
		.amdhsa_user_sgpr_kernarg_segment_ptr 1
		.amdhsa_user_sgpr_dispatch_id 0
		.amdhsa_user_sgpr_flat_scratch_init 0
		.amdhsa_user_sgpr_kernarg_preload_length 0
		.amdhsa_user_sgpr_kernarg_preload_offset 0
		.amdhsa_user_sgpr_private_segment_size 0
		.amdhsa_uses_dynamic_stack 0
		.amdhsa_system_sgpr_private_segment_wavefront_offset 0
		.amdhsa_system_sgpr_workgroup_id_x 1
		.amdhsa_system_sgpr_workgroup_id_y 0
		.amdhsa_system_sgpr_workgroup_id_z 0
		.amdhsa_system_sgpr_workgroup_info 0
		.amdhsa_system_vgpr_workitem_id 2
		.amdhsa_next_free_vgpr 32
		.amdhsa_next_free_sgpr 22
		.amdhsa_accum_offset 32
		.amdhsa_reserve_vcc 1
		.amdhsa_reserve_flat_scratch 0
		.amdhsa_float_round_mode_32 0
		.amdhsa_float_round_mode_16_64 0
		.amdhsa_float_denorm_mode_32 3
		.amdhsa_float_denorm_mode_16_64 3
		.amdhsa_dx10_clamp 1
		.amdhsa_ieee_mode 1
		.amdhsa_fp16_overflow 0
		.amdhsa_tg_split 0
		.amdhsa_exception_fp_ieee_invalid_op 0
		.amdhsa_exception_fp_denorm_src 0
		.amdhsa_exception_fp_ieee_div_zero 0
		.amdhsa_exception_fp_ieee_overflow 0
		.amdhsa_exception_fp_ieee_underflow 0
		.amdhsa_exception_fp_ieee_inexact 0
		.amdhsa_exception_int_div_zero 0
	.end_amdhsa_kernel
	.section	.text._ZN9rocsparseL41csrmvn_lrb_medium_rows_warp_reduce_kernelILj256ELj64Eii21rocsparse_complex_numIdES2_S2_S2_EEvbT1_lPT2_S5_jNS_24const_host_device_scalarIT6_EEPKS3_PKS4_PKT3_PKT4_S8_PT5_21rocsparse_index_base_b,"axG",@progbits,_ZN9rocsparseL41csrmvn_lrb_medium_rows_warp_reduce_kernelILj256ELj64Eii21rocsparse_complex_numIdES2_S2_S2_EEvbT1_lPT2_S5_jNS_24const_host_device_scalarIT6_EEPKS3_PKS4_PKT3_PKT4_S8_PT5_21rocsparse_index_base_b,comdat
.Lfunc_end65:
	.size	_ZN9rocsparseL41csrmvn_lrb_medium_rows_warp_reduce_kernelILj256ELj64Eii21rocsparse_complex_numIdES2_S2_S2_EEvbT1_lPT2_S5_jNS_24const_host_device_scalarIT6_EEPKS3_PKS4_PKT3_PKT4_S8_PT5_21rocsparse_index_base_b, .Lfunc_end65-_ZN9rocsparseL41csrmvn_lrb_medium_rows_warp_reduce_kernelILj256ELj64Eii21rocsparse_complex_numIdES2_S2_S2_EEvbT1_lPT2_S5_jNS_24const_host_device_scalarIT6_EEPKS3_PKS4_PKT3_PKT4_S8_PT5_21rocsparse_index_base_b
                                        ; -- End function
	.section	.AMDGPU.csdata,"",@progbits
; Kernel info:
; codeLenInByte = 1248
; NumSgprs: 26
; NumVgprs: 32
; NumAgprs: 0
; TotalNumVgprs: 32
; ScratchSize: 0
; MemoryBound: 0
; FloatMode: 240
; IeeeMode: 1
; LDSByteSize: 4096 bytes/workgroup (compile time only)
; SGPRBlocks: 3
; VGPRBlocks: 3
; NumSGPRsForWavesPerEU: 26
; NumVGPRsForWavesPerEU: 32
; AccumOffset: 32
; Occupancy: 8
; WaveLimiterHint : 1
; COMPUTE_PGM_RSRC2:SCRATCH_EN: 0
; COMPUTE_PGM_RSRC2:USER_SGPR: 8
; COMPUTE_PGM_RSRC2:TRAP_HANDLER: 0
; COMPUTE_PGM_RSRC2:TGID_X_EN: 1
; COMPUTE_PGM_RSRC2:TGID_Y_EN: 0
; COMPUTE_PGM_RSRC2:TGID_Z_EN: 0
; COMPUTE_PGM_RSRC2:TIDIG_COMP_CNT: 2
; COMPUTE_PGM_RSRC3_GFX90A:ACCUM_OFFSET: 7
; COMPUTE_PGM_RSRC3_GFX90A:TG_SPLIT: 0
	.section	.text._ZN9rocsparseL29csrmvn_lrb_medium_rows_kernelILj256Eii21rocsparse_complex_numIdES2_S2_S2_EEvbT0_PT1_S5_jNS_24const_host_device_scalarIT5_EEPKS3_PKS4_PKT2_PKT3_S8_PT4_21rocsparse_index_base_b,"axG",@progbits,_ZN9rocsparseL29csrmvn_lrb_medium_rows_kernelILj256Eii21rocsparse_complex_numIdES2_S2_S2_EEvbT0_PT1_S5_jNS_24const_host_device_scalarIT5_EEPKS3_PKS4_PKT2_PKT3_S8_PT4_21rocsparse_index_base_b,comdat
	.globl	_ZN9rocsparseL29csrmvn_lrb_medium_rows_kernelILj256Eii21rocsparse_complex_numIdES2_S2_S2_EEvbT0_PT1_S5_jNS_24const_host_device_scalarIT5_EEPKS3_PKS4_PKT2_PKT3_S8_PT4_21rocsparse_index_base_b ; -- Begin function _ZN9rocsparseL29csrmvn_lrb_medium_rows_kernelILj256Eii21rocsparse_complex_numIdES2_S2_S2_EEvbT0_PT1_S5_jNS_24const_host_device_scalarIT5_EEPKS3_PKS4_PKT2_PKT3_S8_PT4_21rocsparse_index_base_b
	.p2align	8
	.type	_ZN9rocsparseL29csrmvn_lrb_medium_rows_kernelILj256Eii21rocsparse_complex_numIdES2_S2_S2_EEvbT0_PT1_S5_jNS_24const_host_device_scalarIT5_EEPKS3_PKS4_PKT2_PKT3_S8_PT4_21rocsparse_index_base_b,@function
_ZN9rocsparseL29csrmvn_lrb_medium_rows_kernelILj256Eii21rocsparse_complex_numIdES2_S2_S2_EEvbT0_PT1_S5_jNS_24const_host_device_scalarIT5_EEPKS3_PKS4_PKT2_PKT3_S8_PT4_21rocsparse_index_base_b: ; @_ZN9rocsparseL29csrmvn_lrb_medium_rows_kernelILj256Eii21rocsparse_complex_numIdES2_S2_S2_EEvbT0_PT1_S5_jNS_24const_host_device_scalarIT5_EEPKS3_PKS4_PKT2_PKT3_S8_PT4_21rocsparse_index_base_b
; %bb.0:
	s_load_dwordx2 s[20:21], s[6:7], 0x68
	s_load_dwordx4 s[12:15], s[6:7], 0x20
	s_load_dwordx2 s[10:11], s[4:5], 0x4
	s_load_dwordx4 s[16:19], s[6:7], 0x50
	s_mov_b64 s[2:3], src_shared_base
	v_and_b32_e32 v14, 0x3ff, v0
	s_waitcnt lgkmcnt(0)
	s_bitcmp1_b32 s21, 0
	s_cselect_b64 s[0:1], -1, 0
	s_and_b64 vcc, s[0:1], exec
	s_cselect_b32 s2, s3, s13
	s_lshr_b32 s4, s10, 16
	s_mul_i32 s4, s4, s11
	v_mul_lo_u32 v1, s4, v14
	v_bfe_u32 v2, v0, 10, 10
	v_mad_u32_u24 v1, v2, s11, v1
	v_bfe_u32 v0, v0, 20, 10
	v_add_lshl_u32 v5, v1, v0, 3
	v_mov_b32_e32 v4, s12
	v_add_u32_e32 v6, 0x1800, v5
	v_pk_mov_b32 v[0:1], s[12:13], s[12:13] op_sel:[0,1]
	v_pk_mov_b32 v[2:3], s[16:17], s[16:17] op_sel:[0,1]
	ds_write2st64_b64 v5, v[2:3], v[0:1] offset0:8 offset1:12
	v_cndmask_b32_e64 v0, v4, v6, s[0:1]
	v_mov_b32_e32 v1, s2
	flat_load_dwordx2 v[8:9], v[0:1]
	s_xor_b64 s[4:5], s[0:1], -1
	v_add_u32_e32 v0, 0x1000, v5
	v_pk_mov_b32 v[10:11], s[14:15], s[14:15] op_sel:[0,1]
	s_cbranch_vccnz .LBB66_2
; %bb.1:
	v_pk_mov_b32 v[2:3], s[12:13], s[12:13] op_sel:[0,1]
	flat_load_dwordx2 v[10:11], v[2:3] offset:8
.LBB66_2:
	s_and_b64 s[10:11], s[0:1], exec
	s_cselect_b32 s2, s3, s17
	v_mov_b32_e32 v1, s16
	v_cndmask_b32_e64 v0, v1, v0, s[0:1]
	v_mov_b32_e32 v1, s2
	flat_load_dwordx2 v[4:5], v[0:1]
	s_andn2_b64 vcc, exec, s[4:5]
	v_pk_mov_b32 v[6:7], s[18:19], s[18:19] op_sel:[0,1]
	s_cbranch_vccnz .LBB66_4
; %bb.3:
	v_pk_mov_b32 v[0:1], s[16:17], s[16:17] op_sel:[0,1]
	flat_load_dwordx2 v[6:7], v[0:1] offset:8
.LBB66_4:
	s_waitcnt vmcnt(0) lgkmcnt(0)
	v_cmp_eq_f64_e32 vcc, 0, v[8:9]
	v_cmp_eq_f64_e64 s[0:1], 0, v[10:11]
	s_and_b64 s[4:5], vcc, s[0:1]
	s_mov_b64 s[0:1], -1
	s_and_saveexec_b64 s[2:3], s[4:5]
; %bb.5:
	v_cmp_neq_f64_e32 vcc, 1.0, v[4:5]
	v_cmp_neq_f64_e64 s[0:1], 0, v[6:7]
	s_or_b64 s[0:1], vcc, s[0:1]
	s_orn2_b64 s[0:1], s[0:1], exec
; %bb.6:
	s_or_b64 exec, exec, s[2:3]
	s_and_saveexec_b64 s[2:3], s[0:1]
	s_cbranch_execz .LBB66_31
; %bb.7:
	s_load_dword s4, s[6:7], 0x18
	s_load_dwordx4 s[0:3], s[6:7], 0x8
	s_mov_b32 s5, 0
	v_subrev_u32_e32 v0, s20, v14
	v_pk_mov_b32 v[2:3], 0, 0
	s_waitcnt lgkmcnt(0)
	s_lshl_b64 s[4:5], s[4:5], 2
	s_add_u32 s2, s2, s4
	s_addc_u32 s3, s3, s5
	s_load_dword s2, s[2:3], 0x0
	s_waitcnt lgkmcnt(0)
	s_add_i32 s2, s2, s8
	s_ashr_i32 s3, s2, 31
	s_lshl_b64 s[2:3], s[2:3], 2
	s_add_u32 s0, s0, s2
	s_addc_u32 s1, s1, s3
	s_load_dword s2, s[0:1], 0x0
	s_load_dwordx2 s[4:5], s[6:7], 0x30
	s_waitcnt lgkmcnt(0)
	s_ashr_i32 s3, s2, 31
	s_lshl_b64 s[0:1], s[2:3], 2
	s_add_u32 s0, s4, s0
	s_addc_u32 s1, s5, s1
	s_load_dwordx2 s[8:9], s[0:1], 0x0
	s_load_dwordx2 s[4:5], s[6:7], 0x60
	s_waitcnt lgkmcnt(0)
	s_sub_i32 s16, s9, s20
	v_add_u32_e32 v12, s8, v0
	v_cmp_gt_i32_e32 vcc, s16, v12
	v_pk_mov_b32 v[0:1], v[2:3], v[2:3] op_sel:[0,1]
	s_and_saveexec_b64 s[12:13], vcc
	s_cbranch_execz .LBB66_11
; %bb.8:
	s_load_dword s0, s[6:7], 0x0
	s_load_dwordx4 s[8:11], s[6:7], 0x38
	s_load_dwordx2 s[14:15], s[6:7], 0x48
	v_pk_mov_b32 v[2:3], 0, 0
	s_mov_b64 s[6:7], 0
	s_waitcnt lgkmcnt(0)
	s_bitcmp1_b32 s0, 0
	s_cselect_b64 vcc, -1, 0
	v_mov_b32_e32 v15, s11
	v_mov_b32_e32 v16, s9
	v_mov_b32_e32 v17, s15
	v_pk_mov_b32 v[0:1], v[2:3], v[2:3] op_sel:[0,1]
.LBB66_9:                               ; =>This Inner Loop Header: Depth=1
	v_ashrrev_i32_e32 v13, 31, v12
	v_lshlrev_b64 v[18:19], 2, v[12:13]
	v_add_co_u32_e64 v18, s[0:1], s8, v18
	v_addc_co_u32_e64 v19, s[0:1], v16, v19, s[0:1]
	global_load_dword v22, v[18:19], off
	v_lshlrev_b64 v[18:19], 4, v[12:13]
	v_add_co_u32_e64 v18, s[0:1], s10, v18
	v_addc_co_u32_e64 v19, s[0:1], v15, v19, s[0:1]
	global_load_dwordx4 v[18:21], v[18:19], off
	v_add_u32_e32 v12, 0x100, v12
	s_waitcnt vmcnt(1)
	v_subrev_u32_e32 v22, s20, v22
	v_ashrrev_i32_e32 v23, 31, v22
	v_lshlrev_b64 v[22:23], 4, v[22:23]
	v_add_co_u32_e64 v22, s[0:1], s14, v22
	v_addc_co_u32_e64 v23, s[0:1], v17, v23, s[0:1]
	global_load_dwordx4 v[22:25], v[22:23], off
	s_waitcnt vmcnt(1)
	v_xor_b32_e32 v13, 0x80000000, v21
	v_cndmask_b32_e32 v21, v21, v13, vcc
	v_mul_f64 v[26:27], v[20:21], -v[10:11]
	v_mul_f64 v[20:21], v[8:9], v[20:21]
	v_fmac_f64_e32 v[26:27], v[8:9], v[18:19]
	v_fmac_f64_e32 v[20:21], v[10:11], v[18:19]
	v_cmp_le_i32_e64 s[0:1], s16, v12
	s_or_b64 s[6:7], s[0:1], s[6:7]
	s_waitcnt vmcnt(0)
	v_fmac_f64_e32 v[0:1], v[26:27], v[22:23]
	v_fmac_f64_e32 v[2:3], v[20:21], v[22:23]
	v_fma_f64 v[0:1], -v[20:21], v[24:25], v[0:1]
	v_fmac_f64_e32 v[2:3], v[26:27], v[24:25]
	s_andn2_b64 exec, exec, s[6:7]
	s_cbranch_execnz .LBB66_9
; %bb.10:
	s_or_b64 exec, exec, s[6:7]
.LBB66_11:
	s_or_b64 exec, exec, s[12:13]
	s_movk_i32 s0, 0x80
	v_lshlrev_b32_e32 v8, 4, v14
	v_cmp_gt_u32_e32 vcc, s0, v14
	ds_write_b128 v8, v[0:3]
	s_waitcnt lgkmcnt(0)
	s_barrier
	s_and_saveexec_b64 s[0:1], vcc
	s_cbranch_execz .LBB66_13
; %bb.12:
	ds_read_b128 v[0:3], v8 offset:2048
	ds_read_b128 v[10:13], v8
	s_waitcnt lgkmcnt(0)
	v_add_f64 v[0:1], v[0:1], v[10:11]
	v_add_f64 v[2:3], v[2:3], v[12:13]
	ds_write_b128 v8, v[0:3]
.LBB66_13:
	s_or_b64 exec, exec, s[0:1]
	v_cmp_gt_u32_e32 vcc, 64, v14
	s_waitcnt lgkmcnt(0)
	s_barrier
	s_and_saveexec_b64 s[0:1], vcc
	s_cbranch_execz .LBB66_15
; %bb.14:
	ds_read_b128 v[0:3], v8 offset:1024
	ds_read_b128 v[10:13], v8
	s_waitcnt lgkmcnt(0)
	v_add_f64 v[0:1], v[0:1], v[10:11]
	v_add_f64 v[2:3], v[2:3], v[12:13]
	ds_write_b128 v8, v[0:3]
.LBB66_15:
	s_or_b64 exec, exec, s[0:1]
	v_cmp_gt_u32_e32 vcc, 32, v14
	;; [unrolled: 14-line block ×6, first 2 shown]
	s_waitcnt lgkmcnt(0)
	s_barrier
	s_and_saveexec_b64 s[0:1], vcc
	s_cbranch_execz .LBB66_25
; %bb.24:
	ds_read_b128 v[0:3], v8
	ds_read_b128 v[10:13], v8 offset:32
	s_waitcnt lgkmcnt(0)
	v_add_f64 v[0:1], v[10:11], v[0:1]
	v_add_f64 v[2:3], v[12:13], v[2:3]
	ds_write_b128 v8, v[0:3]
.LBB66_25:
	s_or_b64 exec, exec, s[0:1]
	v_cmp_eq_u32_e32 vcc, 0, v14
	s_waitcnt lgkmcnt(0)
	s_barrier
	s_and_saveexec_b64 s[0:1], vcc
	s_cbranch_execz .LBB66_27
; %bb.26:
	v_mov_b32_e32 v12, 0
	ds_read_b128 v[0:3], v12
	ds_read_b128 v[8:11], v12 offset:16
	s_waitcnt lgkmcnt(0)
	v_add_f64 v[0:1], v[8:9], v[0:1]
	v_add_f64 v[2:3], v[10:11], v[2:3]
	ds_write_b128 v12, v[0:3]
.LBB66_27:
	s_or_b64 exec, exec, s[0:1]
	s_waitcnt lgkmcnt(0)
	s_barrier
	s_and_b64 exec, exec, vcc
	s_cbranch_execz .LBB66_31
; %bb.28:
	v_mov_b32_e32 v8, 0
	ds_read_b128 v[0:3], v8
	v_cmp_neq_f64_e32 vcc, 0, v[4:5]
	v_cmp_neq_f64_e64 s[0:1], 0, v[6:7]
	s_or_b64 s[6:7], vcc, s[0:1]
	s_and_saveexec_b64 s[0:1], s[6:7]
	s_cbranch_execz .LBB66_30
; %bb.29:
	s_lshl_b64 s[6:7], s[2:3], 4
	s_add_u32 s6, s4, s6
	s_addc_u32 s7, s5, s7
	s_load_dwordx4 s[8:11], s[6:7], 0x0
	s_waitcnt lgkmcnt(0)
	v_fmac_f64_e32 v[0:1], s[8:9], v[4:5]
	v_fmac_f64_e32 v[2:3], s[8:9], v[6:7]
	v_fma_f64 v[0:1], -v[6:7], s[10:11], v[0:1]
	v_fmac_f64_e32 v[2:3], s[10:11], v[4:5]
.LBB66_30:
	s_or_b64 exec, exec, s[0:1]
	s_lshl_b64 s[0:1], s[2:3], 4
	s_add_u32 s0, s4, s0
	s_addc_u32 s1, s5, s1
	s_waitcnt lgkmcnt(0)
	global_store_dwordx4 v8, v[0:3], s[0:1]
.LBB66_31:
	s_endpgm
	.section	.rodata,"a",@progbits
	.p2align	6, 0x0
	.amdhsa_kernel _ZN9rocsparseL29csrmvn_lrb_medium_rows_kernelILj256Eii21rocsparse_complex_numIdES2_S2_S2_EEvbT0_PT1_S5_jNS_24const_host_device_scalarIT5_EEPKS3_PKS4_PKT2_PKT3_S8_PT4_21rocsparse_index_base_b
		.amdhsa_group_segment_fixed_size 8192
		.amdhsa_private_segment_fixed_size 0
		.amdhsa_kernarg_size 112
		.amdhsa_user_sgpr_count 8
		.amdhsa_user_sgpr_private_segment_buffer 1
		.amdhsa_user_sgpr_dispatch_ptr 1
		.amdhsa_user_sgpr_queue_ptr 0
		.amdhsa_user_sgpr_kernarg_segment_ptr 1
		.amdhsa_user_sgpr_dispatch_id 0
		.amdhsa_user_sgpr_flat_scratch_init 0
		.amdhsa_user_sgpr_kernarg_preload_length 0
		.amdhsa_user_sgpr_kernarg_preload_offset 0
		.amdhsa_user_sgpr_private_segment_size 0
		.amdhsa_uses_dynamic_stack 0
		.amdhsa_system_sgpr_private_segment_wavefront_offset 0
		.amdhsa_system_sgpr_workgroup_id_x 1
		.amdhsa_system_sgpr_workgroup_id_y 0
		.amdhsa_system_sgpr_workgroup_id_z 0
		.amdhsa_system_sgpr_workgroup_info 0
		.amdhsa_system_vgpr_workitem_id 2
		.amdhsa_next_free_vgpr 28
		.amdhsa_next_free_sgpr 22
		.amdhsa_accum_offset 28
		.amdhsa_reserve_vcc 1
		.amdhsa_reserve_flat_scratch 0
		.amdhsa_float_round_mode_32 0
		.amdhsa_float_round_mode_16_64 0
		.amdhsa_float_denorm_mode_32 3
		.amdhsa_float_denorm_mode_16_64 3
		.amdhsa_dx10_clamp 1
		.amdhsa_ieee_mode 1
		.amdhsa_fp16_overflow 0
		.amdhsa_tg_split 0
		.amdhsa_exception_fp_ieee_invalid_op 0
		.amdhsa_exception_fp_denorm_src 0
		.amdhsa_exception_fp_ieee_div_zero 0
		.amdhsa_exception_fp_ieee_overflow 0
		.amdhsa_exception_fp_ieee_underflow 0
		.amdhsa_exception_fp_ieee_inexact 0
		.amdhsa_exception_int_div_zero 0
	.end_amdhsa_kernel
	.section	.text._ZN9rocsparseL29csrmvn_lrb_medium_rows_kernelILj256Eii21rocsparse_complex_numIdES2_S2_S2_EEvbT0_PT1_S5_jNS_24const_host_device_scalarIT5_EEPKS3_PKS4_PKT2_PKT3_S8_PT4_21rocsparse_index_base_b,"axG",@progbits,_ZN9rocsparseL29csrmvn_lrb_medium_rows_kernelILj256Eii21rocsparse_complex_numIdES2_S2_S2_EEvbT0_PT1_S5_jNS_24const_host_device_scalarIT5_EEPKS3_PKS4_PKT2_PKT3_S8_PT4_21rocsparse_index_base_b,comdat
.Lfunc_end66:
	.size	_ZN9rocsparseL29csrmvn_lrb_medium_rows_kernelILj256Eii21rocsparse_complex_numIdES2_S2_S2_EEvbT0_PT1_S5_jNS_24const_host_device_scalarIT5_EEPKS3_PKS4_PKT2_PKT3_S8_PT4_21rocsparse_index_base_b, .Lfunc_end66-_ZN9rocsparseL29csrmvn_lrb_medium_rows_kernelILj256Eii21rocsparse_complex_numIdES2_S2_S2_EEvbT0_PT1_S5_jNS_24const_host_device_scalarIT5_EEPKS3_PKS4_PKT2_PKT3_S8_PT4_21rocsparse_index_base_b
                                        ; -- End function
	.section	.AMDGPU.csdata,"",@progbits
; Kernel info:
; codeLenInByte = 1468
; NumSgprs: 26
; NumVgprs: 28
; NumAgprs: 0
; TotalNumVgprs: 28
; ScratchSize: 0
; MemoryBound: 0
; FloatMode: 240
; IeeeMode: 1
; LDSByteSize: 8192 bytes/workgroup (compile time only)
; SGPRBlocks: 3
; VGPRBlocks: 3
; NumSGPRsForWavesPerEU: 26
; NumVGPRsForWavesPerEU: 28
; AccumOffset: 28
; Occupancy: 8
; WaveLimiterHint : 1
; COMPUTE_PGM_RSRC2:SCRATCH_EN: 0
; COMPUTE_PGM_RSRC2:USER_SGPR: 8
; COMPUTE_PGM_RSRC2:TRAP_HANDLER: 0
; COMPUTE_PGM_RSRC2:TGID_X_EN: 1
; COMPUTE_PGM_RSRC2:TGID_Y_EN: 0
; COMPUTE_PGM_RSRC2:TGID_Z_EN: 0
; COMPUTE_PGM_RSRC2:TIDIG_COMP_CNT: 2
; COMPUTE_PGM_RSRC3_GFX90A:ACCUM_OFFSET: 6
; COMPUTE_PGM_RSRC3_GFX90A:TG_SPLIT: 0
	.section	.text._ZN9rocsparseL27csrmvn_lrb_long_rows_kernelIii21rocsparse_complex_numIdES2_S2_S2_EEvbT_PjPT0_S6_jNS_24const_host_device_scalarIT4_EEPKS3_PKS5_PKT1_PKT2_S9_PT3_21rocsparse_index_base_b,"axG",@progbits,_ZN9rocsparseL27csrmvn_lrb_long_rows_kernelIii21rocsparse_complex_numIdES2_S2_S2_EEvbT_PjPT0_S6_jNS_24const_host_device_scalarIT4_EEPKS3_PKS5_PKT1_PKT2_S9_PT3_21rocsparse_index_base_b,comdat
	.globl	_ZN9rocsparseL27csrmvn_lrb_long_rows_kernelIii21rocsparse_complex_numIdES2_S2_S2_EEvbT_PjPT0_S6_jNS_24const_host_device_scalarIT4_EEPKS3_PKS5_PKT1_PKT2_S9_PT3_21rocsparse_index_base_b ; -- Begin function _ZN9rocsparseL27csrmvn_lrb_long_rows_kernelIii21rocsparse_complex_numIdES2_S2_S2_EEvbT_PjPT0_S6_jNS_24const_host_device_scalarIT4_EEPKS3_PKS5_PKT1_PKT2_S9_PT3_21rocsparse_index_base_b
	.p2align	8
	.type	_ZN9rocsparseL27csrmvn_lrb_long_rows_kernelIii21rocsparse_complex_numIdES2_S2_S2_EEvbT_PjPT0_S6_jNS_24const_host_device_scalarIT4_EEPKS3_PKS5_PKT1_PKT2_S9_PT3_21rocsparse_index_base_b,@function
_ZN9rocsparseL27csrmvn_lrb_long_rows_kernelIii21rocsparse_complex_numIdES2_S2_S2_EEvbT_PjPT0_S6_jNS_24const_host_device_scalarIT4_EEPKS3_PKS5_PKT1_PKT2_S9_PT3_21rocsparse_index_base_b: ; @_ZN9rocsparseL27csrmvn_lrb_long_rows_kernelIii21rocsparse_complex_numIdES2_S2_S2_EEvbT_PjPT0_S6_jNS_24const_host_device_scalarIT4_EEPKS3_PKS5_PKT1_PKT2_S9_PT3_21rocsparse_index_base_b
; %bb.0:
	s_load_dwordx2 s[20:21], s[6:7], 0x70
	s_load_dwordx4 s[12:15], s[6:7], 0x28
	s_load_dwordx2 s[10:11], s[4:5], 0x4
	s_load_dwordx4 s[16:19], s[6:7], 0x58
	s_mov_b64 s[2:3], src_shared_base
	v_and_b32_e32 v12, 0x3ff, v0
	s_waitcnt lgkmcnt(0)
	s_bitcmp1_b32 s21, 0
	s_cselect_b64 s[0:1], -1, 0
	s_and_b64 vcc, s[0:1], exec
	s_cselect_b32 s2, s3, s13
	s_lshr_b32 s4, s10, 16
	s_mul_i32 s4, s4, s11
	v_mul_lo_u32 v1, s4, v12
	v_bfe_u32 v2, v0, 10, 10
	v_mad_u32_u24 v1, v2, s11, v1
	v_bfe_u32 v0, v0, 20, 10
	v_add_lshl_u32 v6, v1, v0, 3
	v_mov_b32_e32 v4, s12
	v_add_u32_e32 v5, 0x1800, v6
	v_pk_mov_b32 v[0:1], s[12:13], s[12:13] op_sel:[0,1]
	v_pk_mov_b32 v[2:3], s[16:17], s[16:17] op_sel:[0,1]
	ds_write2st64_b64 v6, v[2:3], v[0:1] offset0:8 offset1:12
	v_cndmask_b32_e64 v0, v4, v5, s[0:1]
	v_mov_b32_e32 v1, s2
	flat_load_dwordx2 v[4:5], v[0:1]
	s_xor_b64 s[4:5], s[0:1], -1
	v_add_u32_e32 v0, 0x1000, v6
	v_pk_mov_b32 v[6:7], s[14:15], s[14:15] op_sel:[0,1]
	s_cbranch_vccnz .LBB67_2
; %bb.1:
	v_pk_mov_b32 v[2:3], s[12:13], s[12:13] op_sel:[0,1]
	flat_load_dwordx2 v[6:7], v[2:3] offset:8
.LBB67_2:
	s_and_b64 s[10:11], s[0:1], exec
	s_cselect_b32 s2, s3, s17
	v_mov_b32_e32 v1, s16
	v_cndmask_b32_e64 v0, v1, v0, s[0:1]
	v_mov_b32_e32 v1, s2
	flat_load_dwordx2 v[10:11], v[0:1]
	s_andn2_b64 vcc, exec, s[4:5]
	v_pk_mov_b32 v[8:9], s[18:19], s[18:19] op_sel:[0,1]
	s_cbranch_vccnz .LBB67_4
; %bb.3:
	v_pk_mov_b32 v[0:1], s[16:17], s[16:17] op_sel:[0,1]
	flat_load_dwordx2 v[8:9], v[0:1] offset:8
.LBB67_4:
	s_waitcnt vmcnt(0) lgkmcnt(0)
	v_cmp_eq_f64_e32 vcc, 0, v[4:5]
	v_cmp_eq_f64_e64 s[0:1], 0, v[6:7]
	s_and_b64 s[4:5], vcc, s[0:1]
	s_mov_b64 s[0:1], -1
	s_and_saveexec_b64 s[2:3], s[4:5]
; %bb.5:
	v_cmp_neq_f64_e32 vcc, 1.0, v[10:11]
	v_cmp_neq_f64_e64 s[0:1], 0, v[8:9]
	s_or_b64 s[0:1], vcc, s[0:1]
	s_orn2_b64 s[0:1], s[0:1], exec
; %bb.6:
	s_or_b64 exec, exec, s[2:3]
	s_and_saveexec_b64 s[2:3], s[0:1]
	s_cbranch_execz .LBB67_44
; %bb.7:
	s_load_dword s0, s[6:7], 0x20
	s_load_dwordx2 s[2:3], s[6:7], 0x18
	s_mov_b32 s1, 0
	s_waitcnt lgkmcnt(0)
	s_lshl_b64 s[4:5], s[0:1], 2
	s_add_u32 s2, s2, s4
	s_addc_u32 s3, s3, s5
	s_lshl_b32 s0, -1, s0
	s_not_b32 s0, s0
	s_mul_hi_u32 s0, s0, 0x2aaaaaab
	s_lshr_b32 s0, s0, 7
	s_add_i32 s1, s0, 1
	v_cvt_f32_u32_e32 v0, s1
	s_load_dwordx4 s[12:15], s[6:7], 0x8
	s_load_dword s4, s[2:3], 0x0
	s_not_b32 s0, s0
	v_rcp_iflag_f32_e32 v0, v0
	v_mul_f32_e32 v0, 0x4f7ffffe, v0
	v_cvt_u32_f32_e32 v0, v0
	v_readfirstlane_b32 s2, v0
	s_mul_i32 s0, s0, s2
	s_mul_hi_u32 s0, s2, s0
	s_add_i32 s2, s2, s0
	s_mul_hi_u32 s0, s8, s2
	s_mul_i32 s2, s0, s1
	s_sub_i32 s2, s8, s2
	s_add_i32 s3, s0, 1
	s_sub_i32 s5, s2, s1
	s_cmp_ge_u32 s2, s1
	s_cselect_b32 s0, s3, s0
	s_cselect_b32 s2, s5, s2
	s_add_i32 s3, s0, 1
	s_cmp_ge_u32 s2, s1
	s_cselect_b32 s0, s3, s0
	s_mul_i32 s18, s0, s1
	s_waitcnt lgkmcnt(0)
	s_add_i32 s0, s0, s4
	s_ashr_i32 s1, s0, 31
	s_sub_i32 s24, s8, s18
	s_lshl_b64 s[0:1], s[0:1], 2
	s_add_u32 s0, s14, s0
	s_addc_u32 s1, s15, s1
	s_load_dword s14, s[0:1], 0x0
	s_load_dwordx2 s[2:3], s[6:7], 0x38
	s_load_dwordx2 s[4:5], s[6:7], 0x68
	v_or_b32_e32 v0, s24, v12
	v_cmp_eq_u32_e32 vcc, 0, v0
	s_waitcnt lgkmcnt(0)
	s_ashr_i32 s15, s14, 31
	s_lshl_b64 s[0:1], s[14:15], 2
	s_add_u32 s0, s2, s0
	s_addc_u32 s1, s3, s1
	s_ashr_i32 s9, s8, 31
	s_load_dwordx2 s[10:11], s[0:1], 0x0
	s_lshl_b64 s[0:1], s[8:9], 2
	s_add_u32 s16, s12, s0
	s_addc_u32 s17, s13, s1
	s_load_dword s21, s[16:17], 0x0
	v_pk_mov_b32 v[0:1], 0, 0
	v_pk_mov_b32 v[2:3], v[0:1], v[0:1] op_sel:[0,1]
	s_and_saveexec_b64 s[8:9], vcc
	s_cbranch_execz .LBB67_11
; %bb.8:
	s_lshl_b64 s[0:1], s[14:15], 4
	s_add_u32 s0, s4, s0
	s_addc_u32 s1, s5, s1
	s_load_dwordx4 s[0:3], s[0:1], 0x0
	s_mov_b64 s[22:23], exec
	v_mbcnt_lo_u32_b32 v13, s22, 0
	v_add_f64 v[10:11], v[10:11], -1.0
	v_mbcnt_hi_u32_b32 v13, s23, v13
	s_waitcnt lgkmcnt(0)
	v_mul_f64 v[0:1], s[2:3], -v[8:9]
	v_mul_f64 v[2:3], v[10:11], s[2:3]
	v_cmp_eq_u32_e32 vcc, 0, v13
	s_waitcnt vmcnt(0) expcnt(0) lgkmcnt(0)
	s_and_saveexec_b64 s[2:3], vcc
	s_cbranch_execz .LBB67_10
; %bb.9:
	s_ashr_i32 s19, s18, 31
	s_lshl_b64 s[26:27], s[18:19], 2
	s_add_u32 s26, s12, s26
	s_addc_u32 s27, s13, s27
	s_bcnt1_i32_b64 s19, s[22:23]
	s_and_b32 s19, s19, 1
	v_mov_b32_e32 v13, 0
	v_mov_b32_e32 v14, s19
	global_atomic_xor v13, v14, s[26:27]
.LBB67_10:
	s_or_b64 exec, exec, s[2:3]
	v_fmac_f64_e32 v[0:1], s[0:1], v[10:11]
	v_fmac_f64_e32 v[2:3], s[0:1], v[8:9]
.LBB67_11:
	s_or_b64 exec, exec, s[8:9]
	s_mul_i32 s0, s24, 0x300
	s_sub_i32 s0, s0, s20
	s_waitcnt lgkmcnt(0)
	s_add_i32 s0, s0, s10
	s_sub_i32 s1, s11, s20
	s_add_i32 s2, s0, 0x300
	s_min_i32 s19, s2, s1
	v_add_u32_e32 v8, s0, v12
	v_cmp_gt_i32_e32 vcc, s19, v8
	s_and_saveexec_b64 s[2:3], vcc
	s_cbranch_execz .LBB67_15
; %bb.12:
	s_load_dword s0, s[6:7], 0x0
	s_load_dwordx4 s[8:11], s[6:7], 0x40
	s_load_dwordx2 s[22:23], s[6:7], 0x50
	s_mov_b64 s[6:7], 0
	s_waitcnt lgkmcnt(0)
	s_bitcmp1_b32 s0, 0
	v_mov_b32_e32 v10, s11
	s_cselect_b64 vcc, -1, 0
	v_mov_b32_e32 v11, s9
	v_mov_b32_e32 v13, s23
.LBB67_13:                              ; =>This Inner Loop Header: Depth=1
	v_ashrrev_i32_e32 v9, 31, v8
	v_lshlrev_b64 v[14:15], 2, v[8:9]
	v_add_co_u32_e64 v14, s[0:1], s8, v14
	v_addc_co_u32_e64 v15, s[0:1], v11, v15, s[0:1]
	global_load_dword v18, v[14:15], off
	v_lshlrev_b64 v[14:15], 4, v[8:9]
	v_add_co_u32_e64 v14, s[0:1], s10, v14
	v_addc_co_u32_e64 v15, s[0:1], v10, v15, s[0:1]
	global_load_dwordx4 v[14:17], v[14:15], off
	v_add_u32_e32 v8, 0x100, v8
	s_waitcnt vmcnt(1)
	v_subrev_u32_e32 v18, s20, v18
	v_ashrrev_i32_e32 v19, 31, v18
	v_lshlrev_b64 v[18:19], 4, v[18:19]
	v_add_co_u32_e64 v18, s[0:1], s22, v18
	v_addc_co_u32_e64 v19, s[0:1], v13, v19, s[0:1]
	global_load_dwordx4 v[18:21], v[18:19], off
	s_waitcnt vmcnt(1)
	v_xor_b32_e32 v9, 0x80000000, v17
	v_cndmask_b32_e32 v17, v17, v9, vcc
	v_mul_f64 v[22:23], v[16:17], -v[6:7]
	v_mul_f64 v[16:17], v[4:5], v[16:17]
	v_fmac_f64_e32 v[22:23], v[4:5], v[14:15]
	v_fmac_f64_e32 v[16:17], v[6:7], v[14:15]
	v_cmp_le_i32_e64 s[0:1], s19, v8
	s_or_b64 s[6:7], s[0:1], s[6:7]
	s_waitcnt vmcnt(0)
	v_fmac_f64_e32 v[0:1], v[22:23], v[18:19]
	v_fmac_f64_e32 v[2:3], v[16:17], v[18:19]
	v_fma_f64 v[0:1], -v[16:17], v[20:21], v[0:1]
	v_fmac_f64_e32 v[2:3], v[22:23], v[20:21]
	s_andn2_b64 exec, exec, s[6:7]
	s_cbranch_execnz .LBB67_13
; %bb.14:
	s_or_b64 exec, exec, s[6:7]
.LBB67_15:
	s_or_b64 exec, exec, s[2:3]
	s_movk_i32 s0, 0x80
	v_lshlrev_b32_e32 v4, 4, v12
	v_cmp_gt_u32_e32 vcc, s0, v12
	ds_write_b128 v4, v[0:3]
	s_waitcnt lgkmcnt(0)
	s_barrier
	s_and_saveexec_b64 s[0:1], vcc
	s_cbranch_execz .LBB67_17
; %bb.16:
	ds_read_b128 v[0:3], v4 offset:2048
	ds_read_b128 v[6:9], v4
	s_waitcnt lgkmcnt(0)
	v_add_f64 v[0:1], v[0:1], v[6:7]
	v_add_f64 v[2:3], v[2:3], v[8:9]
	ds_write_b128 v4, v[0:3]
.LBB67_17:
	s_or_b64 exec, exec, s[0:1]
	v_cmp_gt_u32_e32 vcc, 64, v12
	s_waitcnt lgkmcnt(0)
	s_barrier
	s_and_saveexec_b64 s[0:1], vcc
	s_cbranch_execz .LBB67_19
; %bb.18:
	ds_read_b128 v[0:3], v4 offset:1024
	ds_read_b128 v[6:9], v4
	s_waitcnt lgkmcnt(0)
	v_add_f64 v[0:1], v[0:1], v[6:7]
	v_add_f64 v[2:3], v[2:3], v[8:9]
	ds_write_b128 v4, v[0:3]
.LBB67_19:
	s_or_b64 exec, exec, s[0:1]
	v_cmp_gt_u32_e32 vcc, 32, v12
	s_waitcnt lgkmcnt(0)
	s_barrier
	s_and_saveexec_b64 s[0:1], vcc
	s_cbranch_execz .LBB67_21
; %bb.20:
	ds_read_b128 v[0:3], v4 offset:512
	ds_read_b128 v[6:9], v4
	s_waitcnt lgkmcnt(0)
	v_add_f64 v[0:1], v[0:1], v[6:7]
	v_add_f64 v[2:3], v[2:3], v[8:9]
	ds_write_b128 v4, v[0:3]
.LBB67_21:
	s_or_b64 exec, exec, s[0:1]
	v_cmp_gt_u32_e32 vcc, 16, v12
	s_waitcnt lgkmcnt(0)
	s_barrier
	s_and_saveexec_b64 s[0:1], vcc
	s_cbranch_execz .LBB67_23
; %bb.22:
	ds_read_b128 v[0:3], v4 offset:256
	ds_read_b128 v[6:9], v4
	s_waitcnt lgkmcnt(0)
	v_add_f64 v[0:1], v[0:1], v[6:7]
	v_add_f64 v[2:3], v[2:3], v[8:9]
	ds_write_b128 v4, v[0:3]
.LBB67_23:
	s_or_b64 exec, exec, s[0:1]
	v_cmp_gt_u32_e32 vcc, 8, v12
	s_waitcnt lgkmcnt(0)
	s_barrier
	s_and_saveexec_b64 s[0:1], vcc
	s_cbranch_execz .LBB67_25
; %bb.24:
	ds_read_b128 v[0:3], v4 offset:128
	ds_read_b128 v[6:9], v4
	s_waitcnt lgkmcnt(0)
	v_add_f64 v[0:1], v[0:1], v[6:7]
	v_add_f64 v[2:3], v[2:3], v[8:9]
	ds_write_b128 v4, v[0:3]
.LBB67_25:
	s_or_b64 exec, exec, s[0:1]
	v_cmp_gt_u32_e32 vcc, 4, v12
	s_waitcnt lgkmcnt(0)
	s_barrier
	s_and_saveexec_b64 s[0:1], vcc
	s_cbranch_execz .LBB67_27
; %bb.26:
	ds_read_b128 v[0:3], v4 offset:64
	ds_read_b128 v[6:9], v4
	s_waitcnt lgkmcnt(0)
	v_add_f64 v[0:1], v[0:1], v[6:7]
	v_add_f64 v[2:3], v[2:3], v[8:9]
	ds_write_b128 v4, v[0:3]
.LBB67_27:
	s_or_b64 exec, exec, s[0:1]
	v_cmp_gt_u32_e32 vcc, 2, v12
	s_waitcnt lgkmcnt(0)
	s_barrier
	s_and_saveexec_b64 s[0:1], vcc
	s_cbranch_execz .LBB67_29
; %bb.28:
	ds_read_b128 v[0:3], v4
	ds_read_b128 v[6:9], v4 offset:32
	s_waitcnt lgkmcnt(0)
	v_add_f64 v[0:1], v[6:7], v[0:1]
	v_add_f64 v[2:3], v[8:9], v[2:3]
	ds_write_b128 v4, v[0:3]
.LBB67_29:
	s_or_b64 exec, exec, s[0:1]
	v_cmp_eq_u32_e32 vcc, 0, v12
	s_waitcnt lgkmcnt(0)
	s_barrier
	s_and_saveexec_b64 s[0:1], vcc
	s_cbranch_execz .LBB67_31
; %bb.30:
	v_mov_b32_e32 v8, 0
	ds_read_b128 v[0:3], v8
	ds_read_b128 v[4:7], v8 offset:16
	s_waitcnt lgkmcnt(0)
	v_add_f64 v[0:1], v[4:5], v[0:1]
	v_add_f64 v[2:3], v[6:7], v[2:3]
	ds_write_b128 v8, v[0:3]
.LBB67_31:
	s_or_b64 exec, exec, s[0:1]
	s_waitcnt lgkmcnt(0)
	s_barrier
	s_and_b64 exec, exec, vcc
	s_cbranch_execz .LBB67_44
; %bb.32:
	s_cmp_eq_u32 s24, 0
	s_cbranch_scc1 .LBB67_38
; %bb.33:
	s_ashr_i32 s19, s18, 31
	s_lshl_b64 s[0:1], s[18:19], 2
	s_add_u32 s0, s12, s0
	s_addc_u32 s1, s13, s1
	v_mov_b32_e32 v0, 0
	s_branch .LBB67_35
.LBB67_34:                              ;   in Loop: Header=BB67_35 Depth=1
	s_or_b64 exec, exec, s[2:3]
	s_waitcnt vmcnt(0)
	v_readfirstlane_b32 s2, v1
	s_cmp_eq_u32 s2, s21
	s_cbranch_scc0 .LBB67_37
.LBB67_35:                              ; =>This Inner Loop Header: Depth=1
	v_mbcnt_lo_u32_b32 v1, exec_lo, 0
	v_mbcnt_hi_u32_b32 v1, exec_hi, v1
	v_cmp_eq_u32_e32 vcc, 0, v1
                                        ; implicit-def: $vgpr1
	s_and_saveexec_b64 s[2:3], vcc
	s_cbranch_execz .LBB67_34
; %bb.36:                               ;   in Loop: Header=BB67_35 Depth=1
	global_load_dword v1, v0, s[0:1] glc
	s_branch .LBB67_34
.LBB67_37:
	v_mov_b32_e32 v0, 0
	global_load_dword v1, v0, s[16:17]
	s_waitcnt vmcnt(0)
	v_xor_b32_e32 v1, 1, v1
	global_store_dword v0, v1, s[16:17]
.LBB67_38:
	v_mov_b32_e32 v8, 0
	ds_read_b128 v[0:3], v8
	s_mov_b64 s[6:7], exec
	s_lshl_b64 s[0:1], s[14:15], 4
	v_mbcnt_lo_u32_b32 v4, s6, 0
	s_add_u32 s0, s4, s0
	v_mbcnt_hi_u32_b32 v4, s7, v4
	s_addc_u32 s1, s5, s1
	v_cmp_eq_u32_e32 vcc, 0, v4
	s_and_saveexec_b64 s[2:3], vcc
	s_cbranch_execz .LBB67_41
; %bb.39:
	global_load_dwordx2 v[6:7], v8, s[0:1]
	s_bcnt1_i32_b64 s4, s[6:7]
	v_cvt_f64_u32_e32 v[4:5], s4
	s_waitcnt lgkmcnt(0)
	v_mul_f64 v[0:1], v[0:1], v[4:5]
	s_mov_b64 s[4:5], 0
.LBB67_40:                              ; =>This Inner Loop Header: Depth=1
	s_waitcnt vmcnt(0)
	v_add_f64 v[4:5], v[6:7], v[0:1]
	global_atomic_cmpswap_x2 v[4:5], v8, v[4:7], s[0:1] glc
	s_waitcnt vmcnt(0)
	v_cmp_eq_u64_e32 vcc, v[4:5], v[6:7]
	s_or_b64 s[4:5], vcc, s[4:5]
	v_pk_mov_b32 v[6:7], v[4:5], v[4:5] op_sel:[0,1]
	s_andn2_b64 exec, exec, s[4:5]
	s_cbranch_execnz .LBB67_40
.LBB67_41:
	s_or_b64 exec, exec, s[2:3]
	s_mov_b64 s[2:3], exec
	s_waitcnt lgkmcnt(0)
	v_mbcnt_lo_u32_b32 v0, s2, 0
	v_mbcnt_hi_u32_b32 v0, s3, v0
	v_cmp_eq_u32_e32 vcc, 0, v0
	s_and_b64 s[4:5], exec, vcc
	s_mov_b64 exec, s[4:5]
	s_cbranch_execz .LBB67_44
; %bb.42:
	v_mov_b32_e32 v6, 0
	global_load_dwordx2 v[4:5], v6, s[0:1] offset:8
	s_bcnt1_i32_b64 s2, s[2:3]
	v_cvt_f64_u32_e32 v[0:1], s2
	v_mul_f64 v[0:1], v[2:3], v[0:1]
	s_mov_b64 s[2:3], 0
.LBB67_43:                              ; =>This Inner Loop Header: Depth=1
	s_waitcnt vmcnt(0)
	v_add_f64 v[2:3], v[4:5], v[0:1]
	global_atomic_cmpswap_x2 v[2:3], v6, v[2:5], s[0:1] offset:8 glc
	s_waitcnt vmcnt(0)
	v_cmp_eq_u64_e32 vcc, v[2:3], v[4:5]
	s_or_b64 s[2:3], vcc, s[2:3]
	v_pk_mov_b32 v[4:5], v[2:3], v[2:3] op_sel:[0,1]
	s_andn2_b64 exec, exec, s[2:3]
	s_cbranch_execnz .LBB67_43
.LBB67_44:
	s_endpgm
	.section	.rodata,"a",@progbits
	.p2align	6, 0x0
	.amdhsa_kernel _ZN9rocsparseL27csrmvn_lrb_long_rows_kernelIii21rocsparse_complex_numIdES2_S2_S2_EEvbT_PjPT0_S6_jNS_24const_host_device_scalarIT4_EEPKS3_PKS5_PKT1_PKT2_S9_PT3_21rocsparse_index_base_b
		.amdhsa_group_segment_fixed_size 8192
		.amdhsa_private_segment_fixed_size 0
		.amdhsa_kernarg_size 120
		.amdhsa_user_sgpr_count 8
		.amdhsa_user_sgpr_private_segment_buffer 1
		.amdhsa_user_sgpr_dispatch_ptr 1
		.amdhsa_user_sgpr_queue_ptr 0
		.amdhsa_user_sgpr_kernarg_segment_ptr 1
		.amdhsa_user_sgpr_dispatch_id 0
		.amdhsa_user_sgpr_flat_scratch_init 0
		.amdhsa_user_sgpr_kernarg_preload_length 0
		.amdhsa_user_sgpr_kernarg_preload_offset 0
		.amdhsa_user_sgpr_private_segment_size 0
		.amdhsa_uses_dynamic_stack 0
		.amdhsa_system_sgpr_private_segment_wavefront_offset 0
		.amdhsa_system_sgpr_workgroup_id_x 1
		.amdhsa_system_sgpr_workgroup_id_y 0
		.amdhsa_system_sgpr_workgroup_id_z 0
		.amdhsa_system_sgpr_workgroup_info 0
		.amdhsa_system_vgpr_workitem_id 2
		.amdhsa_next_free_vgpr 24
		.amdhsa_next_free_sgpr 28
		.amdhsa_accum_offset 24
		.amdhsa_reserve_vcc 1
		.amdhsa_reserve_flat_scratch 0
		.amdhsa_float_round_mode_32 0
		.amdhsa_float_round_mode_16_64 0
		.amdhsa_float_denorm_mode_32 3
		.amdhsa_float_denorm_mode_16_64 3
		.amdhsa_dx10_clamp 1
		.amdhsa_ieee_mode 1
		.amdhsa_fp16_overflow 0
		.amdhsa_tg_split 0
		.amdhsa_exception_fp_ieee_invalid_op 0
		.amdhsa_exception_fp_denorm_src 0
		.amdhsa_exception_fp_ieee_div_zero 0
		.amdhsa_exception_fp_ieee_overflow 0
		.amdhsa_exception_fp_ieee_underflow 0
		.amdhsa_exception_fp_ieee_inexact 0
		.amdhsa_exception_int_div_zero 0
	.end_amdhsa_kernel
	.section	.text._ZN9rocsparseL27csrmvn_lrb_long_rows_kernelIii21rocsparse_complex_numIdES2_S2_S2_EEvbT_PjPT0_S6_jNS_24const_host_device_scalarIT4_EEPKS3_PKS5_PKT1_PKT2_S9_PT3_21rocsparse_index_base_b,"axG",@progbits,_ZN9rocsparseL27csrmvn_lrb_long_rows_kernelIii21rocsparse_complex_numIdES2_S2_S2_EEvbT_PjPT0_S6_jNS_24const_host_device_scalarIT4_EEPKS3_PKS5_PKT1_PKT2_S9_PT3_21rocsparse_index_base_b,comdat
.Lfunc_end67:
	.size	_ZN9rocsparseL27csrmvn_lrb_long_rows_kernelIii21rocsparse_complex_numIdES2_S2_S2_EEvbT_PjPT0_S6_jNS_24const_host_device_scalarIT4_EEPKS3_PKS5_PKT1_PKT2_S9_PT3_21rocsparse_index_base_b, .Lfunc_end67-_ZN9rocsparseL27csrmvn_lrb_long_rows_kernelIii21rocsparse_complex_numIdES2_S2_S2_EEvbT_PjPT0_S6_jNS_24const_host_device_scalarIT4_EEPKS3_PKS5_PKT1_PKT2_S9_PT3_21rocsparse_index_base_b
                                        ; -- End function
	.section	.AMDGPU.csdata,"",@progbits
; Kernel info:
; codeLenInByte = 2052
; NumSgprs: 32
; NumVgprs: 24
; NumAgprs: 0
; TotalNumVgprs: 24
; ScratchSize: 0
; MemoryBound: 0
; FloatMode: 240
; IeeeMode: 1
; LDSByteSize: 8192 bytes/workgroup (compile time only)
; SGPRBlocks: 3
; VGPRBlocks: 2
; NumSGPRsForWavesPerEU: 32
; NumVGPRsForWavesPerEU: 24
; AccumOffset: 24
; Occupancy: 8
; WaveLimiterHint : 1
; COMPUTE_PGM_RSRC2:SCRATCH_EN: 0
; COMPUTE_PGM_RSRC2:USER_SGPR: 8
; COMPUTE_PGM_RSRC2:TRAP_HANDLER: 0
; COMPUTE_PGM_RSRC2:TGID_X_EN: 1
; COMPUTE_PGM_RSRC2:TGID_Y_EN: 0
; COMPUTE_PGM_RSRC2:TGID_Z_EN: 0
; COMPUTE_PGM_RSRC2:TIDIG_COMP_CNT: 2
; COMPUTE_PGM_RSRC3_GFX90A:ACCUM_OFFSET: 5
; COMPUTE_PGM_RSRC3_GFX90A:TG_SPLIT: 0
	.section	.text._ZN9rocsparseL28csrmvn_lrb_short_rows_kernelIli21rocsparse_complex_numIdES2_S2_S2_EEvbT_PT0_S5_jNS_24const_host_device_scalarIT4_EEPKS3_PKS4_PKT1_PKT2_S8_PT3_21rocsparse_index_base_b,"axG",@progbits,_ZN9rocsparseL28csrmvn_lrb_short_rows_kernelIli21rocsparse_complex_numIdES2_S2_S2_EEvbT_PT0_S5_jNS_24const_host_device_scalarIT4_EEPKS3_PKS4_PKT1_PKT2_S8_PT3_21rocsparse_index_base_b,comdat
	.globl	_ZN9rocsparseL28csrmvn_lrb_short_rows_kernelIli21rocsparse_complex_numIdES2_S2_S2_EEvbT_PT0_S5_jNS_24const_host_device_scalarIT4_EEPKS3_PKS4_PKT1_PKT2_S8_PT3_21rocsparse_index_base_b ; -- Begin function _ZN9rocsparseL28csrmvn_lrb_short_rows_kernelIli21rocsparse_complex_numIdES2_S2_S2_EEvbT_PT0_S5_jNS_24const_host_device_scalarIT4_EEPKS3_PKS4_PKT1_PKT2_S8_PT3_21rocsparse_index_base_b
	.p2align	8
	.type	_ZN9rocsparseL28csrmvn_lrb_short_rows_kernelIli21rocsparse_complex_numIdES2_S2_S2_EEvbT_PT0_S5_jNS_24const_host_device_scalarIT4_EEPKS3_PKS4_PKT1_PKT2_S8_PT3_21rocsparse_index_base_b,@function
_ZN9rocsparseL28csrmvn_lrb_short_rows_kernelIli21rocsparse_complex_numIdES2_S2_S2_EEvbT_PT0_S5_jNS_24const_host_device_scalarIT4_EEPKS3_PKS4_PKT1_PKT2_S8_PT3_21rocsparse_index_base_b: ; @_ZN9rocsparseL28csrmvn_lrb_short_rows_kernelIli21rocsparse_complex_numIdES2_S2_S2_EEvbT_PT0_S5_jNS_24const_host_device_scalarIT4_EEPKS3_PKS4_PKT1_PKT2_S8_PT3_21rocsparse_index_base_b
; %bb.0:
	s_add_u32 flat_scratch_lo, s6, s9
	s_load_dwordx2 s[20:21], s[4:5], 0x70
	s_load_dwordx4 s[16:19], s[4:5], 0x28
	s_addc_u32 flat_scratch_hi, s7, 0
	s_add_u32 s0, s0, s9
	s_load_dwordx4 s[12:15], s[4:5], 0x58
	s_addc_u32 s1, s1, 0
	s_waitcnt lgkmcnt(0)
	s_bitcmp1_b32 s21, 0
	v_mov_b32_e32 v1, 0
	v_mov_b32_e32 v3, s16
	s_cselect_b64 s[6:7], -1, 0
	v_cndmask_b32_e64 v2, v3, v1, s[6:7]
	v_mov_b32_e32 v1, s17
	s_mov_b64 s[10:11], src_private_base
	s_and_b64 vcc, s[6:7], exec
	buffer_store_dword v1, off, s[0:3], 0 offset:4
	buffer_store_dword v3, off, s[0:3], 0
	v_mov_b32_e32 v1, s13
	s_cselect_b32 s9, s11, s17
	buffer_store_dword v1, off, s[0:3], 0 offset:12
	v_mov_b32_e32 v1, s12
	buffer_store_dword v1, off, s[0:3], 0 offset:8
	v_mov_b32_e32 v3, s9
	flat_load_dwordx2 v[10:11], v[2:3]
	s_xor_b64 s[22:23], s[6:7], -1
	v_pk_mov_b32 v[12:13], s[18:19], s[18:19] op_sel:[0,1]
	s_cbranch_vccnz .LBB68_2
; %bb.1:
	v_pk_mov_b32 v[2:3], s[16:17], s[16:17] op_sel:[0,1]
	flat_load_dwordx2 v[12:13], v[2:3] offset:8
.LBB68_2:
	s_and_b64 s[16:17], s[6:7], exec
	s_cselect_b32 s9, s11, s13
	v_mov_b32_e32 v1, 8
	v_mov_b32_e32 v2, s12
	v_cndmask_b32_e64 v2, v2, v1, s[6:7]
	v_mov_b32_e32 v3, s9
	flat_load_dwordx2 v[6:7], v[2:3]
	s_andn2_b64 vcc, exec, s[22:23]
	v_pk_mov_b32 v[8:9], s[14:15], s[14:15] op_sel:[0,1]
	s_cbranch_vccnz .LBB68_4
; %bb.3:
	v_pk_mov_b32 v[2:3], s[12:13], s[12:13] op_sel:[0,1]
	flat_load_dwordx2 v[8:9], v[2:3] offset:8
.LBB68_4:
	s_waitcnt vmcnt(0) lgkmcnt(0)
	v_cmp_eq_f64_e32 vcc, 0, v[10:11]
	v_cmp_eq_f64_e64 s[6:7], 0, v[12:13]
	s_and_b64 s[12:13], vcc, s[6:7]
	s_mov_b64 s[6:7], -1
	s_and_saveexec_b64 s[10:11], s[12:13]
; %bb.5:
	v_cmp_neq_f64_e32 vcc, 1.0, v[6:7]
	v_cmp_neq_f64_e64 s[6:7], 0, v[8:9]
	s_or_b64 s[6:7], vcc, s[6:7]
	s_orn2_b64 s[6:7], s[6:7], exec
; %bb.6:
	s_or_b64 exec, exec, s[10:11]
	s_and_saveexec_b64 s[10:11], s[6:7]
	s_cbranch_execz .LBB68_20
; %bb.7:
	s_load_dword s22, s[4:5], 0x20
	s_load_dwordx4 s[16:19], s[4:5], 0x10
	s_mov_b32 s26, 0
	s_mov_b32 s23, s26
	;; [unrolled: 1-line block ×3, first 2 shown]
	s_waitcnt lgkmcnt(0)
	s_lshl_b64 s[6:7], s[22:23], 2
	s_add_u32 s6, s18, s6
	s_addc_u32 s7, s19, s7
	s_add_i32 s10, s22, 1
	s_lshl_b64 s[10:11], s[10:11], 2
	s_add_u32 s10, s18, s10
	s_addc_u32 s11, s19, s11
	s_load_dword s21, s[6:7], 0x0
	s_load_dword s9, s[10:11], 0x0
	s_lshl_b32 s23, s8, 8
	s_add_i32 s7, s23, 0x100
	s_waitcnt lgkmcnt(0)
	s_sub_i32 s6, s9, s21
	s_min_u32 s27, s6, s7
	s_cmp_gt_u32 s22, 23
	s_cbranch_scc1 .LBB68_14
; %bb.8:
	s_load_dword s6, s[4:5], 0x0
	s_load_dwordx8 s[8:15], s[4:5], 0x38
	s_lshl_b32 s28, 0x100, s22
	v_mov_b32_e32 v17, 0
	v_bfe_u32 v14, v0, 0, s22
	s_waitcnt lgkmcnt(0)
	s_bitcmp1_b32 s6, 0
	s_cselect_b64 vcc, -1, 0
	v_mov_b32_e32 v15, v17
	v_lshl_add_u32 v1, v0, 4, 0
	s_mov_b32 s29, s26
	s_branch .LBB68_11
.LBB68_9:                               ;   in Loop: Header=BB68_11 Depth=1
	s_or_b64 exec, exec, s[24:25]
	ds_write2_b64 v1, v[18:19], v[4:5] offset1:1
.LBB68_10:                              ;   in Loop: Header=BB68_11 Depth=1
	s_or_b64 exec, exec, s[18:19]
	s_addk_i32 s29, 0x100
	s_cmp_ge_u32 s29, s28
	v_add_u32_e32 v1, 0x1000, v1
	s_cbranch_scc1 .LBB68_14
.LBB68_11:                              ; =>This Inner Loop Header: Depth=1
	v_add_u32_e32 v2, s29, v0
	v_lshrrev_b32_e32 v2, s22, v2
	v_add_u32_e32 v2, s23, v2
	v_cmp_gt_u32_e64 s[6:7], s27, v2
	s_and_saveexec_b64 s[18:19], s[6:7]
	s_cbranch_execz .LBB68_10
; %bb.12:                               ;   in Loop: Header=BB68_11 Depth=1
	v_add_u32_e32 v16, s21, v2
	v_lshlrev_b64 v[2:3], 2, v[16:17]
	v_mov_b32_e32 v4, s17
	v_add_co_u32_e64 v2, s[6:7], s16, v2
	v_addc_co_u32_e64 v3, s[6:7], v4, v3, s[6:7]
	global_load_dword v2, v[2:3], off
	v_mov_b32_e32 v4, s9
	v_pk_mov_b32 v[18:19], 0, 0
	s_waitcnt vmcnt(0)
	v_ashrrev_i32_e32 v3, 31, v2
	v_lshlrev_b64 v[2:3], 3, v[2:3]
	v_add_co_u32_e64 v2, s[6:7], s8, v2
	v_addc_co_u32_e64 v3, s[6:7], v4, v3, s[6:7]
	global_load_dwordx4 v[2:5], v[2:3], off
	s_waitcnt vmcnt(0)
	v_sub_co_u32_e64 v4, s[6:7], v4, v2
	v_subb_co_u32_e64 v5, s[6:7], v5, v3, s[6:7]
	v_cmp_gt_i64_e64 s[6:7], v[4:5], v[14:15]
	v_pk_mov_b32 v[4:5], v[18:19], v[18:19] op_sel:[0,1]
	s_and_saveexec_b64 s[24:25], s[6:7]
	s_cbranch_execz .LBB68_9
; %bb.13:                               ;   in Loop: Header=BB68_11 Depth=1
	v_mov_b32_e32 v4, s26
	v_subrev_co_u32_e64 v2, s[6:7], s20, v2
	v_subb_co_u32_e64 v3, s[6:7], v3, v4, s[6:7]
	v_add_co_u32_e64 v2, s[6:7], v2, v14
	v_addc_co_u32_e64 v3, s[6:7], 0, v3, s[6:7]
	v_lshlrev_b64 v[4:5], 2, v[2:3]
	v_mov_b32_e32 v16, s11
	v_add_co_u32_e64 v4, s[6:7], s10, v4
	v_addc_co_u32_e64 v5, s[6:7], v16, v5, s[6:7]
	global_load_dword v16, v[4:5], off
	v_lshlrev_b64 v[2:3], 4, v[2:3]
	v_mov_b32_e32 v4, s13
	v_add_co_u32_e64 v2, s[6:7], s12, v2
	v_addc_co_u32_e64 v3, s[6:7], v4, v3, s[6:7]
	global_load_dwordx4 v[2:5], v[2:3], off
	v_mov_b32_e32 v20, s15
	s_waitcnt vmcnt(1)
	v_subrev_u32_e32 v18, s20, v16
	v_ashrrev_i32_e32 v19, 31, v18
	v_lshlrev_b64 v[18:19], 4, v[18:19]
	v_add_co_u32_e64 v18, s[6:7], s14, v18
	v_addc_co_u32_e64 v19, s[6:7], v20, v19, s[6:7]
	global_load_dwordx4 v[20:23], v[18:19], off
	s_waitcnt vmcnt(1)
	v_xor_b32_e32 v16, 0x80000000, v5
	v_cndmask_b32_e32 v5, v5, v16, vcc
	v_mul_f64 v[24:25], v[4:5], -v[12:13]
	v_mul_f64 v[26:27], v[10:11], v[4:5]
	v_fmac_f64_e32 v[24:25], v[10:11], v[2:3]
	v_fmac_f64_e32 v[26:27], v[12:13], v[2:3]
	s_waitcnt vmcnt(0)
	v_mul_f64 v[18:19], v[22:23], -v[26:27]
	v_mul_f64 v[4:5], v[24:25], v[22:23]
	v_fmac_f64_e32 v[18:19], v[24:25], v[20:21]
	v_fmac_f64_e32 v[4:5], v[26:27], v[20:21]
	s_branch .LBB68_9
.LBB68_14:
	s_sub_i32 s6, s27, s23
	v_cmp_gt_u32_e32 vcc, s6, v0
	s_waitcnt lgkmcnt(0)
	s_barrier
	s_and_b64 exec, exec, vcc
	s_cbranch_execz .LBB68_20
; %bb.15:
	s_add_i32 s21, s21, s23
	v_add_u32_e32 v2, s21, v0
	v_mov_b32_e32 v3, 0
	v_lshlrev_b64 v[2:3], 2, v[2:3]
	v_mov_b32_e32 v1, s17
	v_add_co_u32_e32 v2, vcc, s16, v2
	v_addc_co_u32_e32 v3, vcc, v1, v3, vcc
	global_load_dword v4, v[2:3], off
	s_load_dwordx2 s[6:7], s[4:5], 0x68
	v_lshlrev_b32_e32 v0, s22, v0
	v_pk_mov_b32 v[2:3], 0, 0
	v_lshl_add_u32 v5, v0, 4, 0
	s_mov_b32 s4, 1
	v_pk_mov_b32 v[0:1], v[2:3], v[2:3] op_sel:[0,1]
.LBB68_16:                              ; =>This Inner Loop Header: Depth=1
	ds_read2_b64 v[10:13], v5 offset1:1
	s_lshr_b32 s5, s4, s22
	s_add_i32 s4, s4, 1
	v_add_u32_e32 v5, 16, v5
	s_cmp_lg_u32 s5, 0
	s_waitcnt lgkmcnt(0)
	v_add_f64 v[0:1], v[0:1], v[10:11]
	v_add_f64 v[2:3], v[2:3], v[12:13]
	s_cbranch_scc0 .LBB68_16
; %bb.17:
	v_cmp_neq_f64_e32 vcc, 0, v[6:7]
	v_cmp_neq_f64_e64 s[4:5], 0, v[8:9]
	s_waitcnt vmcnt(0)
	v_ashrrev_i32_e32 v5, 31, v4
	s_or_b64 s[8:9], vcc, s[4:5]
	v_lshlrev_b64 v[4:5], 4, v[4:5]
	s_and_saveexec_b64 s[4:5], s[8:9]
	s_cbranch_execz .LBB68_19
; %bb.18:
	v_mov_b32_e32 v11, s7
	v_add_co_u32_e32 v10, vcc, s6, v4
	v_addc_co_u32_e32 v11, vcc, v11, v5, vcc
	global_load_dwordx4 v[10:13], v[10:11], off
	s_waitcnt vmcnt(0)
	v_fmac_f64_e32 v[0:1], v[6:7], v[10:11]
	v_fmac_f64_e32 v[2:3], v[8:9], v[10:11]
	v_fma_f64 v[0:1], -v[8:9], v[12:13], v[0:1]
	v_fmac_f64_e32 v[2:3], v[6:7], v[12:13]
.LBB68_19:
	s_or_b64 exec, exec, s[4:5]
	v_mov_b32_e32 v6, s7
	v_add_co_u32_e32 v4, vcc, s6, v4
	v_addc_co_u32_e32 v5, vcc, v6, v5, vcc
	global_store_dwordx4 v[4:5], v[0:3], off
.LBB68_20:
	s_endpgm
	.section	.rodata,"a",@progbits
	.p2align	6, 0x0
	.amdhsa_kernel _ZN9rocsparseL28csrmvn_lrb_short_rows_kernelIli21rocsparse_complex_numIdES2_S2_S2_EEvbT_PT0_S5_jNS_24const_host_device_scalarIT4_EEPKS3_PKS4_PKT1_PKT2_S8_PT3_21rocsparse_index_base_b
		.amdhsa_group_segment_fixed_size 0
		.amdhsa_private_segment_fixed_size 24
		.amdhsa_kernarg_size 120
		.amdhsa_user_sgpr_count 8
		.amdhsa_user_sgpr_private_segment_buffer 1
		.amdhsa_user_sgpr_dispatch_ptr 0
		.amdhsa_user_sgpr_queue_ptr 0
		.amdhsa_user_sgpr_kernarg_segment_ptr 1
		.amdhsa_user_sgpr_dispatch_id 0
		.amdhsa_user_sgpr_flat_scratch_init 1
		.amdhsa_user_sgpr_kernarg_preload_length 0
		.amdhsa_user_sgpr_kernarg_preload_offset 0
		.amdhsa_user_sgpr_private_segment_size 0
		.amdhsa_uses_dynamic_stack 0
		.amdhsa_system_sgpr_private_segment_wavefront_offset 1
		.amdhsa_system_sgpr_workgroup_id_x 1
		.amdhsa_system_sgpr_workgroup_id_y 0
		.amdhsa_system_sgpr_workgroup_id_z 0
		.amdhsa_system_sgpr_workgroup_info 0
		.amdhsa_system_vgpr_workitem_id 0
		.amdhsa_next_free_vgpr 28
		.amdhsa_next_free_sgpr 30
		.amdhsa_accum_offset 28
		.amdhsa_reserve_vcc 1
		.amdhsa_reserve_flat_scratch 1
		.amdhsa_float_round_mode_32 0
		.amdhsa_float_round_mode_16_64 0
		.amdhsa_float_denorm_mode_32 3
		.amdhsa_float_denorm_mode_16_64 3
		.amdhsa_dx10_clamp 1
		.amdhsa_ieee_mode 1
		.amdhsa_fp16_overflow 0
		.amdhsa_tg_split 0
		.amdhsa_exception_fp_ieee_invalid_op 0
		.amdhsa_exception_fp_denorm_src 0
		.amdhsa_exception_fp_ieee_div_zero 0
		.amdhsa_exception_fp_ieee_overflow 0
		.amdhsa_exception_fp_ieee_underflow 0
		.amdhsa_exception_fp_ieee_inexact 0
		.amdhsa_exception_int_div_zero 0
	.end_amdhsa_kernel
	.section	.text._ZN9rocsparseL28csrmvn_lrb_short_rows_kernelIli21rocsparse_complex_numIdES2_S2_S2_EEvbT_PT0_S5_jNS_24const_host_device_scalarIT4_EEPKS3_PKS4_PKT1_PKT2_S8_PT3_21rocsparse_index_base_b,"axG",@progbits,_ZN9rocsparseL28csrmvn_lrb_short_rows_kernelIli21rocsparse_complex_numIdES2_S2_S2_EEvbT_PT0_S5_jNS_24const_host_device_scalarIT4_EEPKS3_PKS4_PKT1_PKT2_S8_PT3_21rocsparse_index_base_b,comdat
.Lfunc_end68:
	.size	_ZN9rocsparseL28csrmvn_lrb_short_rows_kernelIli21rocsparse_complex_numIdES2_S2_S2_EEvbT_PT0_S5_jNS_24const_host_device_scalarIT4_EEPKS3_PKS4_PKT1_PKT2_S8_PT3_21rocsparse_index_base_b, .Lfunc_end68-_ZN9rocsparseL28csrmvn_lrb_short_rows_kernelIli21rocsparse_complex_numIdES2_S2_S2_EEvbT_PT0_S5_jNS_24const_host_device_scalarIT4_EEPKS3_PKS4_PKT1_PKT2_S8_PT3_21rocsparse_index_base_b
                                        ; -- End function
	.section	.AMDGPU.csdata,"",@progbits
; Kernel info:
; codeLenInByte = 1164
; NumSgprs: 36
; NumVgprs: 28
; NumAgprs: 0
; TotalNumVgprs: 28
; ScratchSize: 24
; MemoryBound: 0
; FloatMode: 240
; IeeeMode: 1
; LDSByteSize: 0 bytes/workgroup (compile time only)
; SGPRBlocks: 4
; VGPRBlocks: 3
; NumSGPRsForWavesPerEU: 36
; NumVGPRsForWavesPerEU: 28
; AccumOffset: 28
; Occupancy: 8
; WaveLimiterHint : 1
; COMPUTE_PGM_RSRC2:SCRATCH_EN: 1
; COMPUTE_PGM_RSRC2:USER_SGPR: 8
; COMPUTE_PGM_RSRC2:TRAP_HANDLER: 0
; COMPUTE_PGM_RSRC2:TGID_X_EN: 1
; COMPUTE_PGM_RSRC2:TGID_Y_EN: 0
; COMPUTE_PGM_RSRC2:TGID_Z_EN: 0
; COMPUTE_PGM_RSRC2:TIDIG_COMP_CNT: 0
; COMPUTE_PGM_RSRC3_GFX90A:ACCUM_OFFSET: 6
; COMPUTE_PGM_RSRC3_GFX90A:TG_SPLIT: 0
	.section	.text._ZN9rocsparseL30csrmvn_lrb_short_rows_2_kernelIli21rocsparse_complex_numIdES2_S2_S2_EEvbT_PT0_S5_jNS_24const_host_device_scalarIT4_EEPKS3_PKS4_PKT1_PKT2_S8_PT3_21rocsparse_index_base_b,"axG",@progbits,_ZN9rocsparseL30csrmvn_lrb_short_rows_2_kernelIli21rocsparse_complex_numIdES2_S2_S2_EEvbT_PT0_S5_jNS_24const_host_device_scalarIT4_EEPKS3_PKS4_PKT1_PKT2_S8_PT3_21rocsparse_index_base_b,comdat
	.globl	_ZN9rocsparseL30csrmvn_lrb_short_rows_2_kernelIli21rocsparse_complex_numIdES2_S2_S2_EEvbT_PT0_S5_jNS_24const_host_device_scalarIT4_EEPKS3_PKS4_PKT1_PKT2_S8_PT3_21rocsparse_index_base_b ; -- Begin function _ZN9rocsparseL30csrmvn_lrb_short_rows_2_kernelIli21rocsparse_complex_numIdES2_S2_S2_EEvbT_PT0_S5_jNS_24const_host_device_scalarIT4_EEPKS3_PKS4_PKT1_PKT2_S8_PT3_21rocsparse_index_base_b
	.p2align	8
	.type	_ZN9rocsparseL30csrmvn_lrb_short_rows_2_kernelIli21rocsparse_complex_numIdES2_S2_S2_EEvbT_PT0_S5_jNS_24const_host_device_scalarIT4_EEPKS3_PKS4_PKT1_PKT2_S8_PT3_21rocsparse_index_base_b,@function
_ZN9rocsparseL30csrmvn_lrb_short_rows_2_kernelIli21rocsparse_complex_numIdES2_S2_S2_EEvbT_PT0_S5_jNS_24const_host_device_scalarIT4_EEPKS3_PKS4_PKT1_PKT2_S8_PT3_21rocsparse_index_base_b: ; @_ZN9rocsparseL30csrmvn_lrb_short_rows_2_kernelIli21rocsparse_complex_numIdES2_S2_S2_EEvbT_PT0_S5_jNS_24const_host_device_scalarIT4_EEPKS3_PKS4_PKT1_PKT2_S8_PT3_21rocsparse_index_base_b
; %bb.0:
	s_add_u32 flat_scratch_lo, s6, s9
	s_load_dwordx2 s[24:25], s[4:5], 0x70
	s_load_dwordx4 s[16:19], s[4:5], 0x28
	s_addc_u32 flat_scratch_hi, s7, 0
	s_add_u32 s0, s0, s9
	s_load_dwordx4 s[12:15], s[4:5], 0x58
	s_addc_u32 s1, s1, 0
	s_waitcnt lgkmcnt(0)
	s_bitcmp1_b32 s25, 0
	v_mov_b32_e32 v1, 0
	v_mov_b32_e32 v3, s16
	s_cselect_b64 s[6:7], -1, 0
	v_cndmask_b32_e64 v2, v3, v1, s[6:7]
	v_mov_b32_e32 v1, s17
	s_mov_b64 s[10:11], src_private_base
	s_and_b64 vcc, s[6:7], exec
	buffer_store_dword v1, off, s[0:3], 0 offset:4
	buffer_store_dword v3, off, s[0:3], 0
	v_mov_b32_e32 v1, s13
	s_cselect_b32 s9, s11, s17
	buffer_store_dword v1, off, s[0:3], 0 offset:12
	v_mov_b32_e32 v1, s12
	buffer_store_dword v1, off, s[0:3], 0 offset:8
	v_mov_b32_e32 v3, s9
	flat_load_dwordx2 v[14:15], v[2:3]
	s_xor_b64 s[20:21], s[6:7], -1
	v_pk_mov_b32 v[16:17], s[18:19], s[18:19] op_sel:[0,1]
	s_cbranch_vccnz .LBB69_2
; %bb.1:
	v_pk_mov_b32 v[2:3], s[16:17], s[16:17] op_sel:[0,1]
	flat_load_dwordx2 v[16:17], v[2:3] offset:8
.LBB69_2:
	s_and_b64 s[16:17], s[6:7], exec
	s_cselect_b32 s9, s11, s13
	v_mov_b32_e32 v1, 8
	v_mov_b32_e32 v2, s12
	v_cndmask_b32_e64 v2, v2, v1, s[6:7]
	v_mov_b32_e32 v3, s9
	flat_load_dwordx2 v[10:11], v[2:3]
	s_andn2_b64 vcc, exec, s[20:21]
	v_pk_mov_b32 v[12:13], s[14:15], s[14:15] op_sel:[0,1]
	s_cbranch_vccnz .LBB69_4
; %bb.3:
	v_pk_mov_b32 v[2:3], s[12:13], s[12:13] op_sel:[0,1]
	flat_load_dwordx2 v[12:13], v[2:3] offset:8
.LBB69_4:
	s_waitcnt vmcnt(0) lgkmcnt(0)
	v_cmp_eq_f64_e32 vcc, 0, v[14:15]
	v_cmp_eq_f64_e64 s[6:7], 0, v[16:17]
	s_and_b64 s[12:13], vcc, s[6:7]
	s_mov_b64 s[6:7], -1
	s_and_saveexec_b64 s[10:11], s[12:13]
; %bb.5:
	v_cmp_neq_f64_e32 vcc, 1.0, v[10:11]
	v_cmp_neq_f64_e64 s[6:7], 0, v[12:13]
	s_or_b64 s[6:7], vcc, s[6:7]
	s_orn2_b64 s[6:7], s[6:7], exec
; %bb.6:
	s_or_b64 exec, exec, s[10:11]
	s_and_saveexec_b64 s[10:11], s[6:7]
	s_cbranch_execz .LBB69_32
; %bb.7:
	s_load_dword s6, s[4:5], 0x20
	s_load_dword s9, s[4:5], 0x0
	s_load_dwordx4 s[20:23], s[4:5], 0x10
	s_mov_b32 s7, 0
	v_mov_b32_e32 v19, 0
	s_waitcnt lgkmcnt(0)
	v_lshrrev_b32_e32 v1, s6, v0
	s_bitcmp1_b32 s9, 0
	s_cselect_b64 vcc, -1, 0
	s_lshl_b64 s[10:11], s[6:7], 2
	s_add_u32 s26, s22, s10
	s_addc_u32 s27, s23, s11
	s_add_i32 s10, s6, 1
	s_mov_b32 s11, s7
	s_lshl_b64 s[10:11], s[10:11], 2
	s_add_u32 s22, s22, s10
	s_addc_u32 s23, s23, s11
	s_load_dword s25, s[26:27], 0x0
	s_load_dword s7, s[22:23], 0x0
	s_load_dwordx2 s[10:11], s[4:5], 0x68
	s_load_dwordx8 s[12:19], s[4:5], 0x38
	v_bfe_u32 v18, v0, 0, s6
	s_waitcnt lgkmcnt(0)
	s_sub_i32 s4, s7, s25
	s_lshr_b32 s7, 0x400, s6
	s_mul_i32 s26, s7, s8
	s_add_i32 s5, s26, s7
	s_min_u32 s27, s4, s5
	v_add_u32_e32 v1, s26, v1
	v_cmp_gt_u32_e64 s[4:5], s27, v1
	s_and_saveexec_b64 s[8:9], s[4:5]
	s_cbranch_execz .LBB69_11
; %bb.8:
	v_add_u32_e32 v2, s25, v1
	v_mov_b32_e32 v3, v19
	v_lshlrev_b64 v[2:3], 2, v[2:3]
	v_mov_b32_e32 v1, s21
	v_add_co_u32_e64 v2, s[4:5], s20, v2
	v_addc_co_u32_e64 v3, s[4:5], v1, v3, s[4:5]
	global_load_dword v2, v[2:3], off
	v_mov_b32_e32 v1, s13
	s_waitcnt vmcnt(0)
	v_ashrrev_i32_e32 v3, 31, v2
	v_lshlrev_b64 v[2:3], 3, v[2:3]
	v_add_co_u32_e64 v2, s[4:5], s12, v2
	v_addc_co_u32_e64 v3, s[4:5], v1, v3, s[4:5]
	global_load_dwordx4 v[6:9], v[2:3], off
	v_pk_mov_b32 v[2:3], 0, 0
	s_waitcnt vmcnt(0)
	v_sub_co_u32_e64 v4, s[4:5], v8, v6
	v_subb_co_u32_e64 v5, s[4:5], v9, v7, s[4:5]
	v_cmp_gt_i64_e64 s[4:5], v[4:5], v[18:19]
	v_pk_mov_b32 v[4:5], v[2:3], v[2:3] op_sel:[0,1]
	s_and_saveexec_b64 s[22:23], s[4:5]
	s_cbranch_execz .LBB69_10
; %bb.9:
	v_subrev_co_u32_e64 v1, s[4:5], s24, v6
	v_subbrev_co_u32_e64 v3, s[4:5], 0, v7, s[4:5]
	v_add_co_u32_e64 v2, s[4:5], v1, v18
	v_addc_co_u32_e64 v3, s[4:5], 0, v3, s[4:5]
	v_lshlrev_b64 v[4:5], 2, v[2:3]
	v_mov_b32_e32 v1, s15
	v_add_co_u32_e64 v4, s[4:5], s14, v4
	v_addc_co_u32_e64 v5, s[4:5], v1, v5, s[4:5]
	global_load_dword v1, v[4:5], off
	v_lshlrev_b64 v[2:3], 4, v[2:3]
	v_mov_b32_e32 v4, s17
	v_add_co_u32_e64 v2, s[4:5], s16, v2
	v_addc_co_u32_e64 v3, s[4:5], v4, v3, s[4:5]
	global_load_dwordx4 v[2:5], v[2:3], off
	v_mov_b32_e32 v8, s19
	s_waitcnt vmcnt(1)
	v_subrev_u32_e32 v6, s24, v1
	v_ashrrev_i32_e32 v7, 31, v6
	v_lshlrev_b64 v[6:7], 4, v[6:7]
	v_add_co_u32_e64 v6, s[4:5], s18, v6
	v_addc_co_u32_e64 v7, s[4:5], v8, v7, s[4:5]
	global_load_dwordx4 v[6:9], v[6:7], off
	s_waitcnt vmcnt(1)
	v_xor_b32_e32 v1, 0x80000000, v5
	v_cndmask_b32_e32 v5, v5, v1, vcc
	v_mul_f64 v[20:21], v[4:5], -v[16:17]
	v_mul_f64 v[22:23], v[14:15], v[4:5]
	v_fmac_f64_e32 v[20:21], v[14:15], v[2:3]
	v_fmac_f64_e32 v[22:23], v[16:17], v[2:3]
	s_waitcnt vmcnt(0)
	v_mul_f64 v[2:3], v[8:9], -v[22:23]
	v_mul_f64 v[4:5], v[20:21], v[8:9]
	v_fmac_f64_e32 v[2:3], v[20:21], v[6:7]
	v_fmac_f64_e32 v[4:5], v[22:23], v[6:7]
.LBB69_10:
	s_or_b64 exec, exec, s[22:23]
	v_lshlrev_b32_e32 v1, 4, v0
	ds_write_b128 v1, v[2:5]
.LBB69_11:
	s_or_b64 exec, exec, s[8:9]
	v_or_b32_e32 v1, 0x100, v0
	v_lshrrev_b32_e32 v1, s6, v1
	v_add_u32_e32 v1, s26, v1
	v_cmp_gt_u32_e64 s[4:5], s27, v1
	s_and_saveexec_b64 s[8:9], s[4:5]
	s_cbranch_execz .LBB69_15
; %bb.12:
	v_add_u32_e32 v2, s25, v1
	v_mov_b32_e32 v3, 0
	v_lshlrev_b64 v[2:3], 2, v[2:3]
	v_mov_b32_e32 v1, s21
	v_add_co_u32_e64 v2, s[4:5], s20, v2
	v_addc_co_u32_e64 v3, s[4:5], v1, v3, s[4:5]
	global_load_dword v2, v[2:3], off
	v_mov_b32_e32 v1, s13
	s_waitcnt vmcnt(0)
	v_ashrrev_i32_e32 v3, 31, v2
	v_lshlrev_b64 v[2:3], 3, v[2:3]
	v_add_co_u32_e64 v2, s[4:5], s12, v2
	v_addc_co_u32_e64 v3, s[4:5], v1, v3, s[4:5]
	global_load_dwordx4 v[6:9], v[2:3], off
	v_pk_mov_b32 v[2:3], 0, 0
	s_waitcnt vmcnt(0)
	v_sub_co_u32_e64 v4, s[4:5], v8, v6
	v_subb_co_u32_e64 v5, s[4:5], v9, v7, s[4:5]
	v_cmp_gt_i64_e64 s[4:5], v[4:5], v[18:19]
	v_pk_mov_b32 v[4:5], v[2:3], v[2:3] op_sel:[0,1]
	s_and_saveexec_b64 s[22:23], s[4:5]
	s_cbranch_execz .LBB69_14
; %bb.13:
	v_subrev_co_u32_e64 v1, s[4:5], s24, v6
	v_subbrev_co_u32_e64 v3, s[4:5], 0, v7, s[4:5]
	v_add_co_u32_e64 v2, s[4:5], v1, v18
	v_addc_co_u32_e64 v3, s[4:5], 0, v3, s[4:5]
	v_lshlrev_b64 v[4:5], 2, v[2:3]
	v_mov_b32_e32 v1, s15
	v_add_co_u32_e64 v4, s[4:5], s14, v4
	v_addc_co_u32_e64 v5, s[4:5], v1, v5, s[4:5]
	global_load_dword v1, v[4:5], off
	v_lshlrev_b64 v[2:3], 4, v[2:3]
	v_mov_b32_e32 v4, s17
	v_add_co_u32_e64 v2, s[4:5], s16, v2
	v_addc_co_u32_e64 v3, s[4:5], v4, v3, s[4:5]
	global_load_dwordx4 v[2:5], v[2:3], off
	v_mov_b32_e32 v8, s19
	s_waitcnt vmcnt(1)
	v_subrev_u32_e32 v6, s24, v1
	v_ashrrev_i32_e32 v7, 31, v6
	v_lshlrev_b64 v[6:7], 4, v[6:7]
	v_add_co_u32_e64 v6, s[4:5], s18, v6
	v_addc_co_u32_e64 v7, s[4:5], v8, v7, s[4:5]
	global_load_dwordx4 v[6:9], v[6:7], off
	s_waitcnt vmcnt(1)
	v_xor_b32_e32 v1, 0x80000000, v5
	v_cndmask_b32_e32 v5, v5, v1, vcc
	v_mul_f64 v[20:21], v[4:5], -v[16:17]
	v_mul_f64 v[22:23], v[14:15], v[4:5]
	v_fmac_f64_e32 v[20:21], v[14:15], v[2:3]
	v_fmac_f64_e32 v[22:23], v[16:17], v[2:3]
	s_waitcnt vmcnt(0)
	v_mul_f64 v[2:3], v[8:9], -v[22:23]
	v_mul_f64 v[4:5], v[20:21], v[8:9]
	v_fmac_f64_e32 v[2:3], v[20:21], v[6:7]
	v_fmac_f64_e32 v[4:5], v[22:23], v[6:7]
.LBB69_14:
	s_or_b64 exec, exec, s[22:23]
	v_lshlrev_b32_e32 v1, 4, v0
	ds_write_b128 v1, v[2:5] offset:4096
.LBB69_15:
	s_or_b64 exec, exec, s[8:9]
	v_or_b32_e32 v1, 0x200, v0
	v_lshrrev_b32_e32 v1, s6, v1
	v_add_u32_e32 v1, s26, v1
	v_cmp_gt_u32_e64 s[4:5], s27, v1
	s_and_saveexec_b64 s[8:9], s[4:5]
	s_cbranch_execz .LBB69_19
; %bb.16:
	v_add_u32_e32 v2, s25, v1
	v_mov_b32_e32 v3, 0
	v_lshlrev_b64 v[2:3], 2, v[2:3]
	v_mov_b32_e32 v1, s21
	v_add_co_u32_e64 v2, s[4:5], s20, v2
	v_addc_co_u32_e64 v3, s[4:5], v1, v3, s[4:5]
	global_load_dword v2, v[2:3], off
	v_mov_b32_e32 v1, s13
	s_waitcnt vmcnt(0)
	v_ashrrev_i32_e32 v3, 31, v2
	v_lshlrev_b64 v[2:3], 3, v[2:3]
	v_add_co_u32_e64 v2, s[4:5], s12, v2
	v_addc_co_u32_e64 v3, s[4:5], v1, v3, s[4:5]
	global_load_dwordx4 v[6:9], v[2:3], off
	v_pk_mov_b32 v[2:3], 0, 0
	s_waitcnt vmcnt(0)
	v_sub_co_u32_e64 v4, s[4:5], v8, v6
	v_subb_co_u32_e64 v5, s[4:5], v9, v7, s[4:5]
	v_cmp_gt_i64_e64 s[4:5], v[4:5], v[18:19]
	v_pk_mov_b32 v[4:5], v[2:3], v[2:3] op_sel:[0,1]
	s_and_saveexec_b64 s[22:23], s[4:5]
	s_cbranch_execz .LBB69_18
; %bb.17:
	v_subrev_co_u32_e64 v1, s[4:5], s24, v6
	v_subbrev_co_u32_e64 v3, s[4:5], 0, v7, s[4:5]
	v_add_co_u32_e64 v2, s[4:5], v1, v18
	v_addc_co_u32_e64 v3, s[4:5], 0, v3, s[4:5]
	v_lshlrev_b64 v[4:5], 2, v[2:3]
	v_mov_b32_e32 v1, s15
	v_add_co_u32_e64 v4, s[4:5], s14, v4
	v_addc_co_u32_e64 v5, s[4:5], v1, v5, s[4:5]
	global_load_dword v1, v[4:5], off
	v_lshlrev_b64 v[2:3], 4, v[2:3]
	v_mov_b32_e32 v4, s17
	v_add_co_u32_e64 v2, s[4:5], s16, v2
	v_addc_co_u32_e64 v3, s[4:5], v4, v3, s[4:5]
	global_load_dwordx4 v[2:5], v[2:3], off
	v_mov_b32_e32 v8, s19
	s_waitcnt vmcnt(1)
	v_subrev_u32_e32 v6, s24, v1
	v_ashrrev_i32_e32 v7, 31, v6
	v_lshlrev_b64 v[6:7], 4, v[6:7]
	v_add_co_u32_e64 v6, s[4:5], s18, v6
	v_addc_co_u32_e64 v7, s[4:5], v8, v7, s[4:5]
	global_load_dwordx4 v[6:9], v[6:7], off
	s_waitcnt vmcnt(1)
	v_xor_b32_e32 v1, 0x80000000, v5
	v_cndmask_b32_e32 v5, v5, v1, vcc
	v_mul_f64 v[20:21], v[4:5], -v[16:17]
	v_mul_f64 v[22:23], v[14:15], v[4:5]
	v_fmac_f64_e32 v[20:21], v[14:15], v[2:3]
	v_fmac_f64_e32 v[22:23], v[16:17], v[2:3]
	s_waitcnt vmcnt(0)
	v_mul_f64 v[2:3], v[8:9], -v[22:23]
	v_mul_f64 v[4:5], v[20:21], v[8:9]
	v_fmac_f64_e32 v[2:3], v[20:21], v[6:7]
	v_fmac_f64_e32 v[4:5], v[22:23], v[6:7]
.LBB69_18:
	s_or_b64 exec, exec, s[22:23]
	v_lshlrev_b32_e32 v1, 4, v0
	ds_write_b128 v1, v[2:5] offset:8192
.LBB69_19:
	s_or_b64 exec, exec, s[8:9]
	v_or_b32_e32 v1, 0x300, v0
	v_lshrrev_b32_e32 v1, s6, v1
	v_add_u32_e32 v1, s26, v1
	v_cmp_gt_u32_e64 s[4:5], s27, v1
	s_and_saveexec_b64 s[8:9], s[4:5]
	s_cbranch_execz .LBB69_23
; %bb.20:
	v_add_u32_e32 v2, s25, v1
	v_mov_b32_e32 v3, 0
	v_lshlrev_b64 v[2:3], 2, v[2:3]
	v_mov_b32_e32 v1, s21
	v_add_co_u32_e64 v2, s[4:5], s20, v2
	v_addc_co_u32_e64 v3, s[4:5], v1, v3, s[4:5]
	global_load_dword v2, v[2:3], off
	v_mov_b32_e32 v1, s13
	s_waitcnt vmcnt(0)
	v_ashrrev_i32_e32 v3, 31, v2
	v_lshlrev_b64 v[2:3], 3, v[2:3]
	v_add_co_u32_e64 v2, s[4:5], s12, v2
	v_addc_co_u32_e64 v3, s[4:5], v1, v3, s[4:5]
	global_load_dwordx4 v[6:9], v[2:3], off
	v_pk_mov_b32 v[2:3], 0, 0
	s_waitcnt vmcnt(0)
	v_sub_co_u32_e64 v4, s[4:5], v8, v6
	v_subb_co_u32_e64 v5, s[4:5], v9, v7, s[4:5]
	v_cmp_gt_i64_e64 s[4:5], v[4:5], v[18:19]
	v_pk_mov_b32 v[4:5], v[2:3], v[2:3] op_sel:[0,1]
	s_and_saveexec_b64 s[12:13], s[4:5]
	s_cbranch_execz .LBB69_22
; %bb.21:
	v_subrev_co_u32_e64 v1, s[4:5], s24, v6
	v_subbrev_co_u32_e64 v3, s[4:5], 0, v7, s[4:5]
	v_add_co_u32_e64 v2, s[4:5], v1, v18
	v_addc_co_u32_e64 v3, s[4:5], 0, v3, s[4:5]
	v_lshlrev_b64 v[4:5], 2, v[2:3]
	v_mov_b32_e32 v1, s15
	v_add_co_u32_e64 v4, s[4:5], s14, v4
	v_addc_co_u32_e64 v5, s[4:5], v1, v5, s[4:5]
	global_load_dword v1, v[4:5], off
	v_lshlrev_b64 v[2:3], 4, v[2:3]
	v_mov_b32_e32 v4, s17
	v_add_co_u32_e64 v2, s[4:5], s16, v2
	v_addc_co_u32_e64 v3, s[4:5], v4, v3, s[4:5]
	global_load_dwordx4 v[2:5], v[2:3], off
	v_mov_b32_e32 v8, s19
	s_waitcnt vmcnt(1)
	v_subrev_u32_e32 v6, s24, v1
	v_ashrrev_i32_e32 v7, 31, v6
	v_lshlrev_b64 v[6:7], 4, v[6:7]
	v_add_co_u32_e64 v6, s[4:5], s18, v6
	v_addc_co_u32_e64 v7, s[4:5], v8, v7, s[4:5]
	global_load_dwordx4 v[6:9], v[6:7], off
	s_waitcnt vmcnt(1)
	v_xor_b32_e32 v1, 0x80000000, v5
	v_cndmask_b32_e32 v5, v5, v1, vcc
	v_mul_f64 v[18:19], v[4:5], -v[16:17]
	v_mul_f64 v[20:21], v[14:15], v[4:5]
	v_fmac_f64_e32 v[18:19], v[14:15], v[2:3]
	v_fmac_f64_e32 v[20:21], v[16:17], v[2:3]
	s_waitcnt vmcnt(0)
	v_mul_f64 v[2:3], v[8:9], -v[20:21]
	v_mul_f64 v[4:5], v[18:19], v[8:9]
	v_fmac_f64_e32 v[2:3], v[18:19], v[6:7]
	v_fmac_f64_e32 v[4:5], v[20:21], v[6:7]
.LBB69_22:
	s_or_b64 exec, exec, s[12:13]
	v_lshlrev_b32_e32 v1, 4, v0
	ds_write_b128 v1, v[2:5] offset:12288
.LBB69_23:
	s_or_b64 exec, exec, s[8:9]
	s_cmp_lt_u32 s6, 11
	s_waitcnt lgkmcnt(0)
	s_barrier
	s_cbranch_scc0 .LBB69_32
; %bb.24:
	v_cmp_neq_f64_e32 vcc, 0, v[10:11]
	v_cmp_neq_f64_e64 s[4:5], 0, v[12:13]
	s_sub_i32 s14, s27, s26
	s_add_i32 s25, s25, s26
	s_or_b64 s[4:5], vcc, s[4:5]
	s_mov_b32 s15, 0
	v_mov_b32_e32 v7, 0
	s_branch .LBB69_27
.LBB69_25:                              ;   in Loop: Header=BB69_27 Depth=1
	s_or_b64 exec, exec, s[12:13]
	v_mov_b32_e32 v1, s11
	v_add_co_u32_e32 v8, vcc, s10, v8
	v_addc_co_u32_e32 v9, vcc, v1, v9, vcc
	global_store_dwordx4 v[8:9], v[2:5], off
.LBB69_26:                              ;   in Loop: Header=BB69_27 Depth=1
	s_or_b64 exec, exec, s[8:9]
	s_addk_i32 s15, 0x100
	s_cmp_lt_u32 s15, s7
	s_cbranch_scc0 .LBB69_32
.LBB69_27:                              ; =>This Loop Header: Depth=1
                                        ;     Child Loop BB69_29 Depth 2
	v_add_u32_e32 v1, s15, v0
	v_cmp_gt_u32_e32 vcc, s14, v1
	s_and_saveexec_b64 s[8:9], vcc
	s_cbranch_execz .LBB69_26
; %bb.28:                               ;   in Loop: Header=BB69_27 Depth=1
	v_add_u32_e32 v6, s25, v1
	v_lshlrev_b64 v[2:3], 2, v[6:7]
	v_mov_b32_e32 v4, s21
	v_add_co_u32_e32 v2, vcc, s20, v2
	v_addc_co_u32_e32 v3, vcc, v4, v3, vcc
	global_load_dword v8, v[2:3], off
	v_lshlrev_b32_e32 v1, s6, v1
	v_pk_mov_b32 v[4:5], 0, 0
	v_lshlrev_b32_e32 v1, 4, v1
	s_mov_b32 s12, 1
	v_pk_mov_b32 v[2:3], v[4:5], v[4:5] op_sel:[0,1]
.LBB69_29:                              ;   Parent Loop BB69_27 Depth=1
                                        ; =>  This Inner Loop Header: Depth=2
	ds_read_b128 v[14:17], v1
	s_lshr_b32 s13, s12, s6
	s_add_i32 s12, s12, 1
	v_add_u32_e32 v1, 16, v1
	s_cmp_lg_u32 s13, 0
	s_waitcnt lgkmcnt(0)
	v_add_f64 v[2:3], v[2:3], v[14:15]
	v_add_f64 v[4:5], v[4:5], v[16:17]
	s_cbranch_scc0 .LBB69_29
; %bb.30:                               ;   in Loop: Header=BB69_27 Depth=1
	s_waitcnt vmcnt(0)
	v_ashrrev_i32_e32 v9, 31, v8
	v_lshlrev_b64 v[8:9], 4, v[8:9]
	s_and_saveexec_b64 s[12:13], s[4:5]
	s_cbranch_execz .LBB69_25
; %bb.31:                               ;   in Loop: Header=BB69_27 Depth=1
	v_mov_b32_e32 v1, s11
	v_add_co_u32_e32 v14, vcc, s10, v8
	v_addc_co_u32_e32 v15, vcc, v1, v9, vcc
	global_load_dwordx4 v[14:17], v[14:15], off
	s_waitcnt vmcnt(0)
	v_fmac_f64_e32 v[2:3], v[10:11], v[14:15]
	v_fmac_f64_e32 v[4:5], v[12:13], v[14:15]
	v_fma_f64 v[2:3], -v[12:13], v[16:17], v[2:3]
	v_fmac_f64_e32 v[4:5], v[10:11], v[16:17]
	s_branch .LBB69_25
.LBB69_32:
	s_endpgm
	.section	.rodata,"a",@progbits
	.p2align	6, 0x0
	.amdhsa_kernel _ZN9rocsparseL30csrmvn_lrb_short_rows_2_kernelIli21rocsparse_complex_numIdES2_S2_S2_EEvbT_PT0_S5_jNS_24const_host_device_scalarIT4_EEPKS3_PKS4_PKT1_PKT2_S8_PT3_21rocsparse_index_base_b
		.amdhsa_group_segment_fixed_size 16384
		.amdhsa_private_segment_fixed_size 24
		.amdhsa_kernarg_size 120
		.amdhsa_user_sgpr_count 8
		.amdhsa_user_sgpr_private_segment_buffer 1
		.amdhsa_user_sgpr_dispatch_ptr 0
		.amdhsa_user_sgpr_queue_ptr 0
		.amdhsa_user_sgpr_kernarg_segment_ptr 1
		.amdhsa_user_sgpr_dispatch_id 0
		.amdhsa_user_sgpr_flat_scratch_init 1
		.amdhsa_user_sgpr_kernarg_preload_length 0
		.amdhsa_user_sgpr_kernarg_preload_offset 0
		.amdhsa_user_sgpr_private_segment_size 0
		.amdhsa_uses_dynamic_stack 0
		.amdhsa_system_sgpr_private_segment_wavefront_offset 1
		.amdhsa_system_sgpr_workgroup_id_x 1
		.amdhsa_system_sgpr_workgroup_id_y 0
		.amdhsa_system_sgpr_workgroup_id_z 0
		.amdhsa_system_sgpr_workgroup_info 0
		.amdhsa_system_vgpr_workitem_id 0
		.amdhsa_next_free_vgpr 24
		.amdhsa_next_free_sgpr 28
		.amdhsa_accum_offset 24
		.amdhsa_reserve_vcc 1
		.amdhsa_reserve_flat_scratch 1
		.amdhsa_float_round_mode_32 0
		.amdhsa_float_round_mode_16_64 0
		.amdhsa_float_denorm_mode_32 3
		.amdhsa_float_denorm_mode_16_64 3
		.amdhsa_dx10_clamp 1
		.amdhsa_ieee_mode 1
		.amdhsa_fp16_overflow 0
		.amdhsa_tg_split 0
		.amdhsa_exception_fp_ieee_invalid_op 0
		.amdhsa_exception_fp_denorm_src 0
		.amdhsa_exception_fp_ieee_div_zero 0
		.amdhsa_exception_fp_ieee_overflow 0
		.amdhsa_exception_fp_ieee_underflow 0
		.amdhsa_exception_fp_ieee_inexact 0
		.amdhsa_exception_int_div_zero 0
	.end_amdhsa_kernel
	.section	.text._ZN9rocsparseL30csrmvn_lrb_short_rows_2_kernelIli21rocsparse_complex_numIdES2_S2_S2_EEvbT_PT0_S5_jNS_24const_host_device_scalarIT4_EEPKS3_PKS4_PKT1_PKT2_S8_PT3_21rocsparse_index_base_b,"axG",@progbits,_ZN9rocsparseL30csrmvn_lrb_short_rows_2_kernelIli21rocsparse_complex_numIdES2_S2_S2_EEvbT_PT0_S5_jNS_24const_host_device_scalarIT4_EEPKS3_PKS4_PKT1_PKT2_S8_PT3_21rocsparse_index_base_b,comdat
.Lfunc_end69:
	.size	_ZN9rocsparseL30csrmvn_lrb_short_rows_2_kernelIli21rocsparse_complex_numIdES2_S2_S2_EEvbT_PT0_S5_jNS_24const_host_device_scalarIT4_EEPKS3_PKS4_PKT1_PKT2_S8_PT3_21rocsparse_index_base_b, .Lfunc_end69-_ZN9rocsparseL30csrmvn_lrb_short_rows_2_kernelIli21rocsparse_complex_numIdES2_S2_S2_EEvbT_PT0_S5_jNS_24const_host_device_scalarIT4_EEPKS3_PKS4_PKT1_PKT2_S8_PT3_21rocsparse_index_base_b
                                        ; -- End function
	.section	.AMDGPU.csdata,"",@progbits
; Kernel info:
; codeLenInByte = 2372
; NumSgprs: 34
; NumVgprs: 24
; NumAgprs: 0
; TotalNumVgprs: 24
; ScratchSize: 24
; MemoryBound: 0
; FloatMode: 240
; IeeeMode: 1
; LDSByteSize: 16384 bytes/workgroup (compile time only)
; SGPRBlocks: 4
; VGPRBlocks: 2
; NumSGPRsForWavesPerEU: 34
; NumVGPRsForWavesPerEU: 24
; AccumOffset: 24
; Occupancy: 4
; WaveLimiterHint : 1
; COMPUTE_PGM_RSRC2:SCRATCH_EN: 1
; COMPUTE_PGM_RSRC2:USER_SGPR: 8
; COMPUTE_PGM_RSRC2:TRAP_HANDLER: 0
; COMPUTE_PGM_RSRC2:TGID_X_EN: 1
; COMPUTE_PGM_RSRC2:TGID_Y_EN: 0
; COMPUTE_PGM_RSRC2:TGID_Z_EN: 0
; COMPUTE_PGM_RSRC2:TIDIG_COMP_CNT: 0
; COMPUTE_PGM_RSRC3_GFX90A:ACCUM_OFFSET: 5
; COMPUTE_PGM_RSRC3_GFX90A:TG_SPLIT: 0
	.section	.text._ZN9rocsparseL41csrmvn_lrb_medium_rows_warp_reduce_kernelILj256ELj32Eli21rocsparse_complex_numIdES2_S2_S2_EEvbT1_lPT2_S5_jNS_24const_host_device_scalarIT6_EEPKS3_PKS4_PKT3_PKT4_S8_PT5_21rocsparse_index_base_b,"axG",@progbits,_ZN9rocsparseL41csrmvn_lrb_medium_rows_warp_reduce_kernelILj256ELj32Eli21rocsparse_complex_numIdES2_S2_S2_EEvbT1_lPT2_S5_jNS_24const_host_device_scalarIT6_EEPKS3_PKS4_PKT3_PKT4_S8_PT5_21rocsparse_index_base_b,comdat
	.globl	_ZN9rocsparseL41csrmvn_lrb_medium_rows_warp_reduce_kernelILj256ELj32Eli21rocsparse_complex_numIdES2_S2_S2_EEvbT1_lPT2_S5_jNS_24const_host_device_scalarIT6_EEPKS3_PKS4_PKT3_PKT4_S8_PT5_21rocsparse_index_base_b ; -- Begin function _ZN9rocsparseL41csrmvn_lrb_medium_rows_warp_reduce_kernelILj256ELj32Eli21rocsparse_complex_numIdES2_S2_S2_EEvbT1_lPT2_S5_jNS_24const_host_device_scalarIT6_EEPKS3_PKS4_PKT3_PKT4_S8_PT5_21rocsparse_index_base_b
	.p2align	8
	.type	_ZN9rocsparseL41csrmvn_lrb_medium_rows_warp_reduce_kernelILj256ELj32Eli21rocsparse_complex_numIdES2_S2_S2_EEvbT1_lPT2_S5_jNS_24const_host_device_scalarIT6_EEPKS3_PKS4_PKT3_PKT4_S8_PT5_21rocsparse_index_base_b,@function
_ZN9rocsparseL41csrmvn_lrb_medium_rows_warp_reduce_kernelILj256ELj32Eli21rocsparse_complex_numIdES2_S2_S2_EEvbT1_lPT2_S5_jNS_24const_host_device_scalarIT6_EEPKS3_PKS4_PKT3_PKT4_S8_PT5_21rocsparse_index_base_b: ; @_ZN9rocsparseL41csrmvn_lrb_medium_rows_warp_reduce_kernelILj256ELj32Eli21rocsparse_complex_numIdES2_S2_S2_EEvbT1_lPT2_S5_jNS_24const_host_device_scalarIT6_EEPKS3_PKS4_PKT3_PKT4_S8_PT5_21rocsparse_index_base_b
; %bb.0:
	s_load_dwordx2 s[10:11], s[6:7], 0x78
	s_load_dwordx4 s[12:15], s[6:7], 0x30
	s_load_dwordx2 s[20:21], s[4:5], 0x4
	s_load_dwordx4 s[16:19], s[6:7], 0x60
	s_mov_b64 s[2:3], src_shared_base
	v_and_b32_e32 v10, 0x3ff, v0
	s_waitcnt lgkmcnt(0)
	s_bitcmp1_b32 s11, 0
	s_cselect_b64 s[0:1], -1, 0
	s_and_b64 vcc, s[0:1], exec
	s_cselect_b32 s2, s3, s13
	s_lshr_b32 s4, s20, 16
	s_mul_i32 s4, s4, s21
	v_mul_lo_u32 v1, s4, v10
	v_bfe_u32 v2, v0, 10, 10
	v_mad_u32_u24 v1, v2, s21, v1
	v_bfe_u32 v0, v0, 20, 10
	v_add_lshl_u32 v4, v1, v0, 3
	v_mov_b32_e32 v5, s12
	v_add_u32_e32 v6, 0x800, v4
	v_pk_mov_b32 v[0:1], s[12:13], s[12:13] op_sel:[0,1]
	v_pk_mov_b32 v[2:3], s[16:17], s[16:17] op_sel:[0,1]
	ds_write2st64_b64 v4, v[2:3], v[0:1] offset1:4
	v_cndmask_b32_e64 v0, v5, v6, s[0:1]
	v_mov_b32_e32 v1, s2
	flat_load_dwordx2 v[0:1], v[0:1]
	s_xor_b64 s[4:5], s[0:1], -1
	v_pk_mov_b32 v[2:3], s[14:15], s[14:15] op_sel:[0,1]
	s_cbranch_vccnz .LBB70_2
; %bb.1:
	v_pk_mov_b32 v[2:3], s[12:13], s[12:13] op_sel:[0,1]
	flat_load_dwordx2 v[2:3], v[2:3] offset:8
.LBB70_2:
	s_and_b64 s[12:13], s[0:1], exec
	s_cselect_b32 s2, s3, s17
	v_mov_b32_e32 v5, s16
	v_cndmask_b32_e64 v4, v5, v4, s[0:1]
	v_mov_b32_e32 v5, s2
	flat_load_dwordx2 v[4:5], v[4:5]
	s_andn2_b64 vcc, exec, s[4:5]
	v_pk_mov_b32 v[6:7], s[18:19], s[18:19] op_sel:[0,1]
	s_cbranch_vccnz .LBB70_4
; %bb.3:
	v_pk_mov_b32 v[6:7], s[16:17], s[16:17] op_sel:[0,1]
	flat_load_dwordx2 v[6:7], v[6:7] offset:8
.LBB70_4:
	s_waitcnt vmcnt(0) lgkmcnt(0)
	v_cmp_eq_f64_e32 vcc, 0, v[0:1]
	v_cmp_eq_f64_e64 s[0:1], 0, v[2:3]
	s_and_b64 s[4:5], vcc, s[0:1]
	s_mov_b64 s[0:1], -1
	s_and_saveexec_b64 s[2:3], s[4:5]
; %bb.5:
	v_cmp_neq_f64_e32 vcc, 1.0, v[4:5]
	v_cmp_neq_f64_e64 s[0:1], 0, v[6:7]
	s_or_b64 s[0:1], vcc, s[0:1]
	s_orn2_b64 s[0:1], s[0:1], exec
; %bb.6:
	s_or_b64 exec, exec, s[2:3]
	s_and_saveexec_b64 s[2:3], s[0:1]
	s_cbranch_execz .LBB70_16
; %bb.7:
	s_load_dwordx2 s[0:1], s[6:7], 0x10
	v_lshrrev_b32_e32 v8, 5, v10
	v_lshl_or_b32 v8, s8, 3, v8
	v_ashrrev_i32_e32 v9, 31, v8
	s_waitcnt lgkmcnt(0)
	v_cmp_gt_i64_e32 vcc, s[0:1], v[8:9]
	s_and_b64 exec, exec, vcc
	s_cbranch_execz .LBB70_16
; %bb.8:
	s_load_dword s4, s[6:7], 0x28
	s_load_dwordx4 s[0:3], s[6:7], 0x18
	s_mov_b32 s5, 0
	v_and_b32_e32 v22, 31, v10
	s_waitcnt lgkmcnt(0)
	s_lshl_b64 s[4:5], s[4:5], 2
	s_add_u32 s2, s2, s4
	s_addc_u32 s3, s3, s5
	s_load_dword s2, s[2:3], 0x0
	v_mov_b32_e32 v11, s1
	s_load_dwordx2 s[4:5], s[6:7], 0x70
	s_waitcnt lgkmcnt(0)
	v_add_u32_e32 v8, s2, v8
	v_ashrrev_i32_e32 v9, 31, v8
	v_lshlrev_b64 v[8:9], 2, v[8:9]
	v_add_co_u32_e32 v8, vcc, s0, v8
	v_addc_co_u32_e32 v9, vcc, v11, v9, vcc
	global_load_dword v8, v[8:9], off
	s_load_dwordx2 s[0:1], s[6:7], 0x40
	s_waitcnt lgkmcnt(0)
	v_mov_b32_e32 v11, s1
	s_waitcnt vmcnt(0)
	v_ashrrev_i32_e32 v9, 31, v8
	v_lshlrev_b64 v[12:13], 3, v[8:9]
	v_add_co_u32_e32 v12, vcc, s0, v12
	v_addc_co_u32_e32 v13, vcc, v11, v13, vcc
	global_load_dwordx4 v[14:17], v[12:13], off
	v_subrev_co_u32_e32 v18, vcc, s10, v22
	v_subb_co_u32_e64 v19, s[0:1], 0, 0, vcc
	v_pk_mov_b32 v[10:11], 0, 0
	s_waitcnt vmcnt(0)
	v_subrev_co_u32_e32 v12, vcc, s10, v16
	v_subbrev_co_u32_e32 v13, vcc, 0, v17, vcc
	v_add_co_u32_e32 v14, vcc, v14, v18
	v_addc_co_u32_e32 v15, vcc, v15, v19, vcc
	v_cmp_lt_i64_e32 vcc, v[14:15], v[12:13]
	v_pk_mov_b32 v[16:17], v[10:11], v[10:11] op_sel:[0,1]
	s_and_saveexec_b64 s[8:9], vcc
	s_cbranch_execz .LBB70_12
; %bb.9:
	s_load_dword s0, s[6:7], 0x0
	s_load_dwordx4 s[16:19], s[6:7], 0x48
	s_load_dwordx2 s[12:13], s[6:7], 0x58
	v_lshlrev_b64 v[10:11], 4, v[14:15]
	s_mov_b64 s[6:7], 0
	s_waitcnt lgkmcnt(0)
	s_bitcmp1_b32 s0, 0
	v_mov_b32_e32 v16, s19
	v_add_co_u32_e32 v10, vcc, s18, v10
	v_addc_co_u32_e32 v11, vcc, v11, v16, vcc
	v_add_co_u32_e32 v18, vcc, 8, v10
	v_addc_co_u32_e32 v19, vcc, 0, v11, vcc
	v_lshlrev_b64 v[10:11], 2, v[14:15]
	v_mov_b32_e32 v16, s17
	v_add_co_u32_e32 v20, vcc, s16, v10
	v_addc_co_u32_e32 v21, vcc, v16, v11, vcc
	v_pk_mov_b32 v[10:11], 0, 0
	s_cselect_b64 s[0:1], -1, 0
	v_mov_b32_e32 v23, s13
	v_pk_mov_b32 v[16:17], v[10:11], v[10:11] op_sel:[0,1]
.LBB70_10:                              ; =>This Inner Loop Header: Depth=1
	global_load_dword v28, v[20:21], off
	global_load_dwordx4 v[24:27], v[18:19], off offset:-8
	s_waitcnt vmcnt(1)
	v_subrev_u32_e32 v28, s10, v28
	v_ashrrev_i32_e32 v29, 31, v28
	v_lshlrev_b64 v[28:29], 4, v[28:29]
	v_add_co_u32_e32 v28, vcc, s12, v28
	v_addc_co_u32_e32 v29, vcc, v23, v29, vcc
	global_load_dwordx4 v[28:31], v[28:29], off
	v_add_co_u32_e32 v14, vcc, 32, v14
	s_waitcnt vmcnt(1)
	v_xor_b32_e32 v32, 0x80000000, v27
	v_addc_co_u32_e32 v15, vcc, 0, v15, vcc
	v_cndmask_b32_e64 v27, v27, v32, s[0:1]
	v_add_co_u32_e32 v18, vcc, 0x200, v18
	v_mul_f64 v[32:33], v[26:27], -v[2:3]
	v_mul_f64 v[26:27], v[0:1], v[26:27]
	v_addc_co_u32_e32 v19, vcc, 0, v19, vcc
	v_fmac_f64_e32 v[32:33], v[0:1], v[24:25]
	v_fmac_f64_e32 v[26:27], v[2:3], v[24:25]
	v_add_co_u32_e32 v20, vcc, 0x80, v20
	v_cmp_ge_i64_e64 s[2:3], v[14:15], v[12:13]
	v_addc_co_u32_e32 v21, vcc, 0, v21, vcc
	s_or_b64 s[6:7], s[2:3], s[6:7]
	s_waitcnt vmcnt(0)
	v_fmac_f64_e32 v[16:17], v[32:33], v[28:29]
	v_fmac_f64_e32 v[10:11], v[26:27], v[28:29]
	v_fma_f64 v[16:17], -v[26:27], v[30:31], v[16:17]
	v_fmac_f64_e32 v[10:11], v[32:33], v[30:31]
	s_andn2_b64 exec, exec, s[6:7]
	s_cbranch_execnz .LBB70_10
; %bb.11:
	s_or_b64 exec, exec, s[6:7]
.LBB70_12:
	s_or_b64 exec, exec, s[8:9]
	v_mov_b32_dpp v0, v16 row_shr:1 row_mask:0xf bank_mask:0xf
	v_mov_b32_dpp v1, v17 row_shr:1 row_mask:0xf bank_mask:0xf
	;; [unrolled: 1-line block ×4, first 2 shown]
	v_add_f64 v[0:1], v[16:17], v[0:1]
	v_add_f64 v[10:11], v[10:11], v[12:13]
	v_cmp_eq_u32_e32 vcc, 31, v22
	v_mov_b32_dpp v2, v0 row_shr:2 row_mask:0xf bank_mask:0xf
	v_mov_b32_dpp v3, v1 row_shr:2 row_mask:0xf bank_mask:0xf
	v_mov_b32_dpp v12, v10 row_shr:2 row_mask:0xf bank_mask:0xf
	v_mov_b32_dpp v13, v11 row_shr:2 row_mask:0xf bank_mask:0xf
	v_add_f64 v[0:1], v[0:1], v[2:3]
	v_add_f64 v[10:11], v[10:11], v[12:13]
	s_nop 0
	v_mov_b32_dpp v2, v0 row_shr:4 row_mask:0xf bank_mask:0xe
	v_mov_b32_dpp v3, v1 row_shr:4 row_mask:0xf bank_mask:0xe
	v_mov_b32_dpp v12, v10 row_shr:4 row_mask:0xf bank_mask:0xe
	v_mov_b32_dpp v13, v11 row_shr:4 row_mask:0xf bank_mask:0xe
	v_add_f64 v[0:1], v[0:1], v[2:3]
	v_add_f64 v[10:11], v[10:11], v[12:13]
	s_nop 0
	;; [unrolled: 7-line block ×3, first 2 shown]
	v_mov_b32_dpp v2, v0 row_bcast:15 row_mask:0xa bank_mask:0xf
	v_mov_b32_dpp v3, v1 row_bcast:15 row_mask:0xa bank_mask:0xf
	;; [unrolled: 1-line block ×4, first 2 shown]
	s_and_b64 exec, exec, vcc
	s_cbranch_execz .LBB70_16
; %bb.13:
	v_cmp_neq_f64_e32 vcc, 0, v[4:5]
	v_cmp_neq_f64_e64 s[0:1], 0, v[6:7]
	v_add_f64 v[0:1], v[0:1], v[2:3]
	v_add_f64 v[2:3], v[10:11], v[12:13]
	s_or_b64 s[2:3], vcc, s[0:1]
	v_lshlrev_b64 v[8:9], 4, v[8:9]
	s_and_saveexec_b64 s[0:1], s[2:3]
	s_cbranch_execz .LBB70_15
; %bb.14:
	v_mov_b32_e32 v11, s5
	v_add_co_u32_e32 v10, vcc, s4, v8
	v_addc_co_u32_e32 v11, vcc, v11, v9, vcc
	global_load_dwordx4 v[10:13], v[10:11], off
	s_waitcnt vmcnt(0)
	v_fmac_f64_e32 v[0:1], v[4:5], v[10:11]
	v_fmac_f64_e32 v[2:3], v[6:7], v[10:11]
	v_fma_f64 v[0:1], -v[6:7], v[12:13], v[0:1]
	v_fmac_f64_e32 v[2:3], v[4:5], v[12:13]
.LBB70_15:
	s_or_b64 exec, exec, s[0:1]
	v_mov_b32_e32 v5, s5
	v_add_co_u32_e32 v4, vcc, s4, v8
	v_addc_co_u32_e32 v5, vcc, v5, v9, vcc
	global_store_dwordx4 v[4:5], v[0:3], off
.LBB70_16:
	s_endpgm
	.section	.rodata,"a",@progbits
	.p2align	6, 0x0
	.amdhsa_kernel _ZN9rocsparseL41csrmvn_lrb_medium_rows_warp_reduce_kernelILj256ELj32Eli21rocsparse_complex_numIdES2_S2_S2_EEvbT1_lPT2_S5_jNS_24const_host_device_scalarIT6_EEPKS3_PKS4_PKT3_PKT4_S8_PT5_21rocsparse_index_base_b
		.amdhsa_group_segment_fixed_size 4096
		.amdhsa_private_segment_fixed_size 0
		.amdhsa_kernarg_size 128
		.amdhsa_user_sgpr_count 8
		.amdhsa_user_sgpr_private_segment_buffer 1
		.amdhsa_user_sgpr_dispatch_ptr 1
		.amdhsa_user_sgpr_queue_ptr 0
		.amdhsa_user_sgpr_kernarg_segment_ptr 1
		.amdhsa_user_sgpr_dispatch_id 0
		.amdhsa_user_sgpr_flat_scratch_init 0
		.amdhsa_user_sgpr_kernarg_preload_length 0
		.amdhsa_user_sgpr_kernarg_preload_offset 0
		.amdhsa_user_sgpr_private_segment_size 0
		.amdhsa_uses_dynamic_stack 0
		.amdhsa_system_sgpr_private_segment_wavefront_offset 0
		.amdhsa_system_sgpr_workgroup_id_x 1
		.amdhsa_system_sgpr_workgroup_id_y 0
		.amdhsa_system_sgpr_workgroup_id_z 0
		.amdhsa_system_sgpr_workgroup_info 0
		.amdhsa_system_vgpr_workitem_id 2
		.amdhsa_next_free_vgpr 34
		.amdhsa_next_free_sgpr 22
		.amdhsa_accum_offset 36
		.amdhsa_reserve_vcc 1
		.amdhsa_reserve_flat_scratch 0
		.amdhsa_float_round_mode_32 0
		.amdhsa_float_round_mode_16_64 0
		.amdhsa_float_denorm_mode_32 3
		.amdhsa_float_denorm_mode_16_64 3
		.amdhsa_dx10_clamp 1
		.amdhsa_ieee_mode 1
		.amdhsa_fp16_overflow 0
		.amdhsa_tg_split 0
		.amdhsa_exception_fp_ieee_invalid_op 0
		.amdhsa_exception_fp_denorm_src 0
		.amdhsa_exception_fp_ieee_div_zero 0
		.amdhsa_exception_fp_ieee_overflow 0
		.amdhsa_exception_fp_ieee_underflow 0
		.amdhsa_exception_fp_ieee_inexact 0
		.amdhsa_exception_int_div_zero 0
	.end_amdhsa_kernel
	.section	.text._ZN9rocsparseL41csrmvn_lrb_medium_rows_warp_reduce_kernelILj256ELj32Eli21rocsparse_complex_numIdES2_S2_S2_EEvbT1_lPT2_S5_jNS_24const_host_device_scalarIT6_EEPKS3_PKS4_PKT3_PKT4_S8_PT5_21rocsparse_index_base_b,"axG",@progbits,_ZN9rocsparseL41csrmvn_lrb_medium_rows_warp_reduce_kernelILj256ELj32Eli21rocsparse_complex_numIdES2_S2_S2_EEvbT1_lPT2_S5_jNS_24const_host_device_scalarIT6_EEPKS3_PKS4_PKT3_PKT4_S8_PT5_21rocsparse_index_base_b,comdat
.Lfunc_end70:
	.size	_ZN9rocsparseL41csrmvn_lrb_medium_rows_warp_reduce_kernelILj256ELj32Eli21rocsparse_complex_numIdES2_S2_S2_EEvbT1_lPT2_S5_jNS_24const_host_device_scalarIT6_EEPKS3_PKS4_PKT3_PKT4_S8_PT5_21rocsparse_index_base_b, .Lfunc_end70-_ZN9rocsparseL41csrmvn_lrb_medium_rows_warp_reduce_kernelILj256ELj32Eli21rocsparse_complex_numIdES2_S2_S2_EEvbT1_lPT2_S5_jNS_24const_host_device_scalarIT6_EEPKS3_PKS4_PKT3_PKT4_S8_PT5_21rocsparse_index_base_b
                                        ; -- End function
	.section	.AMDGPU.csdata,"",@progbits
; Kernel info:
; codeLenInByte = 1224
; NumSgprs: 26
; NumVgprs: 34
; NumAgprs: 0
; TotalNumVgprs: 34
; ScratchSize: 0
; MemoryBound: 0
; FloatMode: 240
; IeeeMode: 1
; LDSByteSize: 4096 bytes/workgroup (compile time only)
; SGPRBlocks: 3
; VGPRBlocks: 4
; NumSGPRsForWavesPerEU: 26
; NumVGPRsForWavesPerEU: 34
; AccumOffset: 36
; Occupancy: 8
; WaveLimiterHint : 1
; COMPUTE_PGM_RSRC2:SCRATCH_EN: 0
; COMPUTE_PGM_RSRC2:USER_SGPR: 8
; COMPUTE_PGM_RSRC2:TRAP_HANDLER: 0
; COMPUTE_PGM_RSRC2:TGID_X_EN: 1
; COMPUTE_PGM_RSRC2:TGID_Y_EN: 0
; COMPUTE_PGM_RSRC2:TGID_Z_EN: 0
; COMPUTE_PGM_RSRC2:TIDIG_COMP_CNT: 2
; COMPUTE_PGM_RSRC3_GFX90A:ACCUM_OFFSET: 8
; COMPUTE_PGM_RSRC3_GFX90A:TG_SPLIT: 0
	.section	.text._ZN9rocsparseL41csrmvn_lrb_medium_rows_warp_reduce_kernelILj256ELj64Eli21rocsparse_complex_numIdES2_S2_S2_EEvbT1_lPT2_S5_jNS_24const_host_device_scalarIT6_EEPKS3_PKS4_PKT3_PKT4_S8_PT5_21rocsparse_index_base_b,"axG",@progbits,_ZN9rocsparseL41csrmvn_lrb_medium_rows_warp_reduce_kernelILj256ELj64Eli21rocsparse_complex_numIdES2_S2_S2_EEvbT1_lPT2_S5_jNS_24const_host_device_scalarIT6_EEPKS3_PKS4_PKT3_PKT4_S8_PT5_21rocsparse_index_base_b,comdat
	.globl	_ZN9rocsparseL41csrmvn_lrb_medium_rows_warp_reduce_kernelILj256ELj64Eli21rocsparse_complex_numIdES2_S2_S2_EEvbT1_lPT2_S5_jNS_24const_host_device_scalarIT6_EEPKS3_PKS4_PKT3_PKT4_S8_PT5_21rocsparse_index_base_b ; -- Begin function _ZN9rocsparseL41csrmvn_lrb_medium_rows_warp_reduce_kernelILj256ELj64Eli21rocsparse_complex_numIdES2_S2_S2_EEvbT1_lPT2_S5_jNS_24const_host_device_scalarIT6_EEPKS3_PKS4_PKT3_PKT4_S8_PT5_21rocsparse_index_base_b
	.p2align	8
	.type	_ZN9rocsparseL41csrmvn_lrb_medium_rows_warp_reduce_kernelILj256ELj64Eli21rocsparse_complex_numIdES2_S2_S2_EEvbT1_lPT2_S5_jNS_24const_host_device_scalarIT6_EEPKS3_PKS4_PKT3_PKT4_S8_PT5_21rocsparse_index_base_b,@function
_ZN9rocsparseL41csrmvn_lrb_medium_rows_warp_reduce_kernelILj256ELj64Eli21rocsparse_complex_numIdES2_S2_S2_EEvbT1_lPT2_S5_jNS_24const_host_device_scalarIT6_EEPKS3_PKS4_PKT3_PKT4_S8_PT5_21rocsparse_index_base_b: ; @_ZN9rocsparseL41csrmvn_lrb_medium_rows_warp_reduce_kernelILj256ELj64Eli21rocsparse_complex_numIdES2_S2_S2_EEvbT1_lPT2_S5_jNS_24const_host_device_scalarIT6_EEPKS3_PKS4_PKT3_PKT4_S8_PT5_21rocsparse_index_base_b
; %bb.0:
	s_load_dwordx2 s[10:11], s[6:7], 0x78
	s_load_dwordx4 s[12:15], s[6:7], 0x30
	s_load_dwordx2 s[20:21], s[4:5], 0x4
	s_load_dwordx4 s[16:19], s[6:7], 0x60
	s_mov_b64 s[2:3], src_shared_base
	v_and_b32_e32 v10, 0x3ff, v0
	s_waitcnt lgkmcnt(0)
	s_bitcmp1_b32 s11, 0
	s_cselect_b64 s[0:1], -1, 0
	s_and_b64 vcc, s[0:1], exec
	s_cselect_b32 s2, s3, s13
	s_lshr_b32 s4, s20, 16
	s_mul_i32 s4, s4, s21
	v_mul_lo_u32 v1, s4, v10
	v_bfe_u32 v2, v0, 10, 10
	v_mad_u32_u24 v1, v2, s21, v1
	v_bfe_u32 v0, v0, 20, 10
	v_add_lshl_u32 v4, v1, v0, 3
	v_mov_b32_e32 v5, s12
	v_add_u32_e32 v6, 0x800, v4
	v_pk_mov_b32 v[0:1], s[12:13], s[12:13] op_sel:[0,1]
	v_pk_mov_b32 v[2:3], s[16:17], s[16:17] op_sel:[0,1]
	ds_write2st64_b64 v4, v[2:3], v[0:1] offset1:4
	v_cndmask_b32_e64 v0, v5, v6, s[0:1]
	v_mov_b32_e32 v1, s2
	flat_load_dwordx2 v[0:1], v[0:1]
	s_xor_b64 s[4:5], s[0:1], -1
	v_pk_mov_b32 v[2:3], s[14:15], s[14:15] op_sel:[0,1]
	s_cbranch_vccnz .LBB71_2
; %bb.1:
	v_pk_mov_b32 v[2:3], s[12:13], s[12:13] op_sel:[0,1]
	flat_load_dwordx2 v[2:3], v[2:3] offset:8
.LBB71_2:
	s_and_b64 s[12:13], s[0:1], exec
	s_cselect_b32 s2, s3, s17
	v_mov_b32_e32 v5, s16
	v_cndmask_b32_e64 v4, v5, v4, s[0:1]
	v_mov_b32_e32 v5, s2
	flat_load_dwordx2 v[4:5], v[4:5]
	s_andn2_b64 vcc, exec, s[4:5]
	v_pk_mov_b32 v[6:7], s[18:19], s[18:19] op_sel:[0,1]
	s_cbranch_vccnz .LBB71_4
; %bb.3:
	v_pk_mov_b32 v[6:7], s[16:17], s[16:17] op_sel:[0,1]
	flat_load_dwordx2 v[6:7], v[6:7] offset:8
.LBB71_4:
	s_waitcnt vmcnt(0) lgkmcnt(0)
	v_cmp_eq_f64_e32 vcc, 0, v[0:1]
	v_cmp_eq_f64_e64 s[0:1], 0, v[2:3]
	s_and_b64 s[4:5], vcc, s[0:1]
	s_mov_b64 s[0:1], -1
	s_and_saveexec_b64 s[2:3], s[4:5]
; %bb.5:
	v_cmp_neq_f64_e32 vcc, 1.0, v[4:5]
	v_cmp_neq_f64_e64 s[0:1], 0, v[6:7]
	s_or_b64 s[0:1], vcc, s[0:1]
	s_orn2_b64 s[0:1], s[0:1], exec
; %bb.6:
	s_or_b64 exec, exec, s[2:3]
	s_and_saveexec_b64 s[2:3], s[0:1]
	s_cbranch_execz .LBB71_16
; %bb.7:
	s_load_dwordx2 s[0:1], s[6:7], 0x10
	v_lshrrev_b32_e32 v8, 6, v10
	v_lshl_or_b32 v8, s8, 2, v8
	v_ashrrev_i32_e32 v9, 31, v8
	s_waitcnt lgkmcnt(0)
	v_cmp_gt_i64_e32 vcc, s[0:1], v[8:9]
	s_and_b64 exec, exec, vcc
	s_cbranch_execz .LBB71_16
; %bb.8:
	s_load_dword s4, s[6:7], 0x28
	s_load_dwordx4 s[0:3], s[6:7], 0x18
	s_mov_b32 s5, 0
	v_and_b32_e32 v22, 63, v10
	s_waitcnt lgkmcnt(0)
	s_lshl_b64 s[4:5], s[4:5], 2
	s_add_u32 s2, s2, s4
	s_addc_u32 s3, s3, s5
	s_load_dword s2, s[2:3], 0x0
	v_mov_b32_e32 v11, s1
	s_load_dwordx2 s[4:5], s[6:7], 0x70
	s_waitcnt lgkmcnt(0)
	v_add_u32_e32 v8, s2, v8
	v_ashrrev_i32_e32 v9, 31, v8
	v_lshlrev_b64 v[8:9], 2, v[8:9]
	v_add_co_u32_e32 v8, vcc, s0, v8
	v_addc_co_u32_e32 v9, vcc, v11, v9, vcc
	global_load_dword v8, v[8:9], off
	s_load_dwordx2 s[0:1], s[6:7], 0x40
	s_waitcnt lgkmcnt(0)
	v_mov_b32_e32 v11, s1
	s_waitcnt vmcnt(0)
	v_ashrrev_i32_e32 v9, 31, v8
	v_lshlrev_b64 v[12:13], 3, v[8:9]
	v_add_co_u32_e32 v12, vcc, s0, v12
	v_addc_co_u32_e32 v13, vcc, v11, v13, vcc
	global_load_dwordx4 v[14:17], v[12:13], off
	v_subrev_co_u32_e32 v18, vcc, s10, v22
	v_subb_co_u32_e64 v19, s[0:1], 0, 0, vcc
	v_pk_mov_b32 v[10:11], 0, 0
	s_waitcnt vmcnt(0)
	v_subrev_co_u32_e32 v12, vcc, s10, v16
	v_subbrev_co_u32_e32 v13, vcc, 0, v17, vcc
	v_add_co_u32_e32 v14, vcc, v14, v18
	v_addc_co_u32_e32 v15, vcc, v15, v19, vcc
	v_cmp_lt_i64_e32 vcc, v[14:15], v[12:13]
	v_pk_mov_b32 v[16:17], v[10:11], v[10:11] op_sel:[0,1]
	s_and_saveexec_b64 s[8:9], vcc
	s_cbranch_execz .LBB71_12
; %bb.9:
	s_load_dword s0, s[6:7], 0x0
	s_load_dwordx4 s[16:19], s[6:7], 0x48
	s_load_dwordx2 s[12:13], s[6:7], 0x58
	v_lshlrev_b64 v[10:11], 4, v[14:15]
	s_mov_b64 s[6:7], 0
	s_waitcnt lgkmcnt(0)
	s_bitcmp1_b32 s0, 0
	v_mov_b32_e32 v16, s19
	v_add_co_u32_e32 v10, vcc, s18, v10
	v_addc_co_u32_e32 v11, vcc, v11, v16, vcc
	v_add_co_u32_e32 v18, vcc, 8, v10
	v_addc_co_u32_e32 v19, vcc, 0, v11, vcc
	v_lshlrev_b64 v[10:11], 2, v[14:15]
	v_mov_b32_e32 v16, s17
	v_add_co_u32_e32 v20, vcc, s16, v10
	v_addc_co_u32_e32 v21, vcc, v16, v11, vcc
	v_pk_mov_b32 v[10:11], 0, 0
	s_cselect_b64 s[0:1], -1, 0
	v_mov_b32_e32 v23, s13
	v_pk_mov_b32 v[16:17], v[10:11], v[10:11] op_sel:[0,1]
.LBB71_10:                              ; =>This Inner Loop Header: Depth=1
	global_load_dword v28, v[20:21], off
	global_load_dwordx4 v[24:27], v[18:19], off offset:-8
	s_waitcnt vmcnt(1)
	v_subrev_u32_e32 v28, s10, v28
	v_ashrrev_i32_e32 v29, 31, v28
	v_lshlrev_b64 v[28:29], 4, v[28:29]
	v_add_co_u32_e32 v28, vcc, s12, v28
	v_addc_co_u32_e32 v29, vcc, v23, v29, vcc
	global_load_dwordx4 v[28:31], v[28:29], off
	v_add_co_u32_e32 v14, vcc, 64, v14
	s_waitcnt vmcnt(1)
	v_xor_b32_e32 v32, 0x80000000, v27
	v_addc_co_u32_e32 v15, vcc, 0, v15, vcc
	v_cndmask_b32_e64 v27, v27, v32, s[0:1]
	v_add_co_u32_e32 v18, vcc, 0x400, v18
	v_mul_f64 v[32:33], v[26:27], -v[2:3]
	v_mul_f64 v[26:27], v[0:1], v[26:27]
	v_addc_co_u32_e32 v19, vcc, 0, v19, vcc
	v_fmac_f64_e32 v[32:33], v[0:1], v[24:25]
	v_fmac_f64_e32 v[26:27], v[2:3], v[24:25]
	v_add_co_u32_e32 v20, vcc, 0x100, v20
	v_cmp_ge_i64_e64 s[2:3], v[14:15], v[12:13]
	v_addc_co_u32_e32 v21, vcc, 0, v21, vcc
	s_or_b64 s[6:7], s[2:3], s[6:7]
	s_waitcnt vmcnt(0)
	v_fmac_f64_e32 v[16:17], v[32:33], v[28:29]
	v_fmac_f64_e32 v[10:11], v[26:27], v[28:29]
	v_fma_f64 v[16:17], -v[26:27], v[30:31], v[16:17]
	v_fmac_f64_e32 v[10:11], v[32:33], v[30:31]
	s_andn2_b64 exec, exec, s[6:7]
	s_cbranch_execnz .LBB71_10
; %bb.11:
	s_or_b64 exec, exec, s[6:7]
.LBB71_12:
	s_or_b64 exec, exec, s[8:9]
	v_mov_b32_dpp v0, v16 row_shr:1 row_mask:0xf bank_mask:0xf
	v_mov_b32_dpp v1, v17 row_shr:1 row_mask:0xf bank_mask:0xf
	;; [unrolled: 1-line block ×4, first 2 shown]
	v_add_f64 v[0:1], v[16:17], v[0:1]
	v_add_f64 v[10:11], v[10:11], v[12:13]
	v_cmp_eq_u32_e32 vcc, 63, v22
	v_mov_b32_dpp v2, v0 row_shr:2 row_mask:0xf bank_mask:0xf
	v_mov_b32_dpp v3, v1 row_shr:2 row_mask:0xf bank_mask:0xf
	v_mov_b32_dpp v12, v10 row_shr:2 row_mask:0xf bank_mask:0xf
	v_mov_b32_dpp v13, v11 row_shr:2 row_mask:0xf bank_mask:0xf
	v_add_f64 v[0:1], v[0:1], v[2:3]
	v_add_f64 v[10:11], v[10:11], v[12:13]
	s_nop 0
	v_mov_b32_dpp v2, v0 row_shr:4 row_mask:0xf bank_mask:0xe
	v_mov_b32_dpp v3, v1 row_shr:4 row_mask:0xf bank_mask:0xe
	v_mov_b32_dpp v12, v10 row_shr:4 row_mask:0xf bank_mask:0xe
	v_mov_b32_dpp v13, v11 row_shr:4 row_mask:0xf bank_mask:0xe
	v_add_f64 v[0:1], v[0:1], v[2:3]
	v_add_f64 v[10:11], v[10:11], v[12:13]
	s_nop 0
	;; [unrolled: 7-line block ×3, first 2 shown]
	v_mov_b32_dpp v2, v0 row_bcast:15 row_mask:0xa bank_mask:0xf
	v_mov_b32_dpp v3, v1 row_bcast:15 row_mask:0xa bank_mask:0xf
	;; [unrolled: 1-line block ×4, first 2 shown]
	v_add_f64 v[0:1], v[0:1], v[2:3]
	v_add_f64 v[10:11], v[10:11], v[12:13]
	s_nop 0
	v_mov_b32_dpp v2, v0 row_bcast:31 row_mask:0xc bank_mask:0xf
	v_mov_b32_dpp v3, v1 row_bcast:31 row_mask:0xc bank_mask:0xf
	;; [unrolled: 1-line block ×4, first 2 shown]
	s_and_b64 exec, exec, vcc
	s_cbranch_execz .LBB71_16
; %bb.13:
	v_cmp_neq_f64_e32 vcc, 0, v[4:5]
	v_cmp_neq_f64_e64 s[0:1], 0, v[6:7]
	v_add_f64 v[0:1], v[0:1], v[2:3]
	v_add_f64 v[2:3], v[10:11], v[12:13]
	s_or_b64 s[2:3], vcc, s[0:1]
	v_lshlrev_b64 v[8:9], 4, v[8:9]
	s_and_saveexec_b64 s[0:1], s[2:3]
	s_cbranch_execz .LBB71_15
; %bb.14:
	v_mov_b32_e32 v11, s5
	v_add_co_u32_e32 v10, vcc, s4, v8
	v_addc_co_u32_e32 v11, vcc, v11, v9, vcc
	global_load_dwordx4 v[10:13], v[10:11], off
	s_waitcnt vmcnt(0)
	v_fmac_f64_e32 v[0:1], v[4:5], v[10:11]
	v_fmac_f64_e32 v[2:3], v[6:7], v[10:11]
	v_fma_f64 v[0:1], -v[6:7], v[12:13], v[0:1]
	v_fmac_f64_e32 v[2:3], v[4:5], v[12:13]
.LBB71_15:
	s_or_b64 exec, exec, s[0:1]
	v_mov_b32_e32 v5, s5
	v_add_co_u32_e32 v4, vcc, s4, v8
	v_addc_co_u32_e32 v5, vcc, v5, v9, vcc
	global_store_dwordx4 v[4:5], v[0:3], off
.LBB71_16:
	s_endpgm
	.section	.rodata,"a",@progbits
	.p2align	6, 0x0
	.amdhsa_kernel _ZN9rocsparseL41csrmvn_lrb_medium_rows_warp_reduce_kernelILj256ELj64Eli21rocsparse_complex_numIdES2_S2_S2_EEvbT1_lPT2_S5_jNS_24const_host_device_scalarIT6_EEPKS3_PKS4_PKT3_PKT4_S8_PT5_21rocsparse_index_base_b
		.amdhsa_group_segment_fixed_size 4096
		.amdhsa_private_segment_fixed_size 0
		.amdhsa_kernarg_size 128
		.amdhsa_user_sgpr_count 8
		.amdhsa_user_sgpr_private_segment_buffer 1
		.amdhsa_user_sgpr_dispatch_ptr 1
		.amdhsa_user_sgpr_queue_ptr 0
		.amdhsa_user_sgpr_kernarg_segment_ptr 1
		.amdhsa_user_sgpr_dispatch_id 0
		.amdhsa_user_sgpr_flat_scratch_init 0
		.amdhsa_user_sgpr_kernarg_preload_length 0
		.amdhsa_user_sgpr_kernarg_preload_offset 0
		.amdhsa_user_sgpr_private_segment_size 0
		.amdhsa_uses_dynamic_stack 0
		.amdhsa_system_sgpr_private_segment_wavefront_offset 0
		.amdhsa_system_sgpr_workgroup_id_x 1
		.amdhsa_system_sgpr_workgroup_id_y 0
		.amdhsa_system_sgpr_workgroup_id_z 0
		.amdhsa_system_sgpr_workgroup_info 0
		.amdhsa_system_vgpr_workitem_id 2
		.amdhsa_next_free_vgpr 34
		.amdhsa_next_free_sgpr 22
		.amdhsa_accum_offset 36
		.amdhsa_reserve_vcc 1
		.amdhsa_reserve_flat_scratch 0
		.amdhsa_float_round_mode_32 0
		.amdhsa_float_round_mode_16_64 0
		.amdhsa_float_denorm_mode_32 3
		.amdhsa_float_denorm_mode_16_64 3
		.amdhsa_dx10_clamp 1
		.amdhsa_ieee_mode 1
		.amdhsa_fp16_overflow 0
		.amdhsa_tg_split 0
		.amdhsa_exception_fp_ieee_invalid_op 0
		.amdhsa_exception_fp_denorm_src 0
		.amdhsa_exception_fp_ieee_div_zero 0
		.amdhsa_exception_fp_ieee_overflow 0
		.amdhsa_exception_fp_ieee_underflow 0
		.amdhsa_exception_fp_ieee_inexact 0
		.amdhsa_exception_int_div_zero 0
	.end_amdhsa_kernel
	.section	.text._ZN9rocsparseL41csrmvn_lrb_medium_rows_warp_reduce_kernelILj256ELj64Eli21rocsparse_complex_numIdES2_S2_S2_EEvbT1_lPT2_S5_jNS_24const_host_device_scalarIT6_EEPKS3_PKS4_PKT3_PKT4_S8_PT5_21rocsparse_index_base_b,"axG",@progbits,_ZN9rocsparseL41csrmvn_lrb_medium_rows_warp_reduce_kernelILj256ELj64Eli21rocsparse_complex_numIdES2_S2_S2_EEvbT1_lPT2_S5_jNS_24const_host_device_scalarIT6_EEPKS3_PKS4_PKT3_PKT4_S8_PT5_21rocsparse_index_base_b,comdat
.Lfunc_end71:
	.size	_ZN9rocsparseL41csrmvn_lrb_medium_rows_warp_reduce_kernelILj256ELj64Eli21rocsparse_complex_numIdES2_S2_S2_EEvbT1_lPT2_S5_jNS_24const_host_device_scalarIT6_EEPKS3_PKS4_PKT3_PKT4_S8_PT5_21rocsparse_index_base_b, .Lfunc_end71-_ZN9rocsparseL41csrmvn_lrb_medium_rows_warp_reduce_kernelILj256ELj64Eli21rocsparse_complex_numIdES2_S2_S2_EEvbT1_lPT2_S5_jNS_24const_host_device_scalarIT6_EEPKS3_PKS4_PKT3_PKT4_S8_PT5_21rocsparse_index_base_b
                                        ; -- End function
	.section	.AMDGPU.csdata,"",@progbits
; Kernel info:
; codeLenInByte = 1276
; NumSgprs: 26
; NumVgprs: 34
; NumAgprs: 0
; TotalNumVgprs: 34
; ScratchSize: 0
; MemoryBound: 0
; FloatMode: 240
; IeeeMode: 1
; LDSByteSize: 4096 bytes/workgroup (compile time only)
; SGPRBlocks: 3
; VGPRBlocks: 4
; NumSGPRsForWavesPerEU: 26
; NumVGPRsForWavesPerEU: 34
; AccumOffset: 36
; Occupancy: 8
; WaveLimiterHint : 1
; COMPUTE_PGM_RSRC2:SCRATCH_EN: 0
; COMPUTE_PGM_RSRC2:USER_SGPR: 8
; COMPUTE_PGM_RSRC2:TRAP_HANDLER: 0
; COMPUTE_PGM_RSRC2:TGID_X_EN: 1
; COMPUTE_PGM_RSRC2:TGID_Y_EN: 0
; COMPUTE_PGM_RSRC2:TGID_Z_EN: 0
; COMPUTE_PGM_RSRC2:TIDIG_COMP_CNT: 2
; COMPUTE_PGM_RSRC3_GFX90A:ACCUM_OFFSET: 8
; COMPUTE_PGM_RSRC3_GFX90A:TG_SPLIT: 0
	.section	.text._ZN9rocsparseL29csrmvn_lrb_medium_rows_kernelILj256Eli21rocsparse_complex_numIdES2_S2_S2_EEvbT0_PT1_S5_jNS_24const_host_device_scalarIT5_EEPKS3_PKS4_PKT2_PKT3_S8_PT4_21rocsparse_index_base_b,"axG",@progbits,_ZN9rocsparseL29csrmvn_lrb_medium_rows_kernelILj256Eli21rocsparse_complex_numIdES2_S2_S2_EEvbT0_PT1_S5_jNS_24const_host_device_scalarIT5_EEPKS3_PKS4_PKT2_PKT3_S8_PT4_21rocsparse_index_base_b,comdat
	.globl	_ZN9rocsparseL29csrmvn_lrb_medium_rows_kernelILj256Eli21rocsparse_complex_numIdES2_S2_S2_EEvbT0_PT1_S5_jNS_24const_host_device_scalarIT5_EEPKS3_PKS4_PKT2_PKT3_S8_PT4_21rocsparse_index_base_b ; -- Begin function _ZN9rocsparseL29csrmvn_lrb_medium_rows_kernelILj256Eli21rocsparse_complex_numIdES2_S2_S2_EEvbT0_PT1_S5_jNS_24const_host_device_scalarIT5_EEPKS3_PKS4_PKT2_PKT3_S8_PT4_21rocsparse_index_base_b
	.p2align	8
	.type	_ZN9rocsparseL29csrmvn_lrb_medium_rows_kernelILj256Eli21rocsparse_complex_numIdES2_S2_S2_EEvbT0_PT1_S5_jNS_24const_host_device_scalarIT5_EEPKS3_PKS4_PKT2_PKT3_S8_PT4_21rocsparse_index_base_b,@function
_ZN9rocsparseL29csrmvn_lrb_medium_rows_kernelILj256Eli21rocsparse_complex_numIdES2_S2_S2_EEvbT0_PT1_S5_jNS_24const_host_device_scalarIT5_EEPKS3_PKS4_PKT2_PKT3_S8_PT4_21rocsparse_index_base_b: ; @_ZN9rocsparseL29csrmvn_lrb_medium_rows_kernelILj256Eli21rocsparse_complex_numIdES2_S2_S2_EEvbT0_PT1_S5_jNS_24const_host_device_scalarIT5_EEPKS3_PKS4_PKT2_PKT3_S8_PT4_21rocsparse_index_base_b
; %bb.0:
	s_load_dwordx2 s[10:11], s[6:7], 0x70
	s_load_dwordx4 s[12:15], s[6:7], 0x28
	s_load_dwordx2 s[20:21], s[4:5], 0x4
	s_load_dwordx4 s[16:19], s[6:7], 0x58
	s_mov_b64 s[2:3], src_shared_base
	v_and_b32_e32 v18, 0x3ff, v0
	s_waitcnt lgkmcnt(0)
	s_bitcmp1_b32 s11, 0
	s_cselect_b64 s[0:1], -1, 0
	s_and_b64 vcc, s[0:1], exec
	s_cselect_b32 s2, s3, s13
	s_lshr_b32 s4, s20, 16
	s_mul_i32 s4, s4, s21
	v_mul_lo_u32 v1, s4, v18
	v_bfe_u32 v2, v0, 10, 10
	v_mad_u32_u24 v1, v2, s21, v1
	v_bfe_u32 v0, v0, 20, 10
	v_add_lshl_u32 v5, v1, v0, 3
	v_mov_b32_e32 v4, s12
	v_add_u32_e32 v6, 0x1800, v5
	v_pk_mov_b32 v[0:1], s[12:13], s[12:13] op_sel:[0,1]
	v_pk_mov_b32 v[2:3], s[16:17], s[16:17] op_sel:[0,1]
	ds_write2st64_b64 v5, v[2:3], v[0:1] offset0:8 offset1:12
	v_cndmask_b32_e64 v0, v4, v6, s[0:1]
	v_mov_b32_e32 v1, s2
	flat_load_dwordx2 v[8:9], v[0:1]
	s_xor_b64 s[4:5], s[0:1], -1
	v_add_u32_e32 v0, 0x1000, v5
	v_pk_mov_b32 v[10:11], s[14:15], s[14:15] op_sel:[0,1]
	s_cbranch_vccnz .LBB72_2
; %bb.1:
	v_pk_mov_b32 v[2:3], s[12:13], s[12:13] op_sel:[0,1]
	flat_load_dwordx2 v[10:11], v[2:3] offset:8
.LBB72_2:
	s_and_b64 s[12:13], s[0:1], exec
	s_cselect_b32 s2, s3, s17
	v_mov_b32_e32 v1, s16
	v_cndmask_b32_e64 v0, v1, v0, s[0:1]
	v_mov_b32_e32 v1, s2
	flat_load_dwordx2 v[4:5], v[0:1]
	s_andn2_b64 vcc, exec, s[4:5]
	v_pk_mov_b32 v[6:7], s[18:19], s[18:19] op_sel:[0,1]
	s_cbranch_vccnz .LBB72_4
; %bb.3:
	v_pk_mov_b32 v[0:1], s[16:17], s[16:17] op_sel:[0,1]
	flat_load_dwordx2 v[6:7], v[0:1] offset:8
.LBB72_4:
	s_waitcnt vmcnt(0) lgkmcnt(0)
	v_cmp_eq_f64_e32 vcc, 0, v[8:9]
	v_cmp_eq_f64_e64 s[0:1], 0, v[10:11]
	s_and_b64 s[4:5], vcc, s[0:1]
	s_mov_b64 s[0:1], -1
	s_and_saveexec_b64 s[2:3], s[4:5]
; %bb.5:
	v_cmp_neq_f64_e32 vcc, 1.0, v[4:5]
	v_cmp_neq_f64_e64 s[0:1], 0, v[6:7]
	s_or_b64 s[0:1], vcc, s[0:1]
	s_orn2_b64 s[0:1], s[0:1], exec
; %bb.6:
	s_or_b64 exec, exec, s[2:3]
	s_and_saveexec_b64 s[2:3], s[0:1]
	s_cbranch_execz .LBB72_31
; %bb.7:
	s_load_dword s4, s[6:7], 0x20
	s_load_dwordx4 s[0:3], s[6:7], 0x10
	s_mov_b32 s5, 0
	v_subrev_co_u32_e32 v0, vcc, s10, v18
	s_waitcnt lgkmcnt(0)
	s_lshl_b64 s[4:5], s[4:5], 2
	s_add_u32 s2, s2, s4
	s_addc_u32 s3, s3, s5
	s_load_dword s2, s[2:3], 0x0
	v_subb_co_u32_e64 v1, s[12:13], 0, 0, vcc
	v_pk_mov_b32 v[2:3], 0, 0
	s_waitcnt lgkmcnt(0)
	s_add_i32 s2, s2, s8
	s_ashr_i32 s3, s2, 31
	s_lshl_b64 s[2:3], s[2:3], 2
	s_add_u32 s0, s0, s2
	s_addc_u32 s1, s1, s3
	s_load_dword s8, s[0:1], 0x0
	s_load_dwordx2 s[2:3], s[6:7], 0x38
	s_load_dwordx2 s[4:5], s[6:7], 0x68
	s_waitcnt lgkmcnt(0)
	s_ashr_i32 s9, s8, 31
	s_lshl_b64 s[0:1], s[8:9], 3
	s_add_u32 s0, s2, s0
	s_addc_u32 s1, s3, s1
	s_load_dwordx4 s[0:3], s[0:1], 0x0
	s_waitcnt lgkmcnt(0)
	s_sub_u32 s12, s2, s10
	v_mov_b32_e32 v13, s1
	v_add_co_u32_e32 v12, vcc, s0, v0
	s_subb_u32 s13, s3, 0
	v_addc_co_u32_e32 v13, vcc, v13, v1, vcc
	v_cmp_gt_i64_e32 vcc, s[12:13], v[12:13]
	v_pk_mov_b32 v[0:1], v[2:3], v[2:3] op_sel:[0,1]
	s_and_saveexec_b64 s[14:15], vcc
	s_cbranch_execz .LBB72_11
; %bb.8:
	s_load_dword s0, s[6:7], 0x0
	s_load_dwordx4 s[20:23], s[6:7], 0x40
	s_load_dwordx2 s[16:17], s[6:7], 0x50
	v_lshlrev_b64 v[0:1], 4, v[12:13]
	s_mov_b64 s[6:7], 0
	s_waitcnt lgkmcnt(0)
	s_bitcmp1_b32 s0, 0
	v_mov_b32_e32 v2, s23
	v_add_co_u32_e32 v0, vcc, s22, v0
	v_addc_co_u32_e32 v1, vcc, v1, v2, vcc
	v_add_co_u32_e32 v14, vcc, 8, v0
	v_addc_co_u32_e32 v15, vcc, 0, v1, vcc
	v_lshlrev_b64 v[0:1], 2, v[12:13]
	v_mov_b32_e32 v2, s21
	v_add_co_u32_e32 v16, vcc, s20, v0
	v_addc_co_u32_e32 v17, vcc, v2, v1, vcc
	v_pk_mov_b32 v[2:3], 0, 0
	s_cselect_b64 s[0:1], -1, 0
	v_mov_b32_e32 v19, s17
	s_movk_i32 s11, 0x100
	v_pk_mov_b32 v[0:1], v[2:3], v[2:3] op_sel:[0,1]
.LBB72_9:                               ; =>This Inner Loop Header: Depth=1
	global_load_dword v24, v[16:17], off
	global_load_dwordx4 v[20:23], v[14:15], off offset:-8
	s_waitcnt vmcnt(1)
	v_subrev_u32_e32 v24, s10, v24
	v_ashrrev_i32_e32 v25, 31, v24
	v_lshlrev_b64 v[24:25], 4, v[24:25]
	v_add_co_u32_e32 v24, vcc, s16, v24
	v_addc_co_u32_e32 v25, vcc, v19, v25, vcc
	global_load_dwordx4 v[24:27], v[24:25], off
	v_add_co_u32_e32 v12, vcc, s11, v12
	s_waitcnt vmcnt(1)
	v_xor_b32_e32 v28, 0x80000000, v23
	v_addc_co_u32_e32 v13, vcc, 0, v13, vcc
	v_cndmask_b32_e64 v23, v23, v28, s[0:1]
	v_add_co_u32_e32 v14, vcc, 0x1000, v14
	v_mul_f64 v[28:29], v[22:23], -v[10:11]
	v_mul_f64 v[22:23], v[8:9], v[22:23]
	v_addc_co_u32_e32 v15, vcc, 0, v15, vcc
	v_fmac_f64_e32 v[28:29], v[8:9], v[20:21]
	v_fmac_f64_e32 v[22:23], v[10:11], v[20:21]
	v_add_co_u32_e32 v16, vcc, 0x400, v16
	v_cmp_le_i64_e64 s[2:3], s[12:13], v[12:13]
	v_addc_co_u32_e32 v17, vcc, 0, v17, vcc
	s_or_b64 s[6:7], s[2:3], s[6:7]
	s_waitcnt vmcnt(0)
	v_fmac_f64_e32 v[0:1], v[28:29], v[24:25]
	v_fmac_f64_e32 v[2:3], v[22:23], v[24:25]
	v_fma_f64 v[0:1], -v[22:23], v[26:27], v[0:1]
	v_fmac_f64_e32 v[2:3], v[28:29], v[26:27]
	s_andn2_b64 exec, exec, s[6:7]
	s_cbranch_execnz .LBB72_9
; %bb.10:
	s_or_b64 exec, exec, s[6:7]
.LBB72_11:
	s_or_b64 exec, exec, s[14:15]
	s_movk_i32 s0, 0x80
	v_lshlrev_b32_e32 v8, 4, v18
	v_cmp_gt_u32_e32 vcc, s0, v18
	ds_write_b128 v8, v[0:3]
	s_waitcnt lgkmcnt(0)
	s_barrier
	s_and_saveexec_b64 s[0:1], vcc
	s_cbranch_execz .LBB72_13
; %bb.12:
	ds_read_b128 v[0:3], v8 offset:2048
	ds_read_b128 v[10:13], v8
	s_waitcnt lgkmcnt(0)
	v_add_f64 v[0:1], v[0:1], v[10:11]
	v_add_f64 v[2:3], v[2:3], v[12:13]
	ds_write_b128 v8, v[0:3]
.LBB72_13:
	s_or_b64 exec, exec, s[0:1]
	v_cmp_gt_u32_e32 vcc, 64, v18
	s_waitcnt lgkmcnt(0)
	s_barrier
	s_and_saveexec_b64 s[0:1], vcc
	s_cbranch_execz .LBB72_15
; %bb.14:
	ds_read_b128 v[0:3], v8 offset:1024
	ds_read_b128 v[10:13], v8
	s_waitcnt lgkmcnt(0)
	v_add_f64 v[0:1], v[0:1], v[10:11]
	v_add_f64 v[2:3], v[2:3], v[12:13]
	ds_write_b128 v8, v[0:3]
.LBB72_15:
	s_or_b64 exec, exec, s[0:1]
	v_cmp_gt_u32_e32 vcc, 32, v18
	s_waitcnt lgkmcnt(0)
	s_barrier
	s_and_saveexec_b64 s[0:1], vcc
	s_cbranch_execz .LBB72_17
; %bb.16:
	ds_read_b128 v[0:3], v8 offset:512
	ds_read_b128 v[10:13], v8
	s_waitcnt lgkmcnt(0)
	v_add_f64 v[0:1], v[0:1], v[10:11]
	v_add_f64 v[2:3], v[2:3], v[12:13]
	ds_write_b128 v8, v[0:3]
.LBB72_17:
	s_or_b64 exec, exec, s[0:1]
	v_cmp_gt_u32_e32 vcc, 16, v18
	s_waitcnt lgkmcnt(0)
	s_barrier
	s_and_saveexec_b64 s[0:1], vcc
	s_cbranch_execz .LBB72_19
; %bb.18:
	ds_read_b128 v[0:3], v8 offset:256
	ds_read_b128 v[10:13], v8
	s_waitcnt lgkmcnt(0)
	v_add_f64 v[0:1], v[0:1], v[10:11]
	v_add_f64 v[2:3], v[2:3], v[12:13]
	ds_write_b128 v8, v[0:3]
.LBB72_19:
	s_or_b64 exec, exec, s[0:1]
	v_cmp_gt_u32_e32 vcc, 8, v18
	s_waitcnt lgkmcnt(0)
	s_barrier
	s_and_saveexec_b64 s[0:1], vcc
	s_cbranch_execz .LBB72_21
; %bb.20:
	ds_read_b128 v[0:3], v8 offset:128
	ds_read_b128 v[10:13], v8
	s_waitcnt lgkmcnt(0)
	v_add_f64 v[0:1], v[0:1], v[10:11]
	v_add_f64 v[2:3], v[2:3], v[12:13]
	ds_write_b128 v8, v[0:3]
.LBB72_21:
	s_or_b64 exec, exec, s[0:1]
	v_cmp_gt_u32_e32 vcc, 4, v18
	s_waitcnt lgkmcnt(0)
	s_barrier
	s_and_saveexec_b64 s[0:1], vcc
	s_cbranch_execz .LBB72_23
; %bb.22:
	ds_read_b128 v[0:3], v8 offset:64
	ds_read_b128 v[10:13], v8
	s_waitcnt lgkmcnt(0)
	v_add_f64 v[0:1], v[0:1], v[10:11]
	v_add_f64 v[2:3], v[2:3], v[12:13]
	ds_write_b128 v8, v[0:3]
.LBB72_23:
	s_or_b64 exec, exec, s[0:1]
	v_cmp_gt_u32_e32 vcc, 2, v18
	s_waitcnt lgkmcnt(0)
	s_barrier
	s_and_saveexec_b64 s[0:1], vcc
	s_cbranch_execz .LBB72_25
; %bb.24:
	ds_read_b128 v[0:3], v8
	ds_read_b128 v[10:13], v8 offset:32
	s_waitcnt lgkmcnt(0)
	v_add_f64 v[0:1], v[10:11], v[0:1]
	v_add_f64 v[2:3], v[12:13], v[2:3]
	ds_write_b128 v8, v[0:3]
.LBB72_25:
	s_or_b64 exec, exec, s[0:1]
	v_cmp_eq_u32_e32 vcc, 0, v18
	s_waitcnt lgkmcnt(0)
	s_barrier
	s_and_saveexec_b64 s[0:1], vcc
	s_cbranch_execz .LBB72_27
; %bb.26:
	v_mov_b32_e32 v12, 0
	ds_read_b128 v[0:3], v12
	ds_read_b128 v[8:11], v12 offset:16
	s_waitcnt lgkmcnt(0)
	v_add_f64 v[0:1], v[8:9], v[0:1]
	v_add_f64 v[2:3], v[10:11], v[2:3]
	ds_write_b128 v12, v[0:3]
.LBB72_27:
	s_or_b64 exec, exec, s[0:1]
	s_waitcnt lgkmcnt(0)
	s_barrier
	s_and_b64 exec, exec, vcc
	s_cbranch_execz .LBB72_31
; %bb.28:
	v_mov_b32_e32 v8, 0
	ds_read_b128 v[0:3], v8
	v_cmp_neq_f64_e32 vcc, 0, v[4:5]
	v_cmp_neq_f64_e64 s[0:1], 0, v[6:7]
	s_or_b64 s[2:3], vcc, s[0:1]
	s_and_saveexec_b64 s[0:1], s[2:3]
	s_cbranch_execz .LBB72_30
; %bb.29:
	s_lshl_b64 s[2:3], s[8:9], 4
	s_add_u32 s2, s4, s2
	s_addc_u32 s3, s5, s3
	s_load_dwordx4 s[12:15], s[2:3], 0x0
	s_waitcnt lgkmcnt(0)
	v_fmac_f64_e32 v[0:1], s[12:13], v[4:5]
	v_fmac_f64_e32 v[2:3], s[12:13], v[6:7]
	v_fma_f64 v[0:1], -v[6:7], s[14:15], v[0:1]
	v_fmac_f64_e32 v[2:3], s[14:15], v[4:5]
.LBB72_30:
	s_or_b64 exec, exec, s[0:1]
	s_lshl_b64 s[0:1], s[8:9], 4
	s_add_u32 s0, s4, s0
	s_addc_u32 s1, s5, s1
	s_waitcnt lgkmcnt(0)
	global_store_dwordx4 v8, v[0:3], s[0:1]
.LBB72_31:
	s_endpgm
	.section	.rodata,"a",@progbits
	.p2align	6, 0x0
	.amdhsa_kernel _ZN9rocsparseL29csrmvn_lrb_medium_rows_kernelILj256Eli21rocsparse_complex_numIdES2_S2_S2_EEvbT0_PT1_S5_jNS_24const_host_device_scalarIT5_EEPKS3_PKS4_PKT2_PKT3_S8_PT4_21rocsparse_index_base_b
		.amdhsa_group_segment_fixed_size 8192
		.amdhsa_private_segment_fixed_size 0
		.amdhsa_kernarg_size 120
		.amdhsa_user_sgpr_count 8
		.amdhsa_user_sgpr_private_segment_buffer 1
		.amdhsa_user_sgpr_dispatch_ptr 1
		.amdhsa_user_sgpr_queue_ptr 0
		.amdhsa_user_sgpr_kernarg_segment_ptr 1
		.amdhsa_user_sgpr_dispatch_id 0
		.amdhsa_user_sgpr_flat_scratch_init 0
		.amdhsa_user_sgpr_kernarg_preload_length 0
		.amdhsa_user_sgpr_kernarg_preload_offset 0
		.amdhsa_user_sgpr_private_segment_size 0
		.amdhsa_uses_dynamic_stack 0
		.amdhsa_system_sgpr_private_segment_wavefront_offset 0
		.amdhsa_system_sgpr_workgroup_id_x 1
		.amdhsa_system_sgpr_workgroup_id_y 0
		.amdhsa_system_sgpr_workgroup_id_z 0
		.amdhsa_system_sgpr_workgroup_info 0
		.amdhsa_system_vgpr_workitem_id 2
		.amdhsa_next_free_vgpr 30
		.amdhsa_next_free_sgpr 24
		.amdhsa_accum_offset 32
		.amdhsa_reserve_vcc 1
		.amdhsa_reserve_flat_scratch 0
		.amdhsa_float_round_mode_32 0
		.amdhsa_float_round_mode_16_64 0
		.amdhsa_float_denorm_mode_32 3
		.amdhsa_float_denorm_mode_16_64 3
		.amdhsa_dx10_clamp 1
		.amdhsa_ieee_mode 1
		.amdhsa_fp16_overflow 0
		.amdhsa_tg_split 0
		.amdhsa_exception_fp_ieee_invalid_op 0
		.amdhsa_exception_fp_denorm_src 0
		.amdhsa_exception_fp_ieee_div_zero 0
		.amdhsa_exception_fp_ieee_overflow 0
		.amdhsa_exception_fp_ieee_underflow 0
		.amdhsa_exception_fp_ieee_inexact 0
		.amdhsa_exception_int_div_zero 0
	.end_amdhsa_kernel
	.section	.text._ZN9rocsparseL29csrmvn_lrb_medium_rows_kernelILj256Eli21rocsparse_complex_numIdES2_S2_S2_EEvbT0_PT1_S5_jNS_24const_host_device_scalarIT5_EEPKS3_PKS4_PKT2_PKT3_S8_PT4_21rocsparse_index_base_b,"axG",@progbits,_ZN9rocsparseL29csrmvn_lrb_medium_rows_kernelILj256Eli21rocsparse_complex_numIdES2_S2_S2_EEvbT0_PT1_S5_jNS_24const_host_device_scalarIT5_EEPKS3_PKS4_PKT2_PKT3_S8_PT4_21rocsparse_index_base_b,comdat
.Lfunc_end72:
	.size	_ZN9rocsparseL29csrmvn_lrb_medium_rows_kernelILj256Eli21rocsparse_complex_numIdES2_S2_S2_EEvbT0_PT1_S5_jNS_24const_host_device_scalarIT5_EEPKS3_PKS4_PKT2_PKT3_S8_PT4_21rocsparse_index_base_b, .Lfunc_end72-_ZN9rocsparseL29csrmvn_lrb_medium_rows_kernelILj256Eli21rocsparse_complex_numIdES2_S2_S2_EEvbT0_PT1_S5_jNS_24const_host_device_scalarIT5_EEPKS3_PKS4_PKT2_PKT3_S8_PT4_21rocsparse_index_base_b
                                        ; -- End function
	.section	.AMDGPU.csdata,"",@progbits
; Kernel info:
; codeLenInByte = 1500
; NumSgprs: 28
; NumVgprs: 30
; NumAgprs: 0
; TotalNumVgprs: 30
; ScratchSize: 0
; MemoryBound: 0
; FloatMode: 240
; IeeeMode: 1
; LDSByteSize: 8192 bytes/workgroup (compile time only)
; SGPRBlocks: 3
; VGPRBlocks: 3
; NumSGPRsForWavesPerEU: 28
; NumVGPRsForWavesPerEU: 30
; AccumOffset: 32
; Occupancy: 8
; WaveLimiterHint : 1
; COMPUTE_PGM_RSRC2:SCRATCH_EN: 0
; COMPUTE_PGM_RSRC2:USER_SGPR: 8
; COMPUTE_PGM_RSRC2:TRAP_HANDLER: 0
; COMPUTE_PGM_RSRC2:TGID_X_EN: 1
; COMPUTE_PGM_RSRC2:TGID_Y_EN: 0
; COMPUTE_PGM_RSRC2:TGID_Z_EN: 0
; COMPUTE_PGM_RSRC2:TIDIG_COMP_CNT: 2
; COMPUTE_PGM_RSRC3_GFX90A:ACCUM_OFFSET: 7
; COMPUTE_PGM_RSRC3_GFX90A:TG_SPLIT: 0
	.section	.text._ZN9rocsparseL27csrmvn_lrb_long_rows_kernelIli21rocsparse_complex_numIdES2_S2_S2_EEvbT_PjPT0_S6_jNS_24const_host_device_scalarIT4_EEPKS3_PKS5_PKT1_PKT2_S9_PT3_21rocsparse_index_base_b,"axG",@progbits,_ZN9rocsparseL27csrmvn_lrb_long_rows_kernelIli21rocsparse_complex_numIdES2_S2_S2_EEvbT_PjPT0_S6_jNS_24const_host_device_scalarIT4_EEPKS3_PKS5_PKT1_PKT2_S9_PT3_21rocsparse_index_base_b,comdat
	.globl	_ZN9rocsparseL27csrmvn_lrb_long_rows_kernelIli21rocsparse_complex_numIdES2_S2_S2_EEvbT_PjPT0_S6_jNS_24const_host_device_scalarIT4_EEPKS3_PKS5_PKT1_PKT2_S9_PT3_21rocsparse_index_base_b ; -- Begin function _ZN9rocsparseL27csrmvn_lrb_long_rows_kernelIli21rocsparse_complex_numIdES2_S2_S2_EEvbT_PjPT0_S6_jNS_24const_host_device_scalarIT4_EEPKS3_PKS5_PKT1_PKT2_S9_PT3_21rocsparse_index_base_b
	.p2align	8
	.type	_ZN9rocsparseL27csrmvn_lrb_long_rows_kernelIli21rocsparse_complex_numIdES2_S2_S2_EEvbT_PjPT0_S6_jNS_24const_host_device_scalarIT4_EEPKS3_PKS5_PKT1_PKT2_S9_PT3_21rocsparse_index_base_b,@function
_ZN9rocsparseL27csrmvn_lrb_long_rows_kernelIli21rocsparse_complex_numIdES2_S2_S2_EEvbT_PjPT0_S6_jNS_24const_host_device_scalarIT4_EEPKS3_PKS5_PKT1_PKT2_S9_PT3_21rocsparse_index_base_b: ; @_ZN9rocsparseL27csrmvn_lrb_long_rows_kernelIli21rocsparse_complex_numIdES2_S2_S2_EEvbT_PjPT0_S6_jNS_24const_host_device_scalarIT4_EEPKS3_PKS5_PKT1_PKT2_S9_PT3_21rocsparse_index_base_b
; %bb.0:
	s_load_dwordx2 s[20:21], s[6:7], 0x78
	s_load_dwordx4 s[12:15], s[6:7], 0x30
	s_load_dwordx2 s[10:11], s[4:5], 0x4
	s_load_dwordx4 s[16:19], s[6:7], 0x60
	s_mov_b64 s[2:3], src_shared_base
	v_and_b32_e32 v14, 0x3ff, v0
	s_waitcnt lgkmcnt(0)
	s_bitcmp1_b32 s21, 0
	s_cselect_b64 s[0:1], -1, 0
	s_and_b64 vcc, s[0:1], exec
	s_cselect_b32 s2, s3, s13
	s_lshr_b32 s4, s10, 16
	s_mul_i32 s4, s4, s11
	v_mul_lo_u32 v1, s4, v14
	v_bfe_u32 v2, v0, 10, 10
	v_mad_u32_u24 v1, v2, s11, v1
	v_bfe_u32 v0, v0, 20, 10
	v_add_lshl_u32 v6, v1, v0, 3
	v_mov_b32_e32 v4, s12
	v_add_u32_e32 v5, 0x1800, v6
	v_pk_mov_b32 v[0:1], s[12:13], s[12:13] op_sel:[0,1]
	v_pk_mov_b32 v[2:3], s[16:17], s[16:17] op_sel:[0,1]
	ds_write2st64_b64 v6, v[2:3], v[0:1] offset0:8 offset1:12
	v_cndmask_b32_e64 v0, v4, v5, s[0:1]
	v_mov_b32_e32 v1, s2
	flat_load_dwordx2 v[4:5], v[0:1]
	s_xor_b64 s[4:5], s[0:1], -1
	v_add_u32_e32 v0, 0x1000, v6
	v_pk_mov_b32 v[6:7], s[14:15], s[14:15] op_sel:[0,1]
	s_cbranch_vccnz .LBB73_2
; %bb.1:
	v_pk_mov_b32 v[2:3], s[12:13], s[12:13] op_sel:[0,1]
	flat_load_dwordx2 v[6:7], v[2:3] offset:8
.LBB73_2:
	s_and_b64 s[10:11], s[0:1], exec
	s_cselect_b32 s2, s3, s17
	v_mov_b32_e32 v1, s16
	v_cndmask_b32_e64 v0, v1, v0, s[0:1]
	v_mov_b32_e32 v1, s2
	flat_load_dwordx2 v[10:11], v[0:1]
	s_andn2_b64 vcc, exec, s[4:5]
	v_pk_mov_b32 v[8:9], s[18:19], s[18:19] op_sel:[0,1]
	s_cbranch_vccnz .LBB73_4
; %bb.3:
	v_pk_mov_b32 v[0:1], s[16:17], s[16:17] op_sel:[0,1]
	flat_load_dwordx2 v[8:9], v[0:1] offset:8
.LBB73_4:
	s_waitcnt vmcnt(0) lgkmcnt(0)
	v_cmp_eq_f64_e32 vcc, 0, v[4:5]
	v_cmp_eq_f64_e64 s[0:1], 0, v[6:7]
	s_and_b64 s[4:5], vcc, s[0:1]
	s_mov_b64 s[0:1], -1
	s_and_saveexec_b64 s[2:3], s[4:5]
; %bb.5:
	v_cmp_neq_f64_e32 vcc, 1.0, v[10:11]
	v_cmp_neq_f64_e64 s[0:1], 0, v[8:9]
	s_or_b64 s[0:1], vcc, s[0:1]
	s_orn2_b64 s[0:1], s[0:1], exec
; %bb.6:
	s_or_b64 exec, exec, s[2:3]
	s_and_saveexec_b64 s[2:3], s[0:1]
	s_cbranch_execz .LBB73_44
; %bb.7:
	s_load_dword s22, s[6:7], 0x28
	s_load_dwordx2 s[0:1], s[6:7], 0x20
	s_mov_b32 s23, 0
	s_waitcnt lgkmcnt(0)
	s_lshl_b64 s[2:3], s[22:23], 2
	s_add_u32 s0, s0, s2
	s_addc_u32 s1, s1, s3
	s_lshl_b32 s2, -1, s22
	s_not_b32 s2, s2
	s_mul_hi_u32 s2, s2, 0x2aaaaaab
	s_lshr_b32 s2, s2, 7
	s_add_i32 s3, s2, 1
	v_cvt_f32_u32_e32 v0, s3
	s_load_dwordx4 s[12:15], s[6:7], 0x10
	s_load_dword s4, s[0:1], 0x0
	s_not_b32 s0, s2
	v_rcp_iflag_f32_e32 v0, v0
	v_mul_f32_e32 v0, 0x4f7ffffe, v0
	v_cvt_u32_f32_e32 v0, v0
	v_readfirstlane_b32 s1, v0
	s_mul_i32 s0, s0, s1
	s_mul_hi_u32 s0, s1, s0
	s_add_i32 s1, s1, s0
	s_mul_hi_u32 s0, s8, s1
	s_mul_i32 s1, s0, s3
	s_sub_i32 s1, s8, s1
	s_add_i32 s2, s0, 1
	s_sub_i32 s5, s1, s3
	s_cmp_ge_u32 s1, s3
	s_cselect_b32 s0, s2, s0
	s_cselect_b32 s1, s5, s1
	s_add_i32 s2, s0, 1
	s_cmp_ge_u32 s1, s3
	s_cselect_b32 s0, s2, s0
	s_mul_i32 s18, s0, s3
	s_waitcnt lgkmcnt(0)
	s_add_i32 s0, s0, s4
	s_ashr_i32 s1, s0, 31
	s_sub_i32 s28, s8, s18
	s_lshl_b64 s[0:1], s[0:1], 2
	s_add_u32 s0, s14, s0
	s_addc_u32 s1, s15, s1
	s_load_dword s14, s[0:1], 0x0
	s_load_dwordx2 s[2:3], s[6:7], 0x40
	s_load_dwordx2 s[4:5], s[6:7], 0x70
	v_or_b32_e32 v0, s28, v14
	v_cmp_eq_u32_e32 vcc, 0, v0
	s_waitcnt lgkmcnt(0)
	s_ashr_i32 s15, s14, 31
	s_lshl_b64 s[0:1], s[14:15], 3
	s_add_u32 s0, s2, s0
	s_addc_u32 s1, s3, s1
	s_ashr_i32 s9, s8, 31
	s_lshl_b64 s[8:9], s[8:9], 2
	s_add_u32 s16, s12, s8
	s_addc_u32 s17, s13, s9
	s_load_dwordx4 s[0:3], s[0:1], 0x0
	v_pk_mov_b32 v[0:1], 0, 0
	s_load_dword s21, s[16:17], 0x0
	v_pk_mov_b32 v[2:3], v[0:1], v[0:1] op_sel:[0,1]
	s_and_saveexec_b64 s[24:25], vcc
	s_cbranch_execz .LBB73_11
; %bb.8:
	s_lshl_b64 s[8:9], s[14:15], 4
	s_add_u32 s8, s4, s8
	s_addc_u32 s9, s5, s9
	s_load_dwordx4 s[8:11], s[8:9], 0x0
	s_mov_b64 s[26:27], exec
	v_mbcnt_lo_u32_b32 v12, s26, 0
	v_add_f64 v[10:11], v[10:11], -1.0
	v_mbcnt_hi_u32_b32 v12, s27, v12
	s_waitcnt lgkmcnt(0)
	v_mul_f64 v[0:1], s[10:11], -v[8:9]
	v_mul_f64 v[2:3], v[10:11], s[10:11]
	v_cmp_eq_u32_e32 vcc, 0, v12
	s_waitcnt vmcnt(0) expcnt(0) lgkmcnt(0)
	s_and_saveexec_b64 s[10:11], vcc
	s_cbranch_execz .LBB73_10
; %bb.9:
	s_ashr_i32 s19, s18, 31
	s_lshl_b64 s[30:31], s[18:19], 2
	s_add_u32 s30, s12, s30
	s_addc_u32 s31, s13, s31
	s_bcnt1_i32_b64 s19, s[26:27]
	s_and_b32 s19, s19, 1
	v_mov_b32_e32 v12, 0
	v_mov_b32_e32 v13, s19
	global_atomic_xor v12, v13, s[30:31]
.LBB73_10:
	s_or_b64 exec, exec, s[10:11]
	v_fmac_f64_e32 v[0:1], s[8:9], v[10:11]
	v_fmac_f64_e32 v[2:3], s[8:9], v[8:9]
.LBB73_11:
	s_or_b64 exec, exec, s[24:25]
	s_mul_i32 s22, s28, 3
	s_lshl_b64 s[8:9], s[22:23], 8
	s_waitcnt lgkmcnt(0)
	s_sub_u32 s0, s0, s20
	s_subb_u32 s1, s1, 0
	s_add_u32 s10, s0, s8
	s_addc_u32 s11, s1, s9
	s_sub_u32 s0, s2, s20
	s_subb_u32 s1, s3, 0
	s_add_u32 s2, s10, 0x300
	s_addc_u32 s3, s11, 0
	v_pk_mov_b32 v[8:9], s[0:1], s[0:1] op_sel:[0,1]
	v_cmp_lt_i64_e32 vcc, s[2:3], v[8:9]
	s_and_b64 s[8:9], vcc, exec
	v_mov_b32_e32 v9, s11
	v_add_co_u32_e32 v8, vcc, s10, v14
	s_cselect_b32 s9, s3, s1
	s_cselect_b32 s8, s2, s0
	v_addc_co_u32_e32 v9, vcc, 0, v9, vcc
	v_cmp_gt_i64_e32 vcc, s[8:9], v[8:9]
	s_and_saveexec_b64 s[10:11], vcc
	s_cbranch_execz .LBB73_15
; %bb.12:
	s_load_dword s0, s[6:7], 0x0
	s_load_dwordx4 s[24:27], s[6:7], 0x48
	s_load_dwordx2 s[22:23], s[6:7], 0x58
	v_lshlrev_b64 v[10:11], 4, v[8:9]
	s_mov_b64 s[6:7], 0
	s_waitcnt lgkmcnt(0)
	s_bitcmp1_b32 s0, 0
	v_mov_b32_e32 v12, s27
	v_add_co_u32_e32 v10, vcc, s26, v10
	v_addc_co_u32_e32 v11, vcc, v11, v12, vcc
	v_add_co_u32_e32 v10, vcc, 8, v10
	v_addc_co_u32_e32 v11, vcc, 0, v11, vcc
	v_lshlrev_b64 v[12:13], 2, v[8:9]
	v_mov_b32_e32 v15, s25
	v_add_co_u32_e32 v12, vcc, s24, v12
	s_cselect_b64 s[0:1], -1, 0
	v_addc_co_u32_e32 v13, vcc, v15, v13, vcc
	v_mov_b32_e32 v15, s23
	s_movk_i32 s19, 0x100
.LBB73_13:                              ; =>This Inner Loop Header: Depth=1
	global_load_dword v20, v[12:13], off
	global_load_dwordx4 v[16:19], v[10:11], off offset:-8
	s_waitcnt vmcnt(1)
	v_subrev_u32_e32 v20, s20, v20
	v_ashrrev_i32_e32 v21, 31, v20
	v_lshlrev_b64 v[20:21], 4, v[20:21]
	v_add_co_u32_e32 v20, vcc, s22, v20
	v_addc_co_u32_e32 v21, vcc, v15, v21, vcc
	global_load_dwordx4 v[20:23], v[20:21], off
	v_add_co_u32_e32 v8, vcc, s19, v8
	s_waitcnt vmcnt(1)
	v_xor_b32_e32 v24, 0x80000000, v19
	v_addc_co_u32_e32 v9, vcc, 0, v9, vcc
	v_cndmask_b32_e64 v19, v19, v24, s[0:1]
	v_add_co_u32_e32 v10, vcc, 0x1000, v10
	v_mul_f64 v[24:25], v[18:19], -v[6:7]
	v_mul_f64 v[18:19], v[4:5], v[18:19]
	v_addc_co_u32_e32 v11, vcc, 0, v11, vcc
	v_fmac_f64_e32 v[24:25], v[4:5], v[16:17]
	v_fmac_f64_e32 v[18:19], v[6:7], v[16:17]
	v_add_co_u32_e32 v12, vcc, 0x400, v12
	v_cmp_le_i64_e64 s[2:3], s[8:9], v[8:9]
	v_addc_co_u32_e32 v13, vcc, 0, v13, vcc
	s_or_b64 s[6:7], s[2:3], s[6:7]
	s_waitcnt vmcnt(0)
	v_fmac_f64_e32 v[0:1], v[24:25], v[20:21]
	v_fmac_f64_e32 v[2:3], v[18:19], v[20:21]
	v_fma_f64 v[0:1], -v[18:19], v[22:23], v[0:1]
	v_fmac_f64_e32 v[2:3], v[24:25], v[22:23]
	s_andn2_b64 exec, exec, s[6:7]
	s_cbranch_execnz .LBB73_13
; %bb.14:
	s_or_b64 exec, exec, s[6:7]
.LBB73_15:
	s_or_b64 exec, exec, s[10:11]
	s_movk_i32 s0, 0x80
	v_lshlrev_b32_e32 v4, 4, v14
	v_cmp_gt_u32_e32 vcc, s0, v14
	ds_write_b128 v4, v[0:3]
	s_waitcnt lgkmcnt(0)
	s_barrier
	s_and_saveexec_b64 s[0:1], vcc
	s_cbranch_execz .LBB73_17
; %bb.16:
	ds_read_b128 v[0:3], v4 offset:2048
	ds_read_b128 v[6:9], v4
	s_waitcnt lgkmcnt(0)
	v_add_f64 v[0:1], v[0:1], v[6:7]
	v_add_f64 v[2:3], v[2:3], v[8:9]
	ds_write_b128 v4, v[0:3]
.LBB73_17:
	s_or_b64 exec, exec, s[0:1]
	v_cmp_gt_u32_e32 vcc, 64, v14
	s_waitcnt lgkmcnt(0)
	s_barrier
	s_and_saveexec_b64 s[0:1], vcc
	s_cbranch_execz .LBB73_19
; %bb.18:
	ds_read_b128 v[0:3], v4 offset:1024
	ds_read_b128 v[6:9], v4
	s_waitcnt lgkmcnt(0)
	v_add_f64 v[0:1], v[0:1], v[6:7]
	v_add_f64 v[2:3], v[2:3], v[8:9]
	ds_write_b128 v4, v[0:3]
.LBB73_19:
	s_or_b64 exec, exec, s[0:1]
	v_cmp_gt_u32_e32 vcc, 32, v14
	;; [unrolled: 14-line block ×6, first 2 shown]
	s_waitcnt lgkmcnt(0)
	s_barrier
	s_and_saveexec_b64 s[0:1], vcc
	s_cbranch_execz .LBB73_29
; %bb.28:
	ds_read_b128 v[0:3], v4
	ds_read_b128 v[6:9], v4 offset:32
	s_waitcnt lgkmcnt(0)
	v_add_f64 v[0:1], v[6:7], v[0:1]
	v_add_f64 v[2:3], v[8:9], v[2:3]
	ds_write_b128 v4, v[0:3]
.LBB73_29:
	s_or_b64 exec, exec, s[0:1]
	v_cmp_eq_u32_e32 vcc, 0, v14
	s_waitcnt lgkmcnt(0)
	s_barrier
	s_and_saveexec_b64 s[0:1], vcc
	s_cbranch_execz .LBB73_31
; %bb.30:
	v_mov_b32_e32 v8, 0
	ds_read_b128 v[0:3], v8
	ds_read_b128 v[4:7], v8 offset:16
	s_waitcnt lgkmcnt(0)
	v_add_f64 v[0:1], v[4:5], v[0:1]
	v_add_f64 v[2:3], v[6:7], v[2:3]
	ds_write_b128 v8, v[0:3]
.LBB73_31:
	s_or_b64 exec, exec, s[0:1]
	s_waitcnt lgkmcnt(0)
	s_barrier
	s_and_b64 exec, exec, vcc
	s_cbranch_execz .LBB73_44
; %bb.32:
	s_cmp_eq_u32 s28, 0
	s_cbranch_scc1 .LBB73_38
; %bb.33:
	s_ashr_i32 s19, s18, 31
	s_lshl_b64 s[0:1], s[18:19], 2
	s_add_u32 s0, s12, s0
	s_addc_u32 s1, s13, s1
	v_mov_b32_e32 v0, 0
	s_branch .LBB73_35
.LBB73_34:                              ;   in Loop: Header=BB73_35 Depth=1
	s_or_b64 exec, exec, s[2:3]
	s_waitcnt vmcnt(0)
	v_readfirstlane_b32 s2, v1
	s_cmp_eq_u32 s2, s21
	s_cbranch_scc0 .LBB73_37
.LBB73_35:                              ; =>This Inner Loop Header: Depth=1
	v_mbcnt_lo_u32_b32 v1, exec_lo, 0
	v_mbcnt_hi_u32_b32 v1, exec_hi, v1
	v_cmp_eq_u32_e32 vcc, 0, v1
                                        ; implicit-def: $vgpr1
	s_and_saveexec_b64 s[2:3], vcc
	s_cbranch_execz .LBB73_34
; %bb.36:                               ;   in Loop: Header=BB73_35 Depth=1
	global_load_dword v1, v0, s[0:1] glc
	s_branch .LBB73_34
.LBB73_37:
	v_mov_b32_e32 v0, 0
	global_load_dword v1, v0, s[16:17]
	s_waitcnt vmcnt(0)
	v_xor_b32_e32 v1, 1, v1
	global_store_dword v0, v1, s[16:17]
.LBB73_38:
	v_mov_b32_e32 v8, 0
	ds_read_b128 v[0:3], v8
	s_mov_b64 s[6:7], exec
	s_lshl_b64 s[0:1], s[14:15], 4
	v_mbcnt_lo_u32_b32 v4, s6, 0
	s_add_u32 s0, s4, s0
	v_mbcnt_hi_u32_b32 v4, s7, v4
	s_addc_u32 s1, s5, s1
	v_cmp_eq_u32_e32 vcc, 0, v4
	s_and_saveexec_b64 s[2:3], vcc
	s_cbranch_execz .LBB73_41
; %bb.39:
	global_load_dwordx2 v[6:7], v8, s[0:1]
	s_bcnt1_i32_b64 s4, s[6:7]
	v_cvt_f64_u32_e32 v[4:5], s4
	s_waitcnt lgkmcnt(0)
	v_mul_f64 v[0:1], v[0:1], v[4:5]
	s_mov_b64 s[4:5], 0
.LBB73_40:                              ; =>This Inner Loop Header: Depth=1
	s_waitcnt vmcnt(0)
	v_add_f64 v[4:5], v[6:7], v[0:1]
	global_atomic_cmpswap_x2 v[4:5], v8, v[4:7], s[0:1] glc
	s_waitcnt vmcnt(0)
	v_cmp_eq_u64_e32 vcc, v[4:5], v[6:7]
	s_or_b64 s[4:5], vcc, s[4:5]
	v_pk_mov_b32 v[6:7], v[4:5], v[4:5] op_sel:[0,1]
	s_andn2_b64 exec, exec, s[4:5]
	s_cbranch_execnz .LBB73_40
.LBB73_41:
	s_or_b64 exec, exec, s[2:3]
	s_mov_b64 s[2:3], exec
	s_waitcnt lgkmcnt(0)
	v_mbcnt_lo_u32_b32 v0, s2, 0
	v_mbcnt_hi_u32_b32 v0, s3, v0
	v_cmp_eq_u32_e32 vcc, 0, v0
	s_and_b64 s[4:5], exec, vcc
	s_mov_b64 exec, s[4:5]
	s_cbranch_execz .LBB73_44
; %bb.42:
	v_mov_b32_e32 v6, 0
	global_load_dwordx2 v[4:5], v6, s[0:1] offset:8
	s_bcnt1_i32_b64 s2, s[2:3]
	v_cvt_f64_u32_e32 v[0:1], s2
	v_mul_f64 v[0:1], v[2:3], v[0:1]
	s_mov_b64 s[2:3], 0
.LBB73_43:                              ; =>This Inner Loop Header: Depth=1
	s_waitcnt vmcnt(0)
	v_add_f64 v[2:3], v[4:5], v[0:1]
	global_atomic_cmpswap_x2 v[2:3], v6, v[2:5], s[0:1] offset:8 glc
	s_waitcnt vmcnt(0)
	v_cmp_eq_u64_e32 vcc, v[2:3], v[4:5]
	s_or_b64 s[2:3], vcc, s[2:3]
	v_pk_mov_b32 v[4:5], v[2:3], v[2:3] op_sel:[0,1]
	s_andn2_b64 exec, exec, s[2:3]
	s_cbranch_execnz .LBB73_43
.LBB73_44:
	s_endpgm
	.section	.rodata,"a",@progbits
	.p2align	6, 0x0
	.amdhsa_kernel _ZN9rocsparseL27csrmvn_lrb_long_rows_kernelIli21rocsparse_complex_numIdES2_S2_S2_EEvbT_PjPT0_S6_jNS_24const_host_device_scalarIT4_EEPKS3_PKS5_PKT1_PKT2_S9_PT3_21rocsparse_index_base_b
		.amdhsa_group_segment_fixed_size 8192
		.amdhsa_private_segment_fixed_size 0
		.amdhsa_kernarg_size 128
		.amdhsa_user_sgpr_count 8
		.amdhsa_user_sgpr_private_segment_buffer 1
		.amdhsa_user_sgpr_dispatch_ptr 1
		.amdhsa_user_sgpr_queue_ptr 0
		.amdhsa_user_sgpr_kernarg_segment_ptr 1
		.amdhsa_user_sgpr_dispatch_id 0
		.amdhsa_user_sgpr_flat_scratch_init 0
		.amdhsa_user_sgpr_kernarg_preload_length 0
		.amdhsa_user_sgpr_kernarg_preload_offset 0
		.amdhsa_user_sgpr_private_segment_size 0
		.amdhsa_uses_dynamic_stack 0
		.amdhsa_system_sgpr_private_segment_wavefront_offset 0
		.amdhsa_system_sgpr_workgroup_id_x 1
		.amdhsa_system_sgpr_workgroup_id_y 0
		.amdhsa_system_sgpr_workgroup_id_z 0
		.amdhsa_system_sgpr_workgroup_info 0
		.amdhsa_system_vgpr_workitem_id 2
		.amdhsa_next_free_vgpr 26
		.amdhsa_next_free_sgpr 32
		.amdhsa_accum_offset 28
		.amdhsa_reserve_vcc 1
		.amdhsa_reserve_flat_scratch 0
		.amdhsa_float_round_mode_32 0
		.amdhsa_float_round_mode_16_64 0
		.amdhsa_float_denorm_mode_32 3
		.amdhsa_float_denorm_mode_16_64 3
		.amdhsa_dx10_clamp 1
		.amdhsa_ieee_mode 1
		.amdhsa_fp16_overflow 0
		.amdhsa_tg_split 0
		.amdhsa_exception_fp_ieee_invalid_op 0
		.amdhsa_exception_fp_denorm_src 0
		.amdhsa_exception_fp_ieee_div_zero 0
		.amdhsa_exception_fp_ieee_overflow 0
		.amdhsa_exception_fp_ieee_underflow 0
		.amdhsa_exception_fp_ieee_inexact 0
		.amdhsa_exception_int_div_zero 0
	.end_amdhsa_kernel
	.section	.text._ZN9rocsparseL27csrmvn_lrb_long_rows_kernelIli21rocsparse_complex_numIdES2_S2_S2_EEvbT_PjPT0_S6_jNS_24const_host_device_scalarIT4_EEPKS3_PKS5_PKT1_PKT2_S9_PT3_21rocsparse_index_base_b,"axG",@progbits,_ZN9rocsparseL27csrmvn_lrb_long_rows_kernelIli21rocsparse_complex_numIdES2_S2_S2_EEvbT_PjPT0_S6_jNS_24const_host_device_scalarIT4_EEPKS3_PKS5_PKT1_PKT2_S9_PT3_21rocsparse_index_base_b,comdat
.Lfunc_end73:
	.size	_ZN9rocsparseL27csrmvn_lrb_long_rows_kernelIli21rocsparse_complex_numIdES2_S2_S2_EEvbT_PjPT0_S6_jNS_24const_host_device_scalarIT4_EEPKS3_PKS5_PKT1_PKT2_S9_PT3_21rocsparse_index_base_b, .Lfunc_end73-_ZN9rocsparseL27csrmvn_lrb_long_rows_kernelIli21rocsparse_complex_numIdES2_S2_S2_EEvbT_PjPT0_S6_jNS_24const_host_device_scalarIT4_EEPKS3_PKS5_PKT1_PKT2_S9_PT3_21rocsparse_index_base_b
                                        ; -- End function
	.section	.AMDGPU.csdata,"",@progbits
; Kernel info:
; codeLenInByte = 2108
; NumSgprs: 36
; NumVgprs: 26
; NumAgprs: 0
; TotalNumVgprs: 26
; ScratchSize: 0
; MemoryBound: 0
; FloatMode: 240
; IeeeMode: 1
; LDSByteSize: 8192 bytes/workgroup (compile time only)
; SGPRBlocks: 4
; VGPRBlocks: 3
; NumSGPRsForWavesPerEU: 36
; NumVGPRsForWavesPerEU: 26
; AccumOffset: 28
; Occupancy: 8
; WaveLimiterHint : 1
; COMPUTE_PGM_RSRC2:SCRATCH_EN: 0
; COMPUTE_PGM_RSRC2:USER_SGPR: 8
; COMPUTE_PGM_RSRC2:TRAP_HANDLER: 0
; COMPUTE_PGM_RSRC2:TGID_X_EN: 1
; COMPUTE_PGM_RSRC2:TGID_Y_EN: 0
; COMPUTE_PGM_RSRC2:TGID_Z_EN: 0
; COMPUTE_PGM_RSRC2:TIDIG_COMP_CNT: 2
; COMPUTE_PGM_RSRC3_GFX90A:ACCUM_OFFSET: 6
; COMPUTE_PGM_RSRC3_GFX90A:TG_SPLIT: 0
	.section	.text._ZN9rocsparseL28csrmvn_lrb_short_rows_kernelIll21rocsparse_complex_numIdES2_S2_S2_EEvbT_PT0_S5_jNS_24const_host_device_scalarIT4_EEPKS3_PKS4_PKT1_PKT2_S8_PT3_21rocsparse_index_base_b,"axG",@progbits,_ZN9rocsparseL28csrmvn_lrb_short_rows_kernelIll21rocsparse_complex_numIdES2_S2_S2_EEvbT_PT0_S5_jNS_24const_host_device_scalarIT4_EEPKS3_PKS4_PKT1_PKT2_S8_PT3_21rocsparse_index_base_b,comdat
	.globl	_ZN9rocsparseL28csrmvn_lrb_short_rows_kernelIll21rocsparse_complex_numIdES2_S2_S2_EEvbT_PT0_S5_jNS_24const_host_device_scalarIT4_EEPKS3_PKS4_PKT1_PKT2_S8_PT3_21rocsparse_index_base_b ; -- Begin function _ZN9rocsparseL28csrmvn_lrb_short_rows_kernelIll21rocsparse_complex_numIdES2_S2_S2_EEvbT_PT0_S5_jNS_24const_host_device_scalarIT4_EEPKS3_PKS4_PKT1_PKT2_S8_PT3_21rocsparse_index_base_b
	.p2align	8
	.type	_ZN9rocsparseL28csrmvn_lrb_short_rows_kernelIll21rocsparse_complex_numIdES2_S2_S2_EEvbT_PT0_S5_jNS_24const_host_device_scalarIT4_EEPKS3_PKS4_PKT1_PKT2_S8_PT3_21rocsparse_index_base_b,@function
_ZN9rocsparseL28csrmvn_lrb_short_rows_kernelIll21rocsparse_complex_numIdES2_S2_S2_EEvbT_PT0_S5_jNS_24const_host_device_scalarIT4_EEPKS3_PKS4_PKT1_PKT2_S8_PT3_21rocsparse_index_base_b: ; @_ZN9rocsparseL28csrmvn_lrb_short_rows_kernelIll21rocsparse_complex_numIdES2_S2_S2_EEvbT_PT0_S5_jNS_24const_host_device_scalarIT4_EEPKS3_PKS4_PKT1_PKT2_S8_PT3_21rocsparse_index_base_b
; %bb.0:
	s_add_u32 flat_scratch_lo, s6, s9
	s_load_dwordx2 s[20:21], s[4:5], 0x70
	s_load_dwordx4 s[16:19], s[4:5], 0x28
	s_addc_u32 flat_scratch_hi, s7, 0
	s_add_u32 s0, s0, s9
	s_load_dwordx4 s[12:15], s[4:5], 0x58
	s_addc_u32 s1, s1, 0
	s_waitcnt lgkmcnt(0)
	s_bitcmp1_b32 s21, 0
	v_mov_b32_e32 v1, 0
	v_mov_b32_e32 v3, s16
	s_cselect_b64 s[6:7], -1, 0
	v_cndmask_b32_e64 v2, v3, v1, s[6:7]
	v_mov_b32_e32 v1, s17
	s_mov_b64 s[10:11], src_private_base
	s_and_b64 vcc, s[6:7], exec
	buffer_store_dword v1, off, s[0:3], 0 offset:4
	buffer_store_dword v3, off, s[0:3], 0
	v_mov_b32_e32 v1, s13
	s_cselect_b32 s9, s11, s17
	buffer_store_dword v1, off, s[0:3], 0 offset:12
	v_mov_b32_e32 v1, s12
	buffer_store_dword v1, off, s[0:3], 0 offset:8
	v_mov_b32_e32 v3, s9
	flat_load_dwordx2 v[10:11], v[2:3]
	s_xor_b64 s[22:23], s[6:7], -1
	v_pk_mov_b32 v[12:13], s[18:19], s[18:19] op_sel:[0,1]
	s_cbranch_vccnz .LBB74_2
; %bb.1:
	v_pk_mov_b32 v[2:3], s[16:17], s[16:17] op_sel:[0,1]
	flat_load_dwordx2 v[12:13], v[2:3] offset:8
.LBB74_2:
	s_and_b64 s[16:17], s[6:7], exec
	s_cselect_b32 s9, s11, s13
	v_mov_b32_e32 v1, 8
	v_mov_b32_e32 v2, s12
	v_cndmask_b32_e64 v2, v2, v1, s[6:7]
	v_mov_b32_e32 v3, s9
	flat_load_dwordx2 v[6:7], v[2:3]
	s_andn2_b64 vcc, exec, s[22:23]
	v_pk_mov_b32 v[8:9], s[14:15], s[14:15] op_sel:[0,1]
	s_cbranch_vccnz .LBB74_4
; %bb.3:
	v_pk_mov_b32 v[2:3], s[12:13], s[12:13] op_sel:[0,1]
	flat_load_dwordx2 v[8:9], v[2:3] offset:8
.LBB74_4:
	s_waitcnt vmcnt(0) lgkmcnt(0)
	v_cmp_eq_f64_e32 vcc, 0, v[10:11]
	v_cmp_eq_f64_e64 s[6:7], 0, v[12:13]
	s_and_b64 s[12:13], vcc, s[6:7]
	s_mov_b64 s[6:7], -1
	s_and_saveexec_b64 s[10:11], s[12:13]
; %bb.5:
	v_cmp_neq_f64_e32 vcc, 1.0, v[6:7]
	v_cmp_neq_f64_e64 s[6:7], 0, v[8:9]
	s_or_b64 s[6:7], vcc, s[6:7]
	s_orn2_b64 s[6:7], s[6:7], exec
; %bb.6:
	s_or_b64 exec, exec, s[10:11]
	s_and_saveexec_b64 s[10:11], s[6:7]
	s_cbranch_execz .LBB74_20
; %bb.7:
	s_load_dword s22, s[4:5], 0x20
	s_load_dwordx4 s[16:19], s[4:5], 0x10
	s_mov_b32 s21, 0
	s_mov_b32 s23, s21
	;; [unrolled: 1-line block ×3, first 2 shown]
	s_waitcnt lgkmcnt(0)
	s_lshl_b64 s[6:7], s[22:23], 3
	s_add_u32 s6, s18, s6
	s_addc_u32 s7, s19, s7
	s_add_i32 s10, s22, 1
	s_lshl_b64 s[10:11], s[10:11], 3
	s_add_u32 s10, s18, s10
	s_addc_u32 s11, s19, s11
	s_load_dwordx2 s[18:19], s[6:7], 0x0
	s_load_dword s9, s[10:11], 0x0
	s_lshl_b32 s24, s8, 8
	s_add_i32 s7, s24, 0x100
	s_waitcnt lgkmcnt(0)
	s_sub_i32 s6, s9, s18
	s_min_u32 s23, s6, s7
	s_cmp_gt_u32 s22, 23
	s_cbranch_scc1 .LBB74_14
; %bb.8:
	s_load_dword s6, s[4:5], 0x0
	s_load_dwordx8 s[8:15], s[4:5], 0x38
	s_lshl_b32 s25, 0x100, s22
	v_mov_b32_e32 v17, 0
	v_bfe_u32 v14, v0, 0, s22
	s_waitcnt lgkmcnt(0)
	s_bitcmp1_b32 s6, 0
	s_cselect_b64 vcc, -1, 0
	s_lshl_b64 s[6:7], s[18:19], 3
	s_add_u32 s30, s16, s6
	s_addc_u32 s31, s17, s7
	v_mov_b32_e32 v15, v17
	v_lshl_add_u32 v1, v0, 4, 0
	s_mov_b32 s33, s21
	s_branch .LBB74_11
.LBB74_9:                               ;   in Loop: Header=BB74_11 Depth=1
	s_or_b64 exec, exec, s[28:29]
	ds_write2_b64 v1, v[18:19], v[4:5] offset1:1
.LBB74_10:                              ;   in Loop: Header=BB74_11 Depth=1
	s_or_b64 exec, exec, s[26:27]
	s_addk_i32 s33, 0x100
	s_cmp_ge_u32 s33, s25
	v_add_u32_e32 v1, 0x1000, v1
	s_cbranch_scc1 .LBB74_14
.LBB74_11:                              ; =>This Inner Loop Header: Depth=1
	v_add_u32_e32 v2, s33, v0
	v_lshrrev_b32_e32 v2, s22, v2
	v_add_u32_e32 v16, s24, v2
	v_cmp_gt_u32_e64 s[6:7], s23, v16
	s_and_saveexec_b64 s[26:27], s[6:7]
	s_cbranch_execz .LBB74_10
; %bb.12:                               ;   in Loop: Header=BB74_11 Depth=1
	v_lshlrev_b64 v[2:3], 3, v[16:17]
	v_mov_b32_e32 v4, s31
	v_add_co_u32_e64 v2, s[6:7], s30, v2
	v_addc_co_u32_e64 v3, s[6:7], v4, v3, s[6:7]
	global_load_dwordx2 v[2:3], v[2:3], off
	v_mov_b32_e32 v4, s9
	v_pk_mov_b32 v[18:19], 0, 0
	s_waitcnt vmcnt(0)
	v_lshlrev_b64 v[2:3], 3, v[2:3]
	v_add_co_u32_e64 v2, s[6:7], s8, v2
	v_addc_co_u32_e64 v3, s[6:7], v4, v3, s[6:7]
	global_load_dwordx4 v[2:5], v[2:3], off
	s_waitcnt vmcnt(0)
	v_sub_co_u32_e64 v4, s[6:7], v4, v2
	v_subb_co_u32_e64 v5, s[6:7], v5, v3, s[6:7]
	v_cmp_gt_i64_e64 s[6:7], v[4:5], v[14:15]
	v_pk_mov_b32 v[4:5], v[18:19], v[18:19] op_sel:[0,1]
	s_and_saveexec_b64 s[28:29], s[6:7]
	s_cbranch_execz .LBB74_9
; %bb.13:                               ;   in Loop: Header=BB74_11 Depth=1
	v_mov_b32_e32 v16, s21
	v_subrev_co_u32_e64 v2, s[6:7], s20, v2
	v_subb_co_u32_e64 v3, s[6:7], v3, v16, s[6:7]
	v_add_co_u32_e64 v2, s[6:7], v2, v14
	v_addc_co_u32_e64 v3, s[6:7], 0, v3, s[6:7]
	v_lshlrev_b64 v[4:5], 3, v[2:3]
	v_mov_b32_e32 v18, s11
	v_add_co_u32_e64 v4, s[6:7], s10, v4
	v_addc_co_u32_e64 v5, s[6:7], v18, v5, s[6:7]
	global_load_dwordx2 v[18:19], v[4:5], off
	v_lshlrev_b64 v[2:3], 4, v[2:3]
	v_mov_b32_e32 v4, s13
	v_add_co_u32_e64 v2, s[6:7], s12, v2
	v_addc_co_u32_e64 v3, s[6:7], v4, v3, s[6:7]
	global_load_dwordx4 v[2:5], v[2:3], off
	v_mov_b32_e32 v20, s15
	s_waitcnt vmcnt(1)
	v_subrev_co_u32_e64 v18, s[6:7], s20, v18
	v_subb_co_u32_e64 v19, s[6:7], v19, v16, s[6:7]
	v_lshlrev_b64 v[18:19], 4, v[18:19]
	v_add_co_u32_e64 v18, s[6:7], s14, v18
	v_addc_co_u32_e64 v19, s[6:7], v20, v19, s[6:7]
	global_load_dwordx4 v[20:23], v[18:19], off
	s_waitcnt vmcnt(1)
	v_xor_b32_e32 v16, 0x80000000, v5
	v_cndmask_b32_e32 v5, v5, v16, vcc
	v_mul_f64 v[24:25], v[4:5], -v[12:13]
	v_mul_f64 v[26:27], v[10:11], v[4:5]
	v_fmac_f64_e32 v[24:25], v[10:11], v[2:3]
	v_fmac_f64_e32 v[26:27], v[12:13], v[2:3]
	s_waitcnt vmcnt(0)
	v_mul_f64 v[18:19], v[22:23], -v[26:27]
	v_mul_f64 v[4:5], v[24:25], v[22:23]
	v_fmac_f64_e32 v[18:19], v[24:25], v[20:21]
	v_fmac_f64_e32 v[4:5], v[26:27], v[20:21]
	s_branch .LBB74_9
.LBB74_14:
	s_sub_i32 s6, s23, s24
	v_cmp_gt_u32_e32 vcc, s6, v0
	s_waitcnt lgkmcnt(0)
	s_barrier
	s_and_b64 exec, exec, vcc
	s_cbranch_execz .LBB74_20
; %bb.15:
	s_lshl_b64 s[6:7], s[18:19], 3
	s_mov_b32 s25, 0
	s_add_u32 s8, s16, s6
	s_addc_u32 s9, s17, s7
	s_lshl_b64 s[6:7], s[24:25], 3
	s_add_u32 s6, s8, s6
	s_addc_u32 s7, s9, s7
	v_lshlrev_b32_e32 v1, 3, v0
	global_load_dwordx2 v[4:5], v1, s[6:7]
	s_load_dwordx2 s[6:7], s[4:5], 0x68
	v_lshlrev_b32_e32 v0, s22, v0
	v_pk_mov_b32 v[2:3], 0, 0
	v_lshl_add_u32 v10, v0, 4, 0
	s_mov_b32 s4, 1
	v_pk_mov_b32 v[0:1], v[2:3], v[2:3] op_sel:[0,1]
.LBB74_16:                              ; =>This Inner Loop Header: Depth=1
	ds_read2_b64 v[12:15], v10 offset1:1
	s_lshr_b32 s5, s4, s22
	s_add_i32 s4, s4, 1
	v_add_u32_e32 v10, 16, v10
	s_cmp_lg_u32 s5, 0
	s_waitcnt lgkmcnt(0)
	v_add_f64 v[0:1], v[0:1], v[12:13]
	v_add_f64 v[2:3], v[2:3], v[14:15]
	s_cbranch_scc0 .LBB74_16
; %bb.17:
	v_cmp_neq_f64_e32 vcc, 0, v[6:7]
	v_cmp_neq_f64_e64 s[4:5], 0, v[8:9]
	s_or_b64 s[8:9], vcc, s[4:5]
	s_waitcnt vmcnt(0)
	v_lshlrev_b64 v[4:5], 4, v[4:5]
	s_and_saveexec_b64 s[4:5], s[8:9]
	s_cbranch_execz .LBB74_19
; %bb.18:
	v_mov_b32_e32 v11, s7
	v_add_co_u32_e32 v10, vcc, s6, v4
	v_addc_co_u32_e32 v11, vcc, v11, v5, vcc
	global_load_dwordx4 v[10:13], v[10:11], off
	s_waitcnt vmcnt(0)
	v_fmac_f64_e32 v[0:1], v[6:7], v[10:11]
	v_fmac_f64_e32 v[2:3], v[8:9], v[10:11]
	v_fma_f64 v[0:1], -v[8:9], v[12:13], v[0:1]
	v_fmac_f64_e32 v[2:3], v[6:7], v[12:13]
.LBB74_19:
	s_or_b64 exec, exec, s[4:5]
	v_mov_b32_e32 v6, s7
	v_add_co_u32_e32 v4, vcc, s6, v4
	v_addc_co_u32_e32 v5, vcc, v6, v5, vcc
	global_store_dwordx4 v[4:5], v[0:3], off
.LBB74_20:
	s_endpgm
	.section	.rodata,"a",@progbits
	.p2align	6, 0x0
	.amdhsa_kernel _ZN9rocsparseL28csrmvn_lrb_short_rows_kernelIll21rocsparse_complex_numIdES2_S2_S2_EEvbT_PT0_S5_jNS_24const_host_device_scalarIT4_EEPKS3_PKS4_PKT1_PKT2_S8_PT3_21rocsparse_index_base_b
		.amdhsa_group_segment_fixed_size 0
		.amdhsa_private_segment_fixed_size 24
		.amdhsa_kernarg_size 120
		.amdhsa_user_sgpr_count 8
		.amdhsa_user_sgpr_private_segment_buffer 1
		.amdhsa_user_sgpr_dispatch_ptr 0
		.amdhsa_user_sgpr_queue_ptr 0
		.amdhsa_user_sgpr_kernarg_segment_ptr 1
		.amdhsa_user_sgpr_dispatch_id 0
		.amdhsa_user_sgpr_flat_scratch_init 1
		.amdhsa_user_sgpr_kernarg_preload_length 0
		.amdhsa_user_sgpr_kernarg_preload_offset 0
		.amdhsa_user_sgpr_private_segment_size 0
		.amdhsa_uses_dynamic_stack 0
		.amdhsa_system_sgpr_private_segment_wavefront_offset 1
		.amdhsa_system_sgpr_workgroup_id_x 1
		.amdhsa_system_sgpr_workgroup_id_y 0
		.amdhsa_system_sgpr_workgroup_id_z 0
		.amdhsa_system_sgpr_workgroup_info 0
		.amdhsa_system_vgpr_workitem_id 0
		.amdhsa_next_free_vgpr 28
		.amdhsa_next_free_sgpr 34
		.amdhsa_accum_offset 28
		.amdhsa_reserve_vcc 1
		.amdhsa_reserve_flat_scratch 1
		.amdhsa_float_round_mode_32 0
		.amdhsa_float_round_mode_16_64 0
		.amdhsa_float_denorm_mode_32 3
		.amdhsa_float_denorm_mode_16_64 3
		.amdhsa_dx10_clamp 1
		.amdhsa_ieee_mode 1
		.amdhsa_fp16_overflow 0
		.amdhsa_tg_split 0
		.amdhsa_exception_fp_ieee_invalid_op 0
		.amdhsa_exception_fp_denorm_src 0
		.amdhsa_exception_fp_ieee_div_zero 0
		.amdhsa_exception_fp_ieee_overflow 0
		.amdhsa_exception_fp_ieee_underflow 0
		.amdhsa_exception_fp_ieee_inexact 0
		.amdhsa_exception_int_div_zero 0
	.end_amdhsa_kernel
	.section	.text._ZN9rocsparseL28csrmvn_lrb_short_rows_kernelIll21rocsparse_complex_numIdES2_S2_S2_EEvbT_PT0_S5_jNS_24const_host_device_scalarIT4_EEPKS3_PKS4_PKT1_PKT2_S8_PT3_21rocsparse_index_base_b,"axG",@progbits,_ZN9rocsparseL28csrmvn_lrb_short_rows_kernelIll21rocsparse_complex_numIdES2_S2_S2_EEvbT_PT0_S5_jNS_24const_host_device_scalarIT4_EEPKS3_PKS4_PKT1_PKT2_S8_PT3_21rocsparse_index_base_b,comdat
.Lfunc_end74:
	.size	_ZN9rocsparseL28csrmvn_lrb_short_rows_kernelIll21rocsparse_complex_numIdES2_S2_S2_EEvbT_PT0_S5_jNS_24const_host_device_scalarIT4_EEPKS3_PKS4_PKT1_PKT2_S8_PT3_21rocsparse_index_base_b, .Lfunc_end74-_ZN9rocsparseL28csrmvn_lrb_short_rows_kernelIll21rocsparse_complex_numIdES2_S2_S2_EEvbT_PT0_S5_jNS_24const_host_device_scalarIT4_EEPKS3_PKS4_PKT1_PKT2_S8_PT3_21rocsparse_index_base_b
                                        ; -- End function
	.section	.AMDGPU.csdata,"",@progbits
; Kernel info:
; codeLenInByte = 1172
; NumSgprs: 40
; NumVgprs: 28
; NumAgprs: 0
; TotalNumVgprs: 28
; ScratchSize: 24
; MemoryBound: 0
; FloatMode: 240
; IeeeMode: 1
; LDSByteSize: 0 bytes/workgroup (compile time only)
; SGPRBlocks: 4
; VGPRBlocks: 3
; NumSGPRsForWavesPerEU: 40
; NumVGPRsForWavesPerEU: 28
; AccumOffset: 28
; Occupancy: 8
; WaveLimiterHint : 1
; COMPUTE_PGM_RSRC2:SCRATCH_EN: 1
; COMPUTE_PGM_RSRC2:USER_SGPR: 8
; COMPUTE_PGM_RSRC2:TRAP_HANDLER: 0
; COMPUTE_PGM_RSRC2:TGID_X_EN: 1
; COMPUTE_PGM_RSRC2:TGID_Y_EN: 0
; COMPUTE_PGM_RSRC2:TGID_Z_EN: 0
; COMPUTE_PGM_RSRC2:TIDIG_COMP_CNT: 0
; COMPUTE_PGM_RSRC3_GFX90A:ACCUM_OFFSET: 6
; COMPUTE_PGM_RSRC3_GFX90A:TG_SPLIT: 0
	.section	.text._ZN9rocsparseL30csrmvn_lrb_short_rows_2_kernelIll21rocsparse_complex_numIdES2_S2_S2_EEvbT_PT0_S5_jNS_24const_host_device_scalarIT4_EEPKS3_PKS4_PKT1_PKT2_S8_PT3_21rocsparse_index_base_b,"axG",@progbits,_ZN9rocsparseL30csrmvn_lrb_short_rows_2_kernelIll21rocsparse_complex_numIdES2_S2_S2_EEvbT_PT0_S5_jNS_24const_host_device_scalarIT4_EEPKS3_PKS4_PKT1_PKT2_S8_PT3_21rocsparse_index_base_b,comdat
	.globl	_ZN9rocsparseL30csrmvn_lrb_short_rows_2_kernelIll21rocsparse_complex_numIdES2_S2_S2_EEvbT_PT0_S5_jNS_24const_host_device_scalarIT4_EEPKS3_PKS4_PKT1_PKT2_S8_PT3_21rocsparse_index_base_b ; -- Begin function _ZN9rocsparseL30csrmvn_lrb_short_rows_2_kernelIll21rocsparse_complex_numIdES2_S2_S2_EEvbT_PT0_S5_jNS_24const_host_device_scalarIT4_EEPKS3_PKS4_PKT1_PKT2_S8_PT3_21rocsparse_index_base_b
	.p2align	8
	.type	_ZN9rocsparseL30csrmvn_lrb_short_rows_2_kernelIll21rocsparse_complex_numIdES2_S2_S2_EEvbT_PT0_S5_jNS_24const_host_device_scalarIT4_EEPKS3_PKS4_PKT1_PKT2_S8_PT3_21rocsparse_index_base_b,@function
_ZN9rocsparseL30csrmvn_lrb_short_rows_2_kernelIll21rocsparse_complex_numIdES2_S2_S2_EEvbT_PT0_S5_jNS_24const_host_device_scalarIT4_EEPKS3_PKS4_PKT1_PKT2_S8_PT3_21rocsparse_index_base_b: ; @_ZN9rocsparseL30csrmvn_lrb_short_rows_2_kernelIll21rocsparse_complex_numIdES2_S2_S2_EEvbT_PT0_S5_jNS_24const_host_device_scalarIT4_EEPKS3_PKS4_PKT1_PKT2_S8_PT3_21rocsparse_index_base_b
; %bb.0:
	s_add_u32 flat_scratch_lo, s6, s9
	s_load_dwordx2 s[20:21], s[4:5], 0x70
	s_load_dwordx4 s[16:19], s[4:5], 0x28
	s_addc_u32 flat_scratch_hi, s7, 0
	s_add_u32 s0, s0, s9
	s_load_dwordx4 s[12:15], s[4:5], 0x58
	s_addc_u32 s1, s1, 0
	s_waitcnt lgkmcnt(0)
	s_bitcmp1_b32 s21, 0
	v_mov_b32_e32 v1, 0
	v_mov_b32_e32 v3, s16
	s_cselect_b64 s[6:7], -1, 0
	v_cndmask_b32_e64 v2, v3, v1, s[6:7]
	v_mov_b32_e32 v1, s17
	s_mov_b64 s[10:11], src_private_base
	s_and_b64 vcc, s[6:7], exec
	buffer_store_dword v1, off, s[0:3], 0 offset:4
	buffer_store_dword v3, off, s[0:3], 0
	v_mov_b32_e32 v1, s13
	s_cselect_b32 s9, s11, s17
	buffer_store_dword v1, off, s[0:3], 0 offset:12
	v_mov_b32_e32 v1, s12
	buffer_store_dword v1, off, s[0:3], 0 offset:8
	v_mov_b32_e32 v3, s9
	flat_load_dwordx2 v[14:15], v[2:3]
	s_xor_b64 s[22:23], s[6:7], -1
	v_pk_mov_b32 v[16:17], s[18:19], s[18:19] op_sel:[0,1]
	s_cbranch_vccnz .LBB75_2
; %bb.1:
	v_pk_mov_b32 v[2:3], s[16:17], s[16:17] op_sel:[0,1]
	flat_load_dwordx2 v[16:17], v[2:3] offset:8
.LBB75_2:
	s_and_b64 s[16:17], s[6:7], exec
	s_cselect_b32 s9, s11, s13
	v_mov_b32_e32 v1, 8
	v_mov_b32_e32 v2, s12
	v_cndmask_b32_e64 v2, v2, v1, s[6:7]
	v_mov_b32_e32 v3, s9
	flat_load_dwordx2 v[10:11], v[2:3]
	s_andn2_b64 vcc, exec, s[22:23]
	v_pk_mov_b32 v[12:13], s[14:15], s[14:15] op_sel:[0,1]
	s_cbranch_vccnz .LBB75_4
; %bb.3:
	v_pk_mov_b32 v[2:3], s[12:13], s[12:13] op_sel:[0,1]
	flat_load_dwordx2 v[12:13], v[2:3] offset:8
.LBB75_4:
	s_waitcnt vmcnt(0) lgkmcnt(0)
	v_cmp_eq_f64_e32 vcc, 0, v[14:15]
	v_cmp_eq_f64_e64 s[6:7], 0, v[16:17]
	s_and_b64 s[12:13], vcc, s[6:7]
	s_mov_b64 s[6:7], -1
	s_and_saveexec_b64 s[10:11], s[12:13]
; %bb.5:
	v_cmp_neq_f64_e32 vcc, 1.0, v[10:11]
	v_cmp_neq_f64_e64 s[6:7], 0, v[12:13]
	s_or_b64 s[6:7], vcc, s[6:7]
	s_orn2_b64 s[6:7], s[6:7], exec
; %bb.6:
	s_or_b64 exec, exec, s[10:11]
	s_and_saveexec_b64 s[10:11], s[6:7]
	s_cbranch_execz .LBB75_32
; %bb.7:
	s_load_dword s6, s[4:5], 0x20
	s_load_dword s9, s[4:5], 0x0
	s_load_dwordx4 s[24:27], s[4:5], 0x10
	s_mov_b32 s7, 0
	v_mov_b32_e32 v19, 0
	s_waitcnt lgkmcnt(0)
	v_lshrrev_b32_e32 v1, s6, v0
	s_bitcmp1_b32 s9, 0
	s_cselect_b64 vcc, -1, 0
	s_lshl_b64 s[10:11], s[6:7], 3
	s_add_u32 s22, s26, s10
	s_addc_u32 s23, s27, s11
	s_add_i32 s10, s6, 1
	s_mov_b32 s11, s7
	s_lshl_b64 s[10:11], s[10:11], 3
	s_add_u32 s26, s26, s10
	s_addc_u32 s27, s27, s11
	s_load_dwordx2 s[28:29], s[22:23], 0x0
	s_load_dword s7, s[26:27], 0x0
	s_load_dwordx2 s[10:11], s[4:5], 0x68
	s_load_dwordx8 s[12:19], s[4:5], 0x38
	v_bfe_u32 v18, v0, 0, s6
	s_waitcnt lgkmcnt(0)
	s_sub_i32 s4, s7, s28
	s_lshr_b32 s7, 0x400, s6
	s_mul_i32 s8, s7, s8
	s_add_i32 s5, s8, s7
	s_min_u32 s9, s4, s5
	s_lshl_b64 s[4:5], s[28:29], 3
	s_add_u32 s21, s24, s4
	v_add_u32_e32 v2, s8, v1
	s_addc_u32 s26, s25, s5
	v_cmp_gt_u32_e64 s[4:5], s9, v2
	s_and_saveexec_b64 s[22:23], s[4:5]
	s_cbranch_execz .LBB75_11
; %bb.8:
	v_mov_b32_e32 v3, v19
	v_lshlrev_b64 v[2:3], 3, v[2:3]
	v_mov_b32_e32 v1, s26
	v_add_co_u32_e64 v2, s[4:5], s21, v2
	v_addc_co_u32_e64 v3, s[4:5], v1, v3, s[4:5]
	global_load_dwordx2 v[2:3], v[2:3], off
	v_mov_b32_e32 v1, s13
	s_waitcnt vmcnt(0)
	v_lshlrev_b64 v[2:3], 3, v[2:3]
	v_add_co_u32_e64 v2, s[4:5], s12, v2
	v_addc_co_u32_e64 v3, s[4:5], v1, v3, s[4:5]
	global_load_dwordx4 v[6:9], v[2:3], off
	v_pk_mov_b32 v[2:3], 0, 0
	s_waitcnt vmcnt(0)
	v_sub_co_u32_e64 v4, s[4:5], v8, v6
	v_subb_co_u32_e64 v5, s[4:5], v9, v7, s[4:5]
	v_cmp_gt_i64_e64 s[4:5], v[4:5], v[18:19]
	v_pk_mov_b32 v[4:5], v[2:3], v[2:3] op_sel:[0,1]
	s_and_saveexec_b64 s[24:25], s[4:5]
	s_cbranch_execz .LBB75_10
; %bb.9:
	v_subrev_co_u32_e64 v1, s[4:5], s20, v6
	v_subbrev_co_u32_e64 v3, s[4:5], 0, v7, s[4:5]
	v_add_co_u32_e64 v2, s[4:5], v1, v18
	v_addc_co_u32_e64 v3, s[4:5], 0, v3, s[4:5]
	v_lshlrev_b64 v[4:5], 3, v[2:3]
	v_mov_b32_e32 v1, s15
	v_add_co_u32_e64 v4, s[4:5], s14, v4
	v_addc_co_u32_e64 v5, s[4:5], v1, v5, s[4:5]
	global_load_dwordx2 v[6:7], v[4:5], off
	v_lshlrev_b64 v[2:3], 4, v[2:3]
	v_mov_b32_e32 v1, s17
	v_add_co_u32_e64 v2, s[4:5], s16, v2
	v_addc_co_u32_e64 v3, s[4:5], v1, v3, s[4:5]
	global_load_dwordx4 v[2:5], v[2:3], off
	v_mov_b32_e32 v8, s19
	s_waitcnt vmcnt(1)
	v_subrev_co_u32_e64 v6, s[4:5], s20, v6
	v_subbrev_co_u32_e64 v7, s[4:5], 0, v7, s[4:5]
	v_lshlrev_b64 v[6:7], 4, v[6:7]
	v_add_co_u32_e64 v6, s[4:5], s18, v6
	v_addc_co_u32_e64 v7, s[4:5], v8, v7, s[4:5]
	global_load_dwordx4 v[6:9], v[6:7], off
	s_waitcnt vmcnt(1)
	v_xor_b32_e32 v1, 0x80000000, v5
	v_cndmask_b32_e32 v5, v5, v1, vcc
	v_mul_f64 v[20:21], v[4:5], -v[16:17]
	v_mul_f64 v[22:23], v[14:15], v[4:5]
	v_fmac_f64_e32 v[20:21], v[14:15], v[2:3]
	v_fmac_f64_e32 v[22:23], v[16:17], v[2:3]
	s_waitcnt vmcnt(0)
	v_mul_f64 v[2:3], v[8:9], -v[22:23]
	v_mul_f64 v[4:5], v[20:21], v[8:9]
	v_fmac_f64_e32 v[2:3], v[20:21], v[6:7]
	v_fmac_f64_e32 v[4:5], v[22:23], v[6:7]
.LBB75_10:
	s_or_b64 exec, exec, s[24:25]
	v_lshlrev_b32_e32 v1, 4, v0
	ds_write_b128 v1, v[2:5]
.LBB75_11:
	s_or_b64 exec, exec, s[22:23]
	v_or_b32_e32 v1, 0x100, v0
	v_lshrrev_b32_e32 v1, s6, v1
	v_add_u32_e32 v2, s8, v1
	v_cmp_gt_u32_e64 s[4:5], s9, v2
	s_and_saveexec_b64 s[22:23], s[4:5]
	s_cbranch_execz .LBB75_15
; %bb.12:
	v_mov_b32_e32 v3, 0
	v_lshlrev_b64 v[2:3], 3, v[2:3]
	v_mov_b32_e32 v1, s26
	v_add_co_u32_e64 v2, s[4:5], s21, v2
	v_addc_co_u32_e64 v3, s[4:5], v1, v3, s[4:5]
	global_load_dwordx2 v[2:3], v[2:3], off
	v_mov_b32_e32 v1, s13
	s_waitcnt vmcnt(0)
	v_lshlrev_b64 v[2:3], 3, v[2:3]
	v_add_co_u32_e64 v2, s[4:5], s12, v2
	v_addc_co_u32_e64 v3, s[4:5], v1, v3, s[4:5]
	global_load_dwordx4 v[6:9], v[2:3], off
	v_pk_mov_b32 v[2:3], 0, 0
	s_waitcnt vmcnt(0)
	v_sub_co_u32_e64 v4, s[4:5], v8, v6
	v_subb_co_u32_e64 v5, s[4:5], v9, v7, s[4:5]
	v_cmp_gt_i64_e64 s[4:5], v[4:5], v[18:19]
	v_pk_mov_b32 v[4:5], v[2:3], v[2:3] op_sel:[0,1]
	s_and_saveexec_b64 s[24:25], s[4:5]
	s_cbranch_execz .LBB75_14
; %bb.13:
	v_subrev_co_u32_e64 v1, s[4:5], s20, v6
	v_subbrev_co_u32_e64 v3, s[4:5], 0, v7, s[4:5]
	v_add_co_u32_e64 v2, s[4:5], v1, v18
	v_addc_co_u32_e64 v3, s[4:5], 0, v3, s[4:5]
	v_lshlrev_b64 v[4:5], 3, v[2:3]
	v_mov_b32_e32 v1, s15
	v_add_co_u32_e64 v4, s[4:5], s14, v4
	v_addc_co_u32_e64 v5, s[4:5], v1, v5, s[4:5]
	global_load_dwordx2 v[6:7], v[4:5], off
	v_lshlrev_b64 v[2:3], 4, v[2:3]
	v_mov_b32_e32 v1, s17
	v_add_co_u32_e64 v2, s[4:5], s16, v2
	v_addc_co_u32_e64 v3, s[4:5], v1, v3, s[4:5]
	global_load_dwordx4 v[2:5], v[2:3], off
	v_mov_b32_e32 v8, s19
	s_waitcnt vmcnt(1)
	v_subrev_co_u32_e64 v6, s[4:5], s20, v6
	v_subbrev_co_u32_e64 v7, s[4:5], 0, v7, s[4:5]
	v_lshlrev_b64 v[6:7], 4, v[6:7]
	v_add_co_u32_e64 v6, s[4:5], s18, v6
	v_addc_co_u32_e64 v7, s[4:5], v8, v7, s[4:5]
	global_load_dwordx4 v[6:9], v[6:7], off
	s_waitcnt vmcnt(1)
	v_xor_b32_e32 v1, 0x80000000, v5
	v_cndmask_b32_e32 v5, v5, v1, vcc
	v_mul_f64 v[20:21], v[4:5], -v[16:17]
	v_mul_f64 v[22:23], v[14:15], v[4:5]
	v_fmac_f64_e32 v[20:21], v[14:15], v[2:3]
	v_fmac_f64_e32 v[22:23], v[16:17], v[2:3]
	s_waitcnt vmcnt(0)
	v_mul_f64 v[2:3], v[8:9], -v[22:23]
	v_mul_f64 v[4:5], v[20:21], v[8:9]
	v_fmac_f64_e32 v[2:3], v[20:21], v[6:7]
	v_fmac_f64_e32 v[4:5], v[22:23], v[6:7]
.LBB75_14:
	s_or_b64 exec, exec, s[24:25]
	v_lshlrev_b32_e32 v1, 4, v0
	ds_write_b128 v1, v[2:5] offset:4096
.LBB75_15:
	s_or_b64 exec, exec, s[22:23]
	v_or_b32_e32 v1, 0x200, v0
	v_lshrrev_b32_e32 v1, s6, v1
	v_add_u32_e32 v2, s8, v1
	v_cmp_gt_u32_e64 s[4:5], s9, v2
	s_and_saveexec_b64 s[22:23], s[4:5]
	s_cbranch_execz .LBB75_19
; %bb.16:
	v_mov_b32_e32 v3, 0
	v_lshlrev_b64 v[2:3], 3, v[2:3]
	v_mov_b32_e32 v1, s26
	v_add_co_u32_e64 v2, s[4:5], s21, v2
	v_addc_co_u32_e64 v3, s[4:5], v1, v3, s[4:5]
	global_load_dwordx2 v[2:3], v[2:3], off
	v_mov_b32_e32 v1, s13
	s_waitcnt vmcnt(0)
	v_lshlrev_b64 v[2:3], 3, v[2:3]
	v_add_co_u32_e64 v2, s[4:5], s12, v2
	v_addc_co_u32_e64 v3, s[4:5], v1, v3, s[4:5]
	global_load_dwordx4 v[6:9], v[2:3], off
	v_pk_mov_b32 v[2:3], 0, 0
	s_waitcnt vmcnt(0)
	v_sub_co_u32_e64 v4, s[4:5], v8, v6
	v_subb_co_u32_e64 v5, s[4:5], v9, v7, s[4:5]
	v_cmp_gt_i64_e64 s[4:5], v[4:5], v[18:19]
	v_pk_mov_b32 v[4:5], v[2:3], v[2:3] op_sel:[0,1]
	s_and_saveexec_b64 s[24:25], s[4:5]
	s_cbranch_execz .LBB75_18
; %bb.17:
	v_subrev_co_u32_e64 v1, s[4:5], s20, v6
	v_subbrev_co_u32_e64 v3, s[4:5], 0, v7, s[4:5]
	v_add_co_u32_e64 v2, s[4:5], v1, v18
	v_addc_co_u32_e64 v3, s[4:5], 0, v3, s[4:5]
	v_lshlrev_b64 v[4:5], 3, v[2:3]
	v_mov_b32_e32 v1, s15
	v_add_co_u32_e64 v4, s[4:5], s14, v4
	v_addc_co_u32_e64 v5, s[4:5], v1, v5, s[4:5]
	global_load_dwordx2 v[6:7], v[4:5], off
	v_lshlrev_b64 v[2:3], 4, v[2:3]
	v_mov_b32_e32 v1, s17
	v_add_co_u32_e64 v2, s[4:5], s16, v2
	v_addc_co_u32_e64 v3, s[4:5], v1, v3, s[4:5]
	global_load_dwordx4 v[2:5], v[2:3], off
	v_mov_b32_e32 v8, s19
	s_waitcnt vmcnt(1)
	v_subrev_co_u32_e64 v6, s[4:5], s20, v6
	v_subbrev_co_u32_e64 v7, s[4:5], 0, v7, s[4:5]
	v_lshlrev_b64 v[6:7], 4, v[6:7]
	v_add_co_u32_e64 v6, s[4:5], s18, v6
	v_addc_co_u32_e64 v7, s[4:5], v8, v7, s[4:5]
	global_load_dwordx4 v[6:9], v[6:7], off
	s_waitcnt vmcnt(1)
	v_xor_b32_e32 v1, 0x80000000, v5
	v_cndmask_b32_e32 v5, v5, v1, vcc
	v_mul_f64 v[20:21], v[4:5], -v[16:17]
	v_mul_f64 v[22:23], v[14:15], v[4:5]
	v_fmac_f64_e32 v[20:21], v[14:15], v[2:3]
	v_fmac_f64_e32 v[22:23], v[16:17], v[2:3]
	s_waitcnt vmcnt(0)
	v_mul_f64 v[2:3], v[8:9], -v[22:23]
	v_mul_f64 v[4:5], v[20:21], v[8:9]
	v_fmac_f64_e32 v[2:3], v[20:21], v[6:7]
	v_fmac_f64_e32 v[4:5], v[22:23], v[6:7]
.LBB75_18:
	s_or_b64 exec, exec, s[24:25]
	v_lshlrev_b32_e32 v1, 4, v0
	ds_write_b128 v1, v[2:5] offset:8192
.LBB75_19:
	s_or_b64 exec, exec, s[22:23]
	v_or_b32_e32 v1, 0x300, v0
	v_lshrrev_b32_e32 v1, s6, v1
	v_add_u32_e32 v2, s8, v1
	v_cmp_gt_u32_e64 s[4:5], s9, v2
	s_and_saveexec_b64 s[22:23], s[4:5]
	s_cbranch_execz .LBB75_23
; %bb.20:
	v_mov_b32_e32 v3, 0
	v_lshlrev_b64 v[2:3], 3, v[2:3]
	v_mov_b32_e32 v1, s26
	v_add_co_u32_e64 v2, s[4:5], s21, v2
	v_addc_co_u32_e64 v3, s[4:5], v1, v3, s[4:5]
	global_load_dwordx2 v[2:3], v[2:3], off
	v_mov_b32_e32 v1, s13
	s_waitcnt vmcnt(0)
	v_lshlrev_b64 v[2:3], 3, v[2:3]
	v_add_co_u32_e64 v2, s[4:5], s12, v2
	v_addc_co_u32_e64 v3, s[4:5], v1, v3, s[4:5]
	global_load_dwordx4 v[6:9], v[2:3], off
	v_pk_mov_b32 v[2:3], 0, 0
	s_waitcnt vmcnt(0)
	v_sub_co_u32_e64 v4, s[4:5], v8, v6
	v_subb_co_u32_e64 v5, s[4:5], v9, v7, s[4:5]
	v_cmp_gt_i64_e64 s[4:5], v[4:5], v[18:19]
	v_pk_mov_b32 v[4:5], v[2:3], v[2:3] op_sel:[0,1]
	s_and_saveexec_b64 s[12:13], s[4:5]
	s_cbranch_execz .LBB75_22
; %bb.21:
	v_subrev_co_u32_e64 v1, s[4:5], s20, v6
	v_subbrev_co_u32_e64 v3, s[4:5], 0, v7, s[4:5]
	v_add_co_u32_e64 v2, s[4:5], v1, v18
	v_addc_co_u32_e64 v3, s[4:5], 0, v3, s[4:5]
	v_lshlrev_b64 v[4:5], 3, v[2:3]
	v_mov_b32_e32 v1, s15
	v_add_co_u32_e64 v4, s[4:5], s14, v4
	v_addc_co_u32_e64 v5, s[4:5], v1, v5, s[4:5]
	global_load_dwordx2 v[6:7], v[4:5], off
	v_lshlrev_b64 v[2:3], 4, v[2:3]
	v_mov_b32_e32 v1, s17
	v_add_co_u32_e64 v2, s[4:5], s16, v2
	v_addc_co_u32_e64 v3, s[4:5], v1, v3, s[4:5]
	global_load_dwordx4 v[2:5], v[2:3], off
	v_mov_b32_e32 v8, s19
	s_waitcnt vmcnt(1)
	v_subrev_co_u32_e64 v6, s[4:5], s20, v6
	v_subbrev_co_u32_e64 v7, s[4:5], 0, v7, s[4:5]
	v_lshlrev_b64 v[6:7], 4, v[6:7]
	v_add_co_u32_e64 v6, s[4:5], s18, v6
	v_addc_co_u32_e64 v7, s[4:5], v8, v7, s[4:5]
	global_load_dwordx4 v[6:9], v[6:7], off
	s_waitcnt vmcnt(1)
	v_xor_b32_e32 v1, 0x80000000, v5
	v_cndmask_b32_e32 v5, v5, v1, vcc
	v_mul_f64 v[18:19], v[4:5], -v[16:17]
	v_mul_f64 v[20:21], v[14:15], v[4:5]
	v_fmac_f64_e32 v[18:19], v[14:15], v[2:3]
	v_fmac_f64_e32 v[20:21], v[16:17], v[2:3]
	s_waitcnt vmcnt(0)
	v_mul_f64 v[2:3], v[8:9], -v[20:21]
	v_mul_f64 v[4:5], v[18:19], v[8:9]
	v_fmac_f64_e32 v[2:3], v[18:19], v[6:7]
	v_fmac_f64_e32 v[4:5], v[20:21], v[6:7]
.LBB75_22:
	s_or_b64 exec, exec, s[12:13]
	v_lshlrev_b32_e32 v1, 4, v0
	ds_write_b128 v1, v[2:5] offset:12288
.LBB75_23:
	s_or_b64 exec, exec, s[22:23]
	s_cmp_lt_u32 s6, 11
	s_waitcnt lgkmcnt(0)
	s_barrier
	s_cbranch_scc0 .LBB75_32
; %bb.24:
	s_sub_i32 s16, s9, s8
	s_mov_b32 s9, 0
	s_lshl_b64 s[4:5], s[8:9], 3
	s_add_u32 s8, s21, s4
	s_addc_u32 s17, s26, s5
	v_cmp_neq_f64_e32 vcc, 0, v[10:11]
	v_cmp_neq_f64_e64 s[4:5], 0, v[12:13]
	s_or_b64 s[4:5], vcc, s[4:5]
	v_mov_b32_e32 v7, 0
	s_branch .LBB75_27
.LBB75_25:                              ;   in Loop: Header=BB75_27 Depth=1
	s_or_b64 exec, exec, s[14:15]
	v_mov_b32_e32 v1, s11
	v_add_co_u32_e32 v8, vcc, s10, v8
	v_addc_co_u32_e32 v9, vcc, v1, v9, vcc
	global_store_dwordx4 v[8:9], v[2:5], off
.LBB75_26:                              ;   in Loop: Header=BB75_27 Depth=1
	s_or_b64 exec, exec, s[12:13]
	s_addk_i32 s9, 0x100
	s_cmp_lt_u32 s9, s7
	s_cbranch_scc0 .LBB75_32
.LBB75_27:                              ; =>This Loop Header: Depth=1
                                        ;     Child Loop BB75_29 Depth 2
	v_add_u32_e32 v6, s9, v0
	v_cmp_gt_u32_e32 vcc, s16, v6
	s_and_saveexec_b64 s[12:13], vcc
	s_cbranch_execz .LBB75_26
; %bb.28:                               ;   in Loop: Header=BB75_27 Depth=1
	v_lshlrev_b64 v[2:3], 3, v[6:7]
	v_mov_b32_e32 v1, s17
	v_add_co_u32_e32 v2, vcc, s8, v2
	v_addc_co_u32_e32 v3, vcc, v1, v3, vcc
	global_load_dwordx2 v[8:9], v[2:3], off
	v_lshlrev_b32_e32 v1, s6, v6
	v_pk_mov_b32 v[4:5], 0, 0
	v_lshlrev_b32_e32 v1, 4, v1
	s_mov_b32 s14, 1
	v_pk_mov_b32 v[2:3], v[4:5], v[4:5] op_sel:[0,1]
.LBB75_29:                              ;   Parent Loop BB75_27 Depth=1
                                        ; =>  This Inner Loop Header: Depth=2
	ds_read_b128 v[14:17], v1
	s_lshr_b32 s15, s14, s6
	s_add_i32 s14, s14, 1
	v_add_u32_e32 v1, 16, v1
	s_cmp_lg_u32 s15, 0
	s_waitcnt lgkmcnt(0)
	v_add_f64 v[2:3], v[2:3], v[14:15]
	v_add_f64 v[4:5], v[4:5], v[16:17]
	s_cbranch_scc0 .LBB75_29
; %bb.30:                               ;   in Loop: Header=BB75_27 Depth=1
	s_waitcnt vmcnt(0)
	v_lshlrev_b64 v[8:9], 4, v[8:9]
	s_and_saveexec_b64 s[14:15], s[4:5]
	s_cbranch_execz .LBB75_25
; %bb.31:                               ;   in Loop: Header=BB75_27 Depth=1
	v_mov_b32_e32 v1, s11
	v_add_co_u32_e32 v14, vcc, s10, v8
	v_addc_co_u32_e32 v15, vcc, v1, v9, vcc
	global_load_dwordx4 v[14:17], v[14:15], off
	s_waitcnt vmcnt(0)
	v_fmac_f64_e32 v[2:3], v[10:11], v[14:15]
	v_fmac_f64_e32 v[4:5], v[12:13], v[14:15]
	v_fma_f64 v[2:3], -v[12:13], v[16:17], v[2:3]
	v_fmac_f64_e32 v[4:5], v[10:11], v[16:17]
	s_branch .LBB75_25
.LBB75_32:
	s_endpgm
	.section	.rodata,"a",@progbits
	.p2align	6, 0x0
	.amdhsa_kernel _ZN9rocsparseL30csrmvn_lrb_short_rows_2_kernelIll21rocsparse_complex_numIdES2_S2_S2_EEvbT_PT0_S5_jNS_24const_host_device_scalarIT4_EEPKS3_PKS4_PKT1_PKT2_S8_PT3_21rocsparse_index_base_b
		.amdhsa_group_segment_fixed_size 16384
		.amdhsa_private_segment_fixed_size 24
		.amdhsa_kernarg_size 120
		.amdhsa_user_sgpr_count 8
		.amdhsa_user_sgpr_private_segment_buffer 1
		.amdhsa_user_sgpr_dispatch_ptr 0
		.amdhsa_user_sgpr_queue_ptr 0
		.amdhsa_user_sgpr_kernarg_segment_ptr 1
		.amdhsa_user_sgpr_dispatch_id 0
		.amdhsa_user_sgpr_flat_scratch_init 1
		.amdhsa_user_sgpr_kernarg_preload_length 0
		.amdhsa_user_sgpr_kernarg_preload_offset 0
		.amdhsa_user_sgpr_private_segment_size 0
		.amdhsa_uses_dynamic_stack 0
		.amdhsa_system_sgpr_private_segment_wavefront_offset 1
		.amdhsa_system_sgpr_workgroup_id_x 1
		.amdhsa_system_sgpr_workgroup_id_y 0
		.amdhsa_system_sgpr_workgroup_id_z 0
		.amdhsa_system_sgpr_workgroup_info 0
		.amdhsa_system_vgpr_workitem_id 0
		.amdhsa_next_free_vgpr 24
		.amdhsa_next_free_sgpr 30
		.amdhsa_accum_offset 24
		.amdhsa_reserve_vcc 1
		.amdhsa_reserve_flat_scratch 1
		.amdhsa_float_round_mode_32 0
		.amdhsa_float_round_mode_16_64 0
		.amdhsa_float_denorm_mode_32 3
		.amdhsa_float_denorm_mode_16_64 3
		.amdhsa_dx10_clamp 1
		.amdhsa_ieee_mode 1
		.amdhsa_fp16_overflow 0
		.amdhsa_tg_split 0
		.amdhsa_exception_fp_ieee_invalid_op 0
		.amdhsa_exception_fp_denorm_src 0
		.amdhsa_exception_fp_ieee_div_zero 0
		.amdhsa_exception_fp_ieee_overflow 0
		.amdhsa_exception_fp_ieee_underflow 0
		.amdhsa_exception_fp_ieee_inexact 0
		.amdhsa_exception_int_div_zero 0
	.end_amdhsa_kernel
	.section	.text._ZN9rocsparseL30csrmvn_lrb_short_rows_2_kernelIll21rocsparse_complex_numIdES2_S2_S2_EEvbT_PT0_S5_jNS_24const_host_device_scalarIT4_EEPKS3_PKS4_PKT1_PKT2_S8_PT3_21rocsparse_index_base_b,"axG",@progbits,_ZN9rocsparseL30csrmvn_lrb_short_rows_2_kernelIll21rocsparse_complex_numIdES2_S2_S2_EEvbT_PT0_S5_jNS_24const_host_device_scalarIT4_EEPKS3_PKS4_PKT1_PKT2_S8_PT3_21rocsparse_index_base_b,comdat
.Lfunc_end75:
	.size	_ZN9rocsparseL30csrmvn_lrb_short_rows_2_kernelIll21rocsparse_complex_numIdES2_S2_S2_EEvbT_PT0_S5_jNS_24const_host_device_scalarIT4_EEPKS3_PKS4_PKT1_PKT2_S8_PT3_21rocsparse_index_base_b, .Lfunc_end75-_ZN9rocsparseL30csrmvn_lrb_short_rows_2_kernelIll21rocsparse_complex_numIdES2_S2_S2_EEvbT_PT0_S5_jNS_24const_host_device_scalarIT4_EEPKS3_PKS4_PKT1_PKT2_S8_PT3_21rocsparse_index_base_b
                                        ; -- End function
	.section	.AMDGPU.csdata,"",@progbits
; Kernel info:
; codeLenInByte = 2384
; NumSgprs: 36
; NumVgprs: 24
; NumAgprs: 0
; TotalNumVgprs: 24
; ScratchSize: 24
; MemoryBound: 0
; FloatMode: 240
; IeeeMode: 1
; LDSByteSize: 16384 bytes/workgroup (compile time only)
; SGPRBlocks: 4
; VGPRBlocks: 2
; NumSGPRsForWavesPerEU: 36
; NumVGPRsForWavesPerEU: 24
; AccumOffset: 24
; Occupancy: 4
; WaveLimiterHint : 1
; COMPUTE_PGM_RSRC2:SCRATCH_EN: 1
; COMPUTE_PGM_RSRC2:USER_SGPR: 8
; COMPUTE_PGM_RSRC2:TRAP_HANDLER: 0
; COMPUTE_PGM_RSRC2:TGID_X_EN: 1
; COMPUTE_PGM_RSRC2:TGID_Y_EN: 0
; COMPUTE_PGM_RSRC2:TGID_Z_EN: 0
; COMPUTE_PGM_RSRC2:TIDIG_COMP_CNT: 0
; COMPUTE_PGM_RSRC3_GFX90A:ACCUM_OFFSET: 5
; COMPUTE_PGM_RSRC3_GFX90A:TG_SPLIT: 0
	.section	.text._ZN9rocsparseL41csrmvn_lrb_medium_rows_warp_reduce_kernelILj256ELj32Ell21rocsparse_complex_numIdES2_S2_S2_EEvbT1_lPT2_S5_jNS_24const_host_device_scalarIT6_EEPKS3_PKS4_PKT3_PKT4_S8_PT5_21rocsparse_index_base_b,"axG",@progbits,_ZN9rocsparseL41csrmvn_lrb_medium_rows_warp_reduce_kernelILj256ELj32Ell21rocsparse_complex_numIdES2_S2_S2_EEvbT1_lPT2_S5_jNS_24const_host_device_scalarIT6_EEPKS3_PKS4_PKT3_PKT4_S8_PT5_21rocsparse_index_base_b,comdat
	.globl	_ZN9rocsparseL41csrmvn_lrb_medium_rows_warp_reduce_kernelILj256ELj32Ell21rocsparse_complex_numIdES2_S2_S2_EEvbT1_lPT2_S5_jNS_24const_host_device_scalarIT6_EEPKS3_PKS4_PKT3_PKT4_S8_PT5_21rocsparse_index_base_b ; -- Begin function _ZN9rocsparseL41csrmvn_lrb_medium_rows_warp_reduce_kernelILj256ELj32Ell21rocsparse_complex_numIdES2_S2_S2_EEvbT1_lPT2_S5_jNS_24const_host_device_scalarIT6_EEPKS3_PKS4_PKT3_PKT4_S8_PT5_21rocsparse_index_base_b
	.p2align	8
	.type	_ZN9rocsparseL41csrmvn_lrb_medium_rows_warp_reduce_kernelILj256ELj32Ell21rocsparse_complex_numIdES2_S2_S2_EEvbT1_lPT2_S5_jNS_24const_host_device_scalarIT6_EEPKS3_PKS4_PKT3_PKT4_S8_PT5_21rocsparse_index_base_b,@function
_ZN9rocsparseL41csrmvn_lrb_medium_rows_warp_reduce_kernelILj256ELj32Ell21rocsparse_complex_numIdES2_S2_S2_EEvbT1_lPT2_S5_jNS_24const_host_device_scalarIT6_EEPKS3_PKS4_PKT3_PKT4_S8_PT5_21rocsparse_index_base_b: ; @_ZN9rocsparseL41csrmvn_lrb_medium_rows_warp_reduce_kernelILj256ELj32Ell21rocsparse_complex_numIdES2_S2_S2_EEvbT1_lPT2_S5_jNS_24const_host_device_scalarIT6_EEPKS3_PKS4_PKT3_PKT4_S8_PT5_21rocsparse_index_base_b
; %bb.0:
	s_load_dwordx2 s[10:11], s[6:7], 0x78
	s_load_dwordx4 s[12:15], s[6:7], 0x30
	s_load_dwordx2 s[20:21], s[4:5], 0x4
	s_load_dwordx4 s[16:19], s[6:7], 0x60
	s_mov_b64 s[2:3], src_shared_base
	v_and_b32_e32 v10, 0x3ff, v0
	s_waitcnt lgkmcnt(0)
	s_bitcmp1_b32 s11, 0
	s_cselect_b64 s[0:1], -1, 0
	s_and_b64 vcc, s[0:1], exec
	s_cselect_b32 s2, s3, s13
	s_lshr_b32 s4, s20, 16
	s_mul_i32 s4, s4, s21
	v_mul_lo_u32 v1, s4, v10
	v_bfe_u32 v2, v0, 10, 10
	v_mad_u32_u24 v1, v2, s21, v1
	v_bfe_u32 v0, v0, 20, 10
	v_add_lshl_u32 v4, v1, v0, 3
	v_mov_b32_e32 v5, s12
	v_add_u32_e32 v6, 0x800, v4
	v_pk_mov_b32 v[0:1], s[12:13], s[12:13] op_sel:[0,1]
	v_pk_mov_b32 v[2:3], s[16:17], s[16:17] op_sel:[0,1]
	ds_write2st64_b64 v4, v[2:3], v[0:1] offset1:4
	v_cndmask_b32_e64 v0, v5, v6, s[0:1]
	v_mov_b32_e32 v1, s2
	flat_load_dwordx2 v[0:1], v[0:1]
	s_xor_b64 s[4:5], s[0:1], -1
	v_pk_mov_b32 v[2:3], s[14:15], s[14:15] op_sel:[0,1]
	s_cbranch_vccnz .LBB76_2
; %bb.1:
	v_pk_mov_b32 v[2:3], s[12:13], s[12:13] op_sel:[0,1]
	flat_load_dwordx2 v[2:3], v[2:3] offset:8
.LBB76_2:
	s_and_b64 s[12:13], s[0:1], exec
	s_cselect_b32 s2, s3, s17
	v_mov_b32_e32 v5, s16
	v_cndmask_b32_e64 v4, v5, v4, s[0:1]
	v_mov_b32_e32 v5, s2
	flat_load_dwordx2 v[4:5], v[4:5]
	s_andn2_b64 vcc, exec, s[4:5]
	v_pk_mov_b32 v[6:7], s[18:19], s[18:19] op_sel:[0,1]
	s_cbranch_vccnz .LBB76_4
; %bb.3:
	v_pk_mov_b32 v[6:7], s[16:17], s[16:17] op_sel:[0,1]
	flat_load_dwordx2 v[6:7], v[6:7] offset:8
.LBB76_4:
	s_waitcnt vmcnt(0) lgkmcnt(0)
	v_cmp_eq_f64_e32 vcc, 0, v[0:1]
	v_cmp_eq_f64_e64 s[0:1], 0, v[2:3]
	s_and_b64 s[4:5], vcc, s[0:1]
	s_mov_b64 s[0:1], -1
	s_and_saveexec_b64 s[2:3], s[4:5]
; %bb.5:
	v_cmp_neq_f64_e32 vcc, 1.0, v[4:5]
	v_cmp_neq_f64_e64 s[0:1], 0, v[6:7]
	s_or_b64 s[0:1], vcc, s[0:1]
	s_orn2_b64 s[0:1], s[0:1], exec
; %bb.6:
	s_or_b64 exec, exec, s[2:3]
	s_and_saveexec_b64 s[2:3], s[0:1]
	s_cbranch_execz .LBB76_16
; %bb.7:
	s_load_dwordx2 s[0:1], s[6:7], 0x10
	v_lshrrev_b32_e32 v8, 5, v10
	v_lshl_or_b32 v8, s8, 3, v8
	v_ashrrev_i32_e32 v9, 31, v8
	s_waitcnt lgkmcnt(0)
	v_cmp_gt_i64_e32 vcc, s[0:1], v[8:9]
	s_and_b64 exec, exec, vcc
	s_cbranch_execz .LBB76_16
; %bb.8:
	s_load_dword s8, s[6:7], 0x28
	s_load_dwordx4 s[0:3], s[6:7], 0x18
	s_mov_b32 s9, 0
	v_lshlrev_b64 v[8:9], 3, v[8:9]
	v_and_b32_e32 v22, 31, v10
	s_waitcnt lgkmcnt(0)
	s_lshl_b64 s[4:5], s[8:9], 3
	s_add_u32 s2, s2, s4
	s_addc_u32 s3, s3, s5
	s_load_dwordx2 s[2:3], s[2:3], 0x0
	s_waitcnt lgkmcnt(0)
	s_lshl_b64 s[2:3], s[2:3], 3
	s_add_u32 s0, s0, s2
	s_addc_u32 s1, s1, s3
	v_mov_b32_e32 v11, s1
	v_add_co_u32_e32 v8, vcc, s0, v8
	v_addc_co_u32_e32 v9, vcc, v11, v9, vcc
	global_load_dwordx2 v[8:9], v[8:9], off
	s_load_dwordx2 s[0:1], s[6:7], 0x40
	s_load_dwordx2 s[4:5], s[6:7], 0x70
	s_mov_b32 s2, s9
	s_waitcnt lgkmcnt(0)
	v_mov_b32_e32 v11, s1
	s_waitcnt vmcnt(0)
	v_lshlrev_b64 v[12:13], 3, v[8:9]
	v_add_co_u32_e32 v12, vcc, s0, v12
	v_addc_co_u32_e32 v13, vcc, v11, v13, vcc
	global_load_dwordx4 v[14:17], v[12:13], off
	v_subrev_co_u32_e32 v18, vcc, s10, v22
	v_subb_co_u32_e64 v19, s[0:1], 0, 0, vcc
	v_pk_mov_b32 v[10:11], 0, 0
	s_waitcnt vmcnt(0)
	v_subrev_co_u32_e32 v12, vcc, s10, v16
	v_subbrev_co_u32_e32 v13, vcc, 0, v17, vcc
	v_add_co_u32_e32 v14, vcc, v14, v18
	v_addc_co_u32_e32 v15, vcc, v15, v19, vcc
	v_cmp_lt_i64_e32 vcc, v[14:15], v[12:13]
	v_pk_mov_b32 v[16:17], v[10:11], v[10:11] op_sel:[0,1]
	s_and_saveexec_b64 s[8:9], vcc
	s_cbranch_execz .LBB76_12
; %bb.9:
	s_load_dword s0, s[6:7], 0x0
	s_load_dwordx4 s[16:19], s[6:7], 0x48
	s_load_dwordx2 s[12:13], s[6:7], 0x58
	v_lshlrev_b64 v[10:11], 4, v[14:15]
	s_mov_b64 s[6:7], 0
	s_waitcnt lgkmcnt(0)
	s_bitcmp1_b32 s0, 0
	v_mov_b32_e32 v16, s19
	v_add_co_u32_e32 v10, vcc, s18, v10
	v_addc_co_u32_e32 v11, vcc, v11, v16, vcc
	v_add_co_u32_e32 v18, vcc, 8, v10
	v_addc_co_u32_e32 v19, vcc, 0, v11, vcc
	v_lshlrev_b64 v[10:11], 3, v[14:15]
	v_mov_b32_e32 v16, s17
	v_add_co_u32_e32 v20, vcc, s16, v10
	v_addc_co_u32_e32 v21, vcc, v16, v11, vcc
	v_pk_mov_b32 v[10:11], 0, 0
	s_cselect_b64 s[0:1], -1, 0
	v_mov_b32_e32 v23, s2
	v_mov_b32_e32 v24, s13
	v_pk_mov_b32 v[16:17], v[10:11], v[10:11] op_sel:[0,1]
.LBB76_10:                              ; =>This Inner Loop Header: Depth=1
	global_load_dwordx2 v[30:31], v[20:21], off
	global_load_dwordx4 v[26:29], v[18:19], off offset:-8
	s_waitcnt vmcnt(1)
	v_subrev_co_u32_e32 v30, vcc, s10, v30
	v_subb_co_u32_e32 v31, vcc, v31, v23, vcc
	v_lshlrev_b64 v[30:31], 4, v[30:31]
	v_add_co_u32_e32 v30, vcc, s12, v30
	v_addc_co_u32_e32 v31, vcc, v24, v31, vcc
	global_load_dwordx4 v[30:33], v[30:31], off
	v_add_co_u32_e32 v14, vcc, 32, v14
	s_waitcnt vmcnt(1)
	v_xor_b32_e32 v25, 0x80000000, v29
	v_addc_co_u32_e32 v15, vcc, 0, v15, vcc
	v_cndmask_b32_e64 v29, v29, v25, s[0:1]
	v_add_co_u32_e32 v18, vcc, 0x200, v18
	v_mul_f64 v[34:35], v[28:29], -v[2:3]
	v_mul_f64 v[28:29], v[0:1], v[28:29]
	v_addc_co_u32_e32 v19, vcc, 0, v19, vcc
	v_fmac_f64_e32 v[34:35], v[0:1], v[26:27]
	v_fmac_f64_e32 v[28:29], v[2:3], v[26:27]
	v_add_co_u32_e32 v20, vcc, 0x100, v20
	v_cmp_ge_i64_e64 s[2:3], v[14:15], v[12:13]
	v_addc_co_u32_e32 v21, vcc, 0, v21, vcc
	s_or_b64 s[6:7], s[2:3], s[6:7]
	s_waitcnt vmcnt(0)
	v_fmac_f64_e32 v[16:17], v[34:35], v[30:31]
	v_fmac_f64_e32 v[10:11], v[28:29], v[30:31]
	v_fma_f64 v[16:17], -v[28:29], v[32:33], v[16:17]
	v_fmac_f64_e32 v[10:11], v[34:35], v[32:33]
	s_andn2_b64 exec, exec, s[6:7]
	s_cbranch_execnz .LBB76_10
; %bb.11:
	s_or_b64 exec, exec, s[6:7]
.LBB76_12:
	s_or_b64 exec, exec, s[8:9]
	v_mov_b32_dpp v0, v16 row_shr:1 row_mask:0xf bank_mask:0xf
	v_mov_b32_dpp v1, v17 row_shr:1 row_mask:0xf bank_mask:0xf
	;; [unrolled: 1-line block ×4, first 2 shown]
	v_add_f64 v[0:1], v[16:17], v[0:1]
	v_add_f64 v[10:11], v[10:11], v[12:13]
	v_cmp_eq_u32_e32 vcc, 31, v22
	v_mov_b32_dpp v2, v0 row_shr:2 row_mask:0xf bank_mask:0xf
	v_mov_b32_dpp v3, v1 row_shr:2 row_mask:0xf bank_mask:0xf
	v_mov_b32_dpp v12, v10 row_shr:2 row_mask:0xf bank_mask:0xf
	v_mov_b32_dpp v13, v11 row_shr:2 row_mask:0xf bank_mask:0xf
	v_add_f64 v[0:1], v[0:1], v[2:3]
	v_add_f64 v[10:11], v[10:11], v[12:13]
	s_nop 0
	v_mov_b32_dpp v2, v0 row_shr:4 row_mask:0xf bank_mask:0xe
	v_mov_b32_dpp v3, v1 row_shr:4 row_mask:0xf bank_mask:0xe
	v_mov_b32_dpp v12, v10 row_shr:4 row_mask:0xf bank_mask:0xe
	v_mov_b32_dpp v13, v11 row_shr:4 row_mask:0xf bank_mask:0xe
	v_add_f64 v[0:1], v[0:1], v[2:3]
	v_add_f64 v[10:11], v[10:11], v[12:13]
	s_nop 0
	;; [unrolled: 7-line block ×3, first 2 shown]
	v_mov_b32_dpp v2, v0 row_bcast:15 row_mask:0xa bank_mask:0xf
	v_mov_b32_dpp v3, v1 row_bcast:15 row_mask:0xa bank_mask:0xf
	;; [unrolled: 1-line block ×4, first 2 shown]
	s_and_b64 exec, exec, vcc
	s_cbranch_execz .LBB76_16
; %bb.13:
	v_cmp_neq_f64_e32 vcc, 0, v[4:5]
	v_cmp_neq_f64_e64 s[0:1], 0, v[6:7]
	v_add_f64 v[0:1], v[0:1], v[2:3]
	v_add_f64 v[2:3], v[10:11], v[12:13]
	s_or_b64 s[2:3], vcc, s[0:1]
	v_lshlrev_b64 v[8:9], 4, v[8:9]
	s_and_saveexec_b64 s[0:1], s[2:3]
	s_cbranch_execz .LBB76_15
; %bb.14:
	v_mov_b32_e32 v11, s5
	v_add_co_u32_e32 v10, vcc, s4, v8
	v_addc_co_u32_e32 v11, vcc, v11, v9, vcc
	global_load_dwordx4 v[10:13], v[10:11], off
	s_waitcnt vmcnt(0)
	v_fmac_f64_e32 v[0:1], v[4:5], v[10:11]
	v_fmac_f64_e32 v[2:3], v[6:7], v[10:11]
	v_fma_f64 v[0:1], -v[6:7], v[12:13], v[0:1]
	v_fmac_f64_e32 v[2:3], v[4:5], v[12:13]
.LBB76_15:
	s_or_b64 exec, exec, s[0:1]
	v_mov_b32_e32 v5, s5
	v_add_co_u32_e32 v4, vcc, s4, v8
	v_addc_co_u32_e32 v5, vcc, v5, v9, vcc
	global_store_dwordx4 v[4:5], v[0:3], off
.LBB76_16:
	s_endpgm
	.section	.rodata,"a",@progbits
	.p2align	6, 0x0
	.amdhsa_kernel _ZN9rocsparseL41csrmvn_lrb_medium_rows_warp_reduce_kernelILj256ELj32Ell21rocsparse_complex_numIdES2_S2_S2_EEvbT1_lPT2_S5_jNS_24const_host_device_scalarIT6_EEPKS3_PKS4_PKT3_PKT4_S8_PT5_21rocsparse_index_base_b
		.amdhsa_group_segment_fixed_size 4096
		.amdhsa_private_segment_fixed_size 0
		.amdhsa_kernarg_size 128
		.amdhsa_user_sgpr_count 8
		.amdhsa_user_sgpr_private_segment_buffer 1
		.amdhsa_user_sgpr_dispatch_ptr 1
		.amdhsa_user_sgpr_queue_ptr 0
		.amdhsa_user_sgpr_kernarg_segment_ptr 1
		.amdhsa_user_sgpr_dispatch_id 0
		.amdhsa_user_sgpr_flat_scratch_init 0
		.amdhsa_user_sgpr_kernarg_preload_length 0
		.amdhsa_user_sgpr_kernarg_preload_offset 0
		.amdhsa_user_sgpr_private_segment_size 0
		.amdhsa_uses_dynamic_stack 0
		.amdhsa_system_sgpr_private_segment_wavefront_offset 0
		.amdhsa_system_sgpr_workgroup_id_x 1
		.amdhsa_system_sgpr_workgroup_id_y 0
		.amdhsa_system_sgpr_workgroup_id_z 0
		.amdhsa_system_sgpr_workgroup_info 0
		.amdhsa_system_vgpr_workitem_id 2
		.amdhsa_next_free_vgpr 36
		.amdhsa_next_free_sgpr 22
		.amdhsa_accum_offset 36
		.amdhsa_reserve_vcc 1
		.amdhsa_reserve_flat_scratch 0
		.amdhsa_float_round_mode_32 0
		.amdhsa_float_round_mode_16_64 0
		.amdhsa_float_denorm_mode_32 3
		.amdhsa_float_denorm_mode_16_64 3
		.amdhsa_dx10_clamp 1
		.amdhsa_ieee_mode 1
		.amdhsa_fp16_overflow 0
		.amdhsa_tg_split 0
		.amdhsa_exception_fp_ieee_invalid_op 0
		.amdhsa_exception_fp_denorm_src 0
		.amdhsa_exception_fp_ieee_div_zero 0
		.amdhsa_exception_fp_ieee_overflow 0
		.amdhsa_exception_fp_ieee_underflow 0
		.amdhsa_exception_fp_ieee_inexact 0
		.amdhsa_exception_int_div_zero 0
	.end_amdhsa_kernel
	.section	.text._ZN9rocsparseL41csrmvn_lrb_medium_rows_warp_reduce_kernelILj256ELj32Ell21rocsparse_complex_numIdES2_S2_S2_EEvbT1_lPT2_S5_jNS_24const_host_device_scalarIT6_EEPKS3_PKS4_PKT3_PKT4_S8_PT5_21rocsparse_index_base_b,"axG",@progbits,_ZN9rocsparseL41csrmvn_lrb_medium_rows_warp_reduce_kernelILj256ELj32Ell21rocsparse_complex_numIdES2_S2_S2_EEvbT1_lPT2_S5_jNS_24const_host_device_scalarIT6_EEPKS3_PKS4_PKT3_PKT4_S8_PT5_21rocsparse_index_base_b,comdat
.Lfunc_end76:
	.size	_ZN9rocsparseL41csrmvn_lrb_medium_rows_warp_reduce_kernelILj256ELj32Ell21rocsparse_complex_numIdES2_S2_S2_EEvbT1_lPT2_S5_jNS_24const_host_device_scalarIT6_EEPKS3_PKS4_PKT3_PKT4_S8_PT5_21rocsparse_index_base_b, .Lfunc_end76-_ZN9rocsparseL41csrmvn_lrb_medium_rows_warp_reduce_kernelILj256ELj32Ell21rocsparse_complex_numIdES2_S2_S2_EEvbT1_lPT2_S5_jNS_24const_host_device_scalarIT6_EEPKS3_PKS4_PKT3_PKT4_S8_PT5_21rocsparse_index_base_b
                                        ; -- End function
	.section	.AMDGPU.csdata,"",@progbits
; Kernel info:
; codeLenInByte = 1232
; NumSgprs: 26
; NumVgprs: 36
; NumAgprs: 0
; TotalNumVgprs: 36
; ScratchSize: 0
; MemoryBound: 0
; FloatMode: 240
; IeeeMode: 1
; LDSByteSize: 4096 bytes/workgroup (compile time only)
; SGPRBlocks: 3
; VGPRBlocks: 4
; NumSGPRsForWavesPerEU: 26
; NumVGPRsForWavesPerEU: 36
; AccumOffset: 36
; Occupancy: 8
; WaveLimiterHint : 1
; COMPUTE_PGM_RSRC2:SCRATCH_EN: 0
; COMPUTE_PGM_RSRC2:USER_SGPR: 8
; COMPUTE_PGM_RSRC2:TRAP_HANDLER: 0
; COMPUTE_PGM_RSRC2:TGID_X_EN: 1
; COMPUTE_PGM_RSRC2:TGID_Y_EN: 0
; COMPUTE_PGM_RSRC2:TGID_Z_EN: 0
; COMPUTE_PGM_RSRC2:TIDIG_COMP_CNT: 2
; COMPUTE_PGM_RSRC3_GFX90A:ACCUM_OFFSET: 8
; COMPUTE_PGM_RSRC3_GFX90A:TG_SPLIT: 0
	.section	.text._ZN9rocsparseL41csrmvn_lrb_medium_rows_warp_reduce_kernelILj256ELj64Ell21rocsparse_complex_numIdES2_S2_S2_EEvbT1_lPT2_S5_jNS_24const_host_device_scalarIT6_EEPKS3_PKS4_PKT3_PKT4_S8_PT5_21rocsparse_index_base_b,"axG",@progbits,_ZN9rocsparseL41csrmvn_lrb_medium_rows_warp_reduce_kernelILj256ELj64Ell21rocsparse_complex_numIdES2_S2_S2_EEvbT1_lPT2_S5_jNS_24const_host_device_scalarIT6_EEPKS3_PKS4_PKT3_PKT4_S8_PT5_21rocsparse_index_base_b,comdat
	.globl	_ZN9rocsparseL41csrmvn_lrb_medium_rows_warp_reduce_kernelILj256ELj64Ell21rocsparse_complex_numIdES2_S2_S2_EEvbT1_lPT2_S5_jNS_24const_host_device_scalarIT6_EEPKS3_PKS4_PKT3_PKT4_S8_PT5_21rocsparse_index_base_b ; -- Begin function _ZN9rocsparseL41csrmvn_lrb_medium_rows_warp_reduce_kernelILj256ELj64Ell21rocsparse_complex_numIdES2_S2_S2_EEvbT1_lPT2_S5_jNS_24const_host_device_scalarIT6_EEPKS3_PKS4_PKT3_PKT4_S8_PT5_21rocsparse_index_base_b
	.p2align	8
	.type	_ZN9rocsparseL41csrmvn_lrb_medium_rows_warp_reduce_kernelILj256ELj64Ell21rocsparse_complex_numIdES2_S2_S2_EEvbT1_lPT2_S5_jNS_24const_host_device_scalarIT6_EEPKS3_PKS4_PKT3_PKT4_S8_PT5_21rocsparse_index_base_b,@function
_ZN9rocsparseL41csrmvn_lrb_medium_rows_warp_reduce_kernelILj256ELj64Ell21rocsparse_complex_numIdES2_S2_S2_EEvbT1_lPT2_S5_jNS_24const_host_device_scalarIT6_EEPKS3_PKS4_PKT3_PKT4_S8_PT5_21rocsparse_index_base_b: ; @_ZN9rocsparseL41csrmvn_lrb_medium_rows_warp_reduce_kernelILj256ELj64Ell21rocsparse_complex_numIdES2_S2_S2_EEvbT1_lPT2_S5_jNS_24const_host_device_scalarIT6_EEPKS3_PKS4_PKT3_PKT4_S8_PT5_21rocsparse_index_base_b
; %bb.0:
	s_load_dwordx2 s[10:11], s[6:7], 0x78
	s_load_dwordx4 s[12:15], s[6:7], 0x30
	s_load_dwordx2 s[20:21], s[4:5], 0x4
	s_load_dwordx4 s[16:19], s[6:7], 0x60
	s_mov_b64 s[2:3], src_shared_base
	v_and_b32_e32 v10, 0x3ff, v0
	s_waitcnt lgkmcnt(0)
	s_bitcmp1_b32 s11, 0
	s_cselect_b64 s[0:1], -1, 0
	s_and_b64 vcc, s[0:1], exec
	s_cselect_b32 s2, s3, s13
	s_lshr_b32 s4, s20, 16
	s_mul_i32 s4, s4, s21
	v_mul_lo_u32 v1, s4, v10
	v_bfe_u32 v2, v0, 10, 10
	v_mad_u32_u24 v1, v2, s21, v1
	v_bfe_u32 v0, v0, 20, 10
	v_add_lshl_u32 v4, v1, v0, 3
	v_mov_b32_e32 v5, s12
	v_add_u32_e32 v6, 0x800, v4
	v_pk_mov_b32 v[0:1], s[12:13], s[12:13] op_sel:[0,1]
	v_pk_mov_b32 v[2:3], s[16:17], s[16:17] op_sel:[0,1]
	ds_write2st64_b64 v4, v[2:3], v[0:1] offset1:4
	v_cndmask_b32_e64 v0, v5, v6, s[0:1]
	v_mov_b32_e32 v1, s2
	flat_load_dwordx2 v[0:1], v[0:1]
	s_xor_b64 s[4:5], s[0:1], -1
	v_pk_mov_b32 v[2:3], s[14:15], s[14:15] op_sel:[0,1]
	s_cbranch_vccnz .LBB77_2
; %bb.1:
	v_pk_mov_b32 v[2:3], s[12:13], s[12:13] op_sel:[0,1]
	flat_load_dwordx2 v[2:3], v[2:3] offset:8
.LBB77_2:
	s_and_b64 s[12:13], s[0:1], exec
	s_cselect_b32 s2, s3, s17
	v_mov_b32_e32 v5, s16
	v_cndmask_b32_e64 v4, v5, v4, s[0:1]
	v_mov_b32_e32 v5, s2
	flat_load_dwordx2 v[4:5], v[4:5]
	s_andn2_b64 vcc, exec, s[4:5]
	v_pk_mov_b32 v[6:7], s[18:19], s[18:19] op_sel:[0,1]
	s_cbranch_vccnz .LBB77_4
; %bb.3:
	v_pk_mov_b32 v[6:7], s[16:17], s[16:17] op_sel:[0,1]
	flat_load_dwordx2 v[6:7], v[6:7] offset:8
.LBB77_4:
	s_waitcnt vmcnt(0) lgkmcnt(0)
	v_cmp_eq_f64_e32 vcc, 0, v[0:1]
	v_cmp_eq_f64_e64 s[0:1], 0, v[2:3]
	s_and_b64 s[4:5], vcc, s[0:1]
	s_mov_b64 s[0:1], -1
	s_and_saveexec_b64 s[2:3], s[4:5]
; %bb.5:
	v_cmp_neq_f64_e32 vcc, 1.0, v[4:5]
	v_cmp_neq_f64_e64 s[0:1], 0, v[6:7]
	s_or_b64 s[0:1], vcc, s[0:1]
	s_orn2_b64 s[0:1], s[0:1], exec
; %bb.6:
	s_or_b64 exec, exec, s[2:3]
	s_and_saveexec_b64 s[2:3], s[0:1]
	s_cbranch_execz .LBB77_16
; %bb.7:
	s_load_dwordx2 s[0:1], s[6:7], 0x10
	v_lshrrev_b32_e32 v8, 6, v10
	v_lshl_or_b32 v8, s8, 2, v8
	v_ashrrev_i32_e32 v9, 31, v8
	s_waitcnt lgkmcnt(0)
	v_cmp_gt_i64_e32 vcc, s[0:1], v[8:9]
	s_and_b64 exec, exec, vcc
	s_cbranch_execz .LBB77_16
; %bb.8:
	s_load_dword s8, s[6:7], 0x28
	s_load_dwordx4 s[0:3], s[6:7], 0x18
	s_mov_b32 s9, 0
	v_lshlrev_b64 v[8:9], 3, v[8:9]
	v_and_b32_e32 v22, 63, v10
	s_waitcnt lgkmcnt(0)
	s_lshl_b64 s[4:5], s[8:9], 3
	s_add_u32 s2, s2, s4
	s_addc_u32 s3, s3, s5
	s_load_dwordx2 s[2:3], s[2:3], 0x0
	s_waitcnt lgkmcnt(0)
	s_lshl_b64 s[2:3], s[2:3], 3
	s_add_u32 s0, s0, s2
	s_addc_u32 s1, s1, s3
	v_mov_b32_e32 v11, s1
	v_add_co_u32_e32 v8, vcc, s0, v8
	v_addc_co_u32_e32 v9, vcc, v11, v9, vcc
	global_load_dwordx2 v[8:9], v[8:9], off
	s_load_dwordx2 s[0:1], s[6:7], 0x40
	s_load_dwordx2 s[4:5], s[6:7], 0x70
	s_mov_b32 s2, s9
	s_waitcnt lgkmcnt(0)
	v_mov_b32_e32 v11, s1
	s_waitcnt vmcnt(0)
	v_lshlrev_b64 v[12:13], 3, v[8:9]
	v_add_co_u32_e32 v12, vcc, s0, v12
	v_addc_co_u32_e32 v13, vcc, v11, v13, vcc
	global_load_dwordx4 v[14:17], v[12:13], off
	v_subrev_co_u32_e32 v18, vcc, s10, v22
	v_subb_co_u32_e64 v19, s[0:1], 0, 0, vcc
	v_pk_mov_b32 v[10:11], 0, 0
	s_waitcnt vmcnt(0)
	v_subrev_co_u32_e32 v12, vcc, s10, v16
	v_subbrev_co_u32_e32 v13, vcc, 0, v17, vcc
	v_add_co_u32_e32 v14, vcc, v14, v18
	v_addc_co_u32_e32 v15, vcc, v15, v19, vcc
	v_cmp_lt_i64_e32 vcc, v[14:15], v[12:13]
	v_pk_mov_b32 v[16:17], v[10:11], v[10:11] op_sel:[0,1]
	s_and_saveexec_b64 s[8:9], vcc
	s_cbranch_execz .LBB77_12
; %bb.9:
	s_load_dword s0, s[6:7], 0x0
	s_load_dwordx4 s[16:19], s[6:7], 0x48
	s_load_dwordx2 s[12:13], s[6:7], 0x58
	v_lshlrev_b64 v[10:11], 4, v[14:15]
	s_mov_b64 s[6:7], 0
	s_waitcnt lgkmcnt(0)
	s_bitcmp1_b32 s0, 0
	v_mov_b32_e32 v16, s19
	v_add_co_u32_e32 v10, vcc, s18, v10
	v_addc_co_u32_e32 v11, vcc, v11, v16, vcc
	v_add_co_u32_e32 v18, vcc, 8, v10
	v_addc_co_u32_e32 v19, vcc, 0, v11, vcc
	v_lshlrev_b64 v[10:11], 3, v[14:15]
	v_mov_b32_e32 v16, s17
	v_add_co_u32_e32 v20, vcc, s16, v10
	v_addc_co_u32_e32 v21, vcc, v16, v11, vcc
	v_pk_mov_b32 v[10:11], 0, 0
	s_cselect_b64 s[0:1], -1, 0
	v_mov_b32_e32 v23, s2
	v_mov_b32_e32 v24, s13
	v_pk_mov_b32 v[16:17], v[10:11], v[10:11] op_sel:[0,1]
.LBB77_10:                              ; =>This Inner Loop Header: Depth=1
	global_load_dwordx2 v[30:31], v[20:21], off
	global_load_dwordx4 v[26:29], v[18:19], off offset:-8
	s_waitcnt vmcnt(1)
	v_subrev_co_u32_e32 v30, vcc, s10, v30
	v_subb_co_u32_e32 v31, vcc, v31, v23, vcc
	v_lshlrev_b64 v[30:31], 4, v[30:31]
	v_add_co_u32_e32 v30, vcc, s12, v30
	v_addc_co_u32_e32 v31, vcc, v24, v31, vcc
	global_load_dwordx4 v[30:33], v[30:31], off
	v_add_co_u32_e32 v14, vcc, 64, v14
	s_waitcnt vmcnt(1)
	v_xor_b32_e32 v25, 0x80000000, v29
	v_addc_co_u32_e32 v15, vcc, 0, v15, vcc
	v_cndmask_b32_e64 v29, v29, v25, s[0:1]
	v_add_co_u32_e32 v18, vcc, 0x400, v18
	v_mul_f64 v[34:35], v[28:29], -v[2:3]
	v_mul_f64 v[28:29], v[0:1], v[28:29]
	v_addc_co_u32_e32 v19, vcc, 0, v19, vcc
	v_fmac_f64_e32 v[34:35], v[0:1], v[26:27]
	v_fmac_f64_e32 v[28:29], v[2:3], v[26:27]
	v_add_co_u32_e32 v20, vcc, 0x200, v20
	v_cmp_ge_i64_e64 s[2:3], v[14:15], v[12:13]
	v_addc_co_u32_e32 v21, vcc, 0, v21, vcc
	s_or_b64 s[6:7], s[2:3], s[6:7]
	s_waitcnt vmcnt(0)
	v_fmac_f64_e32 v[16:17], v[34:35], v[30:31]
	v_fmac_f64_e32 v[10:11], v[28:29], v[30:31]
	v_fma_f64 v[16:17], -v[28:29], v[32:33], v[16:17]
	v_fmac_f64_e32 v[10:11], v[34:35], v[32:33]
	s_andn2_b64 exec, exec, s[6:7]
	s_cbranch_execnz .LBB77_10
; %bb.11:
	s_or_b64 exec, exec, s[6:7]
.LBB77_12:
	s_or_b64 exec, exec, s[8:9]
	v_mov_b32_dpp v0, v16 row_shr:1 row_mask:0xf bank_mask:0xf
	v_mov_b32_dpp v1, v17 row_shr:1 row_mask:0xf bank_mask:0xf
	;; [unrolled: 1-line block ×4, first 2 shown]
	v_add_f64 v[0:1], v[16:17], v[0:1]
	v_add_f64 v[10:11], v[10:11], v[12:13]
	v_cmp_eq_u32_e32 vcc, 63, v22
	v_mov_b32_dpp v2, v0 row_shr:2 row_mask:0xf bank_mask:0xf
	v_mov_b32_dpp v3, v1 row_shr:2 row_mask:0xf bank_mask:0xf
	v_mov_b32_dpp v12, v10 row_shr:2 row_mask:0xf bank_mask:0xf
	v_mov_b32_dpp v13, v11 row_shr:2 row_mask:0xf bank_mask:0xf
	v_add_f64 v[0:1], v[0:1], v[2:3]
	v_add_f64 v[10:11], v[10:11], v[12:13]
	s_nop 0
	v_mov_b32_dpp v2, v0 row_shr:4 row_mask:0xf bank_mask:0xe
	v_mov_b32_dpp v3, v1 row_shr:4 row_mask:0xf bank_mask:0xe
	v_mov_b32_dpp v12, v10 row_shr:4 row_mask:0xf bank_mask:0xe
	v_mov_b32_dpp v13, v11 row_shr:4 row_mask:0xf bank_mask:0xe
	v_add_f64 v[0:1], v[0:1], v[2:3]
	v_add_f64 v[10:11], v[10:11], v[12:13]
	s_nop 0
	;; [unrolled: 7-line block ×3, first 2 shown]
	v_mov_b32_dpp v2, v0 row_bcast:15 row_mask:0xa bank_mask:0xf
	v_mov_b32_dpp v3, v1 row_bcast:15 row_mask:0xa bank_mask:0xf
	;; [unrolled: 1-line block ×4, first 2 shown]
	v_add_f64 v[0:1], v[0:1], v[2:3]
	v_add_f64 v[10:11], v[10:11], v[12:13]
	s_nop 0
	v_mov_b32_dpp v2, v0 row_bcast:31 row_mask:0xc bank_mask:0xf
	v_mov_b32_dpp v3, v1 row_bcast:31 row_mask:0xc bank_mask:0xf
	;; [unrolled: 1-line block ×4, first 2 shown]
	s_and_b64 exec, exec, vcc
	s_cbranch_execz .LBB77_16
; %bb.13:
	v_cmp_neq_f64_e32 vcc, 0, v[4:5]
	v_cmp_neq_f64_e64 s[0:1], 0, v[6:7]
	v_add_f64 v[0:1], v[0:1], v[2:3]
	v_add_f64 v[2:3], v[10:11], v[12:13]
	s_or_b64 s[2:3], vcc, s[0:1]
	v_lshlrev_b64 v[8:9], 4, v[8:9]
	s_and_saveexec_b64 s[0:1], s[2:3]
	s_cbranch_execz .LBB77_15
; %bb.14:
	v_mov_b32_e32 v11, s5
	v_add_co_u32_e32 v10, vcc, s4, v8
	v_addc_co_u32_e32 v11, vcc, v11, v9, vcc
	global_load_dwordx4 v[10:13], v[10:11], off
	s_waitcnt vmcnt(0)
	v_fmac_f64_e32 v[0:1], v[4:5], v[10:11]
	v_fmac_f64_e32 v[2:3], v[6:7], v[10:11]
	v_fma_f64 v[0:1], -v[6:7], v[12:13], v[0:1]
	v_fmac_f64_e32 v[2:3], v[4:5], v[12:13]
.LBB77_15:
	s_or_b64 exec, exec, s[0:1]
	v_mov_b32_e32 v5, s5
	v_add_co_u32_e32 v4, vcc, s4, v8
	v_addc_co_u32_e32 v5, vcc, v5, v9, vcc
	global_store_dwordx4 v[4:5], v[0:3], off
.LBB77_16:
	s_endpgm
	.section	.rodata,"a",@progbits
	.p2align	6, 0x0
	.amdhsa_kernel _ZN9rocsparseL41csrmvn_lrb_medium_rows_warp_reduce_kernelILj256ELj64Ell21rocsparse_complex_numIdES2_S2_S2_EEvbT1_lPT2_S5_jNS_24const_host_device_scalarIT6_EEPKS3_PKS4_PKT3_PKT4_S8_PT5_21rocsparse_index_base_b
		.amdhsa_group_segment_fixed_size 4096
		.amdhsa_private_segment_fixed_size 0
		.amdhsa_kernarg_size 128
		.amdhsa_user_sgpr_count 8
		.amdhsa_user_sgpr_private_segment_buffer 1
		.amdhsa_user_sgpr_dispatch_ptr 1
		.amdhsa_user_sgpr_queue_ptr 0
		.amdhsa_user_sgpr_kernarg_segment_ptr 1
		.amdhsa_user_sgpr_dispatch_id 0
		.amdhsa_user_sgpr_flat_scratch_init 0
		.amdhsa_user_sgpr_kernarg_preload_length 0
		.amdhsa_user_sgpr_kernarg_preload_offset 0
		.amdhsa_user_sgpr_private_segment_size 0
		.amdhsa_uses_dynamic_stack 0
		.amdhsa_system_sgpr_private_segment_wavefront_offset 0
		.amdhsa_system_sgpr_workgroup_id_x 1
		.amdhsa_system_sgpr_workgroup_id_y 0
		.amdhsa_system_sgpr_workgroup_id_z 0
		.amdhsa_system_sgpr_workgroup_info 0
		.amdhsa_system_vgpr_workitem_id 2
		.amdhsa_next_free_vgpr 36
		.amdhsa_next_free_sgpr 22
		.amdhsa_accum_offset 36
		.amdhsa_reserve_vcc 1
		.amdhsa_reserve_flat_scratch 0
		.amdhsa_float_round_mode_32 0
		.amdhsa_float_round_mode_16_64 0
		.amdhsa_float_denorm_mode_32 3
		.amdhsa_float_denorm_mode_16_64 3
		.amdhsa_dx10_clamp 1
		.amdhsa_ieee_mode 1
		.amdhsa_fp16_overflow 0
		.amdhsa_tg_split 0
		.amdhsa_exception_fp_ieee_invalid_op 0
		.amdhsa_exception_fp_denorm_src 0
		.amdhsa_exception_fp_ieee_div_zero 0
		.amdhsa_exception_fp_ieee_overflow 0
		.amdhsa_exception_fp_ieee_underflow 0
		.amdhsa_exception_fp_ieee_inexact 0
		.amdhsa_exception_int_div_zero 0
	.end_amdhsa_kernel
	.section	.text._ZN9rocsparseL41csrmvn_lrb_medium_rows_warp_reduce_kernelILj256ELj64Ell21rocsparse_complex_numIdES2_S2_S2_EEvbT1_lPT2_S5_jNS_24const_host_device_scalarIT6_EEPKS3_PKS4_PKT3_PKT4_S8_PT5_21rocsparse_index_base_b,"axG",@progbits,_ZN9rocsparseL41csrmvn_lrb_medium_rows_warp_reduce_kernelILj256ELj64Ell21rocsparse_complex_numIdES2_S2_S2_EEvbT1_lPT2_S5_jNS_24const_host_device_scalarIT6_EEPKS3_PKS4_PKT3_PKT4_S8_PT5_21rocsparse_index_base_b,comdat
.Lfunc_end77:
	.size	_ZN9rocsparseL41csrmvn_lrb_medium_rows_warp_reduce_kernelILj256ELj64Ell21rocsparse_complex_numIdES2_S2_S2_EEvbT1_lPT2_S5_jNS_24const_host_device_scalarIT6_EEPKS3_PKS4_PKT3_PKT4_S8_PT5_21rocsparse_index_base_b, .Lfunc_end77-_ZN9rocsparseL41csrmvn_lrb_medium_rows_warp_reduce_kernelILj256ELj64Ell21rocsparse_complex_numIdES2_S2_S2_EEvbT1_lPT2_S5_jNS_24const_host_device_scalarIT6_EEPKS3_PKS4_PKT3_PKT4_S8_PT5_21rocsparse_index_base_b
                                        ; -- End function
	.section	.AMDGPU.csdata,"",@progbits
; Kernel info:
; codeLenInByte = 1284
; NumSgprs: 26
; NumVgprs: 36
; NumAgprs: 0
; TotalNumVgprs: 36
; ScratchSize: 0
; MemoryBound: 0
; FloatMode: 240
; IeeeMode: 1
; LDSByteSize: 4096 bytes/workgroup (compile time only)
; SGPRBlocks: 3
; VGPRBlocks: 4
; NumSGPRsForWavesPerEU: 26
; NumVGPRsForWavesPerEU: 36
; AccumOffset: 36
; Occupancy: 8
; WaveLimiterHint : 1
; COMPUTE_PGM_RSRC2:SCRATCH_EN: 0
; COMPUTE_PGM_RSRC2:USER_SGPR: 8
; COMPUTE_PGM_RSRC2:TRAP_HANDLER: 0
; COMPUTE_PGM_RSRC2:TGID_X_EN: 1
; COMPUTE_PGM_RSRC2:TGID_Y_EN: 0
; COMPUTE_PGM_RSRC2:TGID_Z_EN: 0
; COMPUTE_PGM_RSRC2:TIDIG_COMP_CNT: 2
; COMPUTE_PGM_RSRC3_GFX90A:ACCUM_OFFSET: 8
; COMPUTE_PGM_RSRC3_GFX90A:TG_SPLIT: 0
	.section	.text._ZN9rocsparseL29csrmvn_lrb_medium_rows_kernelILj256Ell21rocsparse_complex_numIdES2_S2_S2_EEvbT0_PT1_S5_jNS_24const_host_device_scalarIT5_EEPKS3_PKS4_PKT2_PKT3_S8_PT4_21rocsparse_index_base_b,"axG",@progbits,_ZN9rocsparseL29csrmvn_lrb_medium_rows_kernelILj256Ell21rocsparse_complex_numIdES2_S2_S2_EEvbT0_PT1_S5_jNS_24const_host_device_scalarIT5_EEPKS3_PKS4_PKT2_PKT3_S8_PT4_21rocsparse_index_base_b,comdat
	.globl	_ZN9rocsparseL29csrmvn_lrb_medium_rows_kernelILj256Ell21rocsparse_complex_numIdES2_S2_S2_EEvbT0_PT1_S5_jNS_24const_host_device_scalarIT5_EEPKS3_PKS4_PKT2_PKT3_S8_PT4_21rocsparse_index_base_b ; -- Begin function _ZN9rocsparseL29csrmvn_lrb_medium_rows_kernelILj256Ell21rocsparse_complex_numIdES2_S2_S2_EEvbT0_PT1_S5_jNS_24const_host_device_scalarIT5_EEPKS3_PKS4_PKT2_PKT3_S8_PT4_21rocsparse_index_base_b
	.p2align	8
	.type	_ZN9rocsparseL29csrmvn_lrb_medium_rows_kernelILj256Ell21rocsparse_complex_numIdES2_S2_S2_EEvbT0_PT1_S5_jNS_24const_host_device_scalarIT5_EEPKS3_PKS4_PKT2_PKT3_S8_PT4_21rocsparse_index_base_b,@function
_ZN9rocsparseL29csrmvn_lrb_medium_rows_kernelILj256Ell21rocsparse_complex_numIdES2_S2_S2_EEvbT0_PT1_S5_jNS_24const_host_device_scalarIT5_EEPKS3_PKS4_PKT2_PKT3_S8_PT4_21rocsparse_index_base_b: ; @_ZN9rocsparseL29csrmvn_lrb_medium_rows_kernelILj256Ell21rocsparse_complex_numIdES2_S2_S2_EEvbT0_PT1_S5_jNS_24const_host_device_scalarIT5_EEPKS3_PKS4_PKT2_PKT3_S8_PT4_21rocsparse_index_base_b
; %bb.0:
	s_load_dwordx2 s[10:11], s[6:7], 0x70
	s_load_dwordx4 s[12:15], s[6:7], 0x28
	s_load_dwordx2 s[20:21], s[4:5], 0x4
	s_load_dwordx4 s[16:19], s[6:7], 0x58
	s_mov_b64 s[2:3], src_shared_base
	v_and_b32_e32 v18, 0x3ff, v0
	s_waitcnt lgkmcnt(0)
	s_bitcmp1_b32 s11, 0
	s_cselect_b64 s[0:1], -1, 0
	s_and_b64 vcc, s[0:1], exec
	s_cselect_b32 s2, s3, s13
	s_lshr_b32 s4, s20, 16
	s_mul_i32 s4, s4, s21
	v_mul_lo_u32 v1, s4, v18
	v_bfe_u32 v2, v0, 10, 10
	v_mad_u32_u24 v1, v2, s21, v1
	v_bfe_u32 v0, v0, 20, 10
	v_add_lshl_u32 v5, v1, v0, 3
	v_mov_b32_e32 v4, s12
	v_add_u32_e32 v6, 0x1800, v5
	v_pk_mov_b32 v[0:1], s[12:13], s[12:13] op_sel:[0,1]
	v_pk_mov_b32 v[2:3], s[16:17], s[16:17] op_sel:[0,1]
	ds_write2st64_b64 v5, v[2:3], v[0:1] offset0:8 offset1:12
	v_cndmask_b32_e64 v0, v4, v6, s[0:1]
	v_mov_b32_e32 v1, s2
	flat_load_dwordx2 v[8:9], v[0:1]
	s_xor_b64 s[4:5], s[0:1], -1
	v_add_u32_e32 v0, 0x1000, v5
	v_pk_mov_b32 v[10:11], s[14:15], s[14:15] op_sel:[0,1]
	s_cbranch_vccnz .LBB78_2
; %bb.1:
	v_pk_mov_b32 v[2:3], s[12:13], s[12:13] op_sel:[0,1]
	flat_load_dwordx2 v[10:11], v[2:3] offset:8
.LBB78_2:
	s_and_b64 s[12:13], s[0:1], exec
	s_cselect_b32 s2, s3, s17
	v_mov_b32_e32 v1, s16
	v_cndmask_b32_e64 v0, v1, v0, s[0:1]
	v_mov_b32_e32 v1, s2
	flat_load_dwordx2 v[4:5], v[0:1]
	s_andn2_b64 vcc, exec, s[4:5]
	v_pk_mov_b32 v[6:7], s[18:19], s[18:19] op_sel:[0,1]
	s_cbranch_vccnz .LBB78_4
; %bb.3:
	v_pk_mov_b32 v[0:1], s[16:17], s[16:17] op_sel:[0,1]
	flat_load_dwordx2 v[6:7], v[0:1] offset:8
.LBB78_4:
	s_waitcnt vmcnt(0) lgkmcnt(0)
	v_cmp_eq_f64_e32 vcc, 0, v[8:9]
	v_cmp_eq_f64_e64 s[0:1], 0, v[10:11]
	s_and_b64 s[4:5], vcc, s[0:1]
	s_mov_b64 s[0:1], -1
	s_and_saveexec_b64 s[2:3], s[4:5]
; %bb.5:
	v_cmp_neq_f64_e32 vcc, 1.0, v[4:5]
	v_cmp_neq_f64_e64 s[0:1], 0, v[6:7]
	s_or_b64 s[0:1], vcc, s[0:1]
	s_orn2_b64 s[0:1], s[0:1], exec
; %bb.6:
	s_or_b64 exec, exec, s[2:3]
	s_and_saveexec_b64 s[2:3], s[0:1]
	s_cbranch_execz .LBB78_31
; %bb.7:
	s_load_dword s12, s[6:7], 0x20
	s_load_dwordx4 s[0:3], s[6:7], 0x10
	s_mov_b32 s13, 0
	v_subrev_co_u32_e32 v0, vcc, s10, v18
	s_waitcnt lgkmcnt(0)
	s_lshl_b64 s[4:5], s[12:13], 3
	s_add_u32 s2, s2, s4
	s_addc_u32 s3, s3, s5
	s_load_dwordx2 s[2:3], s[2:3], 0x0
	s_ashr_i32 s9, s8, 31
	s_waitcnt lgkmcnt(0)
	s_lshl_b64 s[2:3], s[2:3], 3
	s_add_u32 s2, s0, s2
	s_addc_u32 s3, s1, s3
	s_lshl_b64 s[0:1], s[8:9], 3
	s_add_u32 s0, s2, s0
	s_addc_u32 s1, s3, s1
	s_load_dwordx2 s[8:9], s[0:1], 0x0
	s_load_dwordx2 s[2:3], s[6:7], 0x38
	;; [unrolled: 1-line block ×3, first 2 shown]
	s_waitcnt lgkmcnt(0)
	s_lshl_b64 s[0:1], s[8:9], 3
	s_add_u32 s0, s2, s0
	s_addc_u32 s1, s3, s1
	s_load_dwordx4 s[16:19], s[0:1], 0x0
	v_subb_co_u32_e64 v1, s[0:1], 0, 0, vcc
	s_mov_b32 s2, s13
	s_waitcnt lgkmcnt(0)
	s_sub_u32 s12, s18, s10
	v_mov_b32_e32 v2, s17
	v_add_co_u32_e32 v12, vcc, s16, v0
	s_subb_u32 s13, s19, 0
	v_addc_co_u32_e32 v13, vcc, v2, v1, vcc
	v_pk_mov_b32 v[2:3], 0, 0
	v_cmp_gt_i64_e32 vcc, s[12:13], v[12:13]
	v_pk_mov_b32 v[0:1], v[2:3], v[2:3] op_sel:[0,1]
	s_and_saveexec_b64 s[14:15], vcc
	s_cbranch_execz .LBB78_11
; %bb.8:
	s_load_dword s0, s[6:7], 0x0
	s_load_dwordx4 s[20:23], s[6:7], 0x40
	s_load_dwordx2 s[16:17], s[6:7], 0x50
	v_lshlrev_b64 v[0:1], 4, v[12:13]
	s_mov_b64 s[6:7], 0
	s_waitcnt lgkmcnt(0)
	s_bitcmp1_b32 s0, 0
	v_mov_b32_e32 v2, s23
	v_add_co_u32_e32 v0, vcc, s22, v0
	v_addc_co_u32_e32 v1, vcc, v1, v2, vcc
	v_add_co_u32_e32 v14, vcc, 8, v0
	v_addc_co_u32_e32 v15, vcc, 0, v1, vcc
	v_lshlrev_b64 v[0:1], 3, v[12:13]
	v_mov_b32_e32 v2, s21
	v_add_co_u32_e32 v16, vcc, s20, v0
	v_addc_co_u32_e32 v17, vcc, v2, v1, vcc
	v_pk_mov_b32 v[2:3], 0, 0
	s_cselect_b64 s[0:1], -1, 0
	v_mov_b32_e32 v19, s2
	v_mov_b32_e32 v20, s17
	s_movk_i32 s11, 0x100
	v_pk_mov_b32 v[0:1], v[2:3], v[2:3] op_sel:[0,1]
.LBB78_9:                               ; =>This Inner Loop Header: Depth=1
	global_load_dwordx2 v[26:27], v[16:17], off
	global_load_dwordx4 v[22:25], v[14:15], off offset:-8
	s_waitcnt vmcnt(1)
	v_subrev_co_u32_e32 v26, vcc, s10, v26
	v_subb_co_u32_e32 v27, vcc, v27, v19, vcc
	v_lshlrev_b64 v[26:27], 4, v[26:27]
	v_add_co_u32_e32 v26, vcc, s16, v26
	v_addc_co_u32_e32 v27, vcc, v20, v27, vcc
	global_load_dwordx4 v[26:29], v[26:27], off
	v_add_co_u32_e32 v12, vcc, s11, v12
	s_waitcnt vmcnt(1)
	v_xor_b32_e32 v21, 0x80000000, v25
	v_addc_co_u32_e32 v13, vcc, 0, v13, vcc
	v_cndmask_b32_e64 v25, v25, v21, s[0:1]
	v_add_co_u32_e32 v14, vcc, 0x1000, v14
	v_mul_f64 v[30:31], v[24:25], -v[10:11]
	v_mul_f64 v[24:25], v[8:9], v[24:25]
	v_addc_co_u32_e32 v15, vcc, 0, v15, vcc
	v_fmac_f64_e32 v[30:31], v[8:9], v[22:23]
	v_fmac_f64_e32 v[24:25], v[10:11], v[22:23]
	v_add_co_u32_e32 v16, vcc, 0x800, v16
	v_cmp_le_i64_e64 s[2:3], s[12:13], v[12:13]
	v_addc_co_u32_e32 v17, vcc, 0, v17, vcc
	s_or_b64 s[6:7], s[2:3], s[6:7]
	s_waitcnt vmcnt(0)
	v_fmac_f64_e32 v[0:1], v[30:31], v[26:27]
	v_fmac_f64_e32 v[2:3], v[24:25], v[26:27]
	v_fma_f64 v[0:1], -v[24:25], v[28:29], v[0:1]
	v_fmac_f64_e32 v[2:3], v[30:31], v[28:29]
	s_andn2_b64 exec, exec, s[6:7]
	s_cbranch_execnz .LBB78_9
; %bb.10:
	s_or_b64 exec, exec, s[6:7]
.LBB78_11:
	s_or_b64 exec, exec, s[14:15]
	s_movk_i32 s0, 0x80
	v_lshlrev_b32_e32 v8, 4, v18
	v_cmp_gt_u32_e32 vcc, s0, v18
	ds_write_b128 v8, v[0:3]
	s_waitcnt lgkmcnt(0)
	s_barrier
	s_and_saveexec_b64 s[0:1], vcc
	s_cbranch_execz .LBB78_13
; %bb.12:
	ds_read_b128 v[0:3], v8 offset:2048
	ds_read_b128 v[10:13], v8
	s_waitcnt lgkmcnt(0)
	v_add_f64 v[0:1], v[0:1], v[10:11]
	v_add_f64 v[2:3], v[2:3], v[12:13]
	ds_write_b128 v8, v[0:3]
.LBB78_13:
	s_or_b64 exec, exec, s[0:1]
	v_cmp_gt_u32_e32 vcc, 64, v18
	s_waitcnt lgkmcnt(0)
	s_barrier
	s_and_saveexec_b64 s[0:1], vcc
	s_cbranch_execz .LBB78_15
; %bb.14:
	ds_read_b128 v[0:3], v8 offset:1024
	ds_read_b128 v[10:13], v8
	s_waitcnt lgkmcnt(0)
	v_add_f64 v[0:1], v[0:1], v[10:11]
	v_add_f64 v[2:3], v[2:3], v[12:13]
	ds_write_b128 v8, v[0:3]
.LBB78_15:
	s_or_b64 exec, exec, s[0:1]
	v_cmp_gt_u32_e32 vcc, 32, v18
	;; [unrolled: 14-line block ×6, first 2 shown]
	s_waitcnt lgkmcnt(0)
	s_barrier
	s_and_saveexec_b64 s[0:1], vcc
	s_cbranch_execz .LBB78_25
; %bb.24:
	ds_read_b128 v[0:3], v8
	ds_read_b128 v[10:13], v8 offset:32
	s_waitcnt lgkmcnt(0)
	v_add_f64 v[0:1], v[10:11], v[0:1]
	v_add_f64 v[2:3], v[12:13], v[2:3]
	ds_write_b128 v8, v[0:3]
.LBB78_25:
	s_or_b64 exec, exec, s[0:1]
	v_cmp_eq_u32_e32 vcc, 0, v18
	s_waitcnt lgkmcnt(0)
	s_barrier
	s_and_saveexec_b64 s[0:1], vcc
	s_cbranch_execz .LBB78_27
; %bb.26:
	v_mov_b32_e32 v12, 0
	ds_read_b128 v[0:3], v12
	ds_read_b128 v[8:11], v12 offset:16
	s_waitcnt lgkmcnt(0)
	v_add_f64 v[0:1], v[8:9], v[0:1]
	v_add_f64 v[2:3], v[10:11], v[2:3]
	ds_write_b128 v12, v[0:3]
.LBB78_27:
	s_or_b64 exec, exec, s[0:1]
	s_waitcnt lgkmcnt(0)
	s_barrier
	s_and_b64 exec, exec, vcc
	s_cbranch_execz .LBB78_31
; %bb.28:
	v_mov_b32_e32 v8, 0
	ds_read_b128 v[0:3], v8
	v_cmp_neq_f64_e32 vcc, 0, v[4:5]
	v_cmp_neq_f64_e64 s[0:1], 0, v[6:7]
	s_or_b64 s[2:3], vcc, s[0:1]
	s_and_saveexec_b64 s[0:1], s[2:3]
	s_cbranch_execz .LBB78_30
; %bb.29:
	s_lshl_b64 s[2:3], s[8:9], 4
	s_add_u32 s2, s4, s2
	s_addc_u32 s3, s5, s3
	s_load_dwordx4 s[12:15], s[2:3], 0x0
	s_waitcnt lgkmcnt(0)
	v_fmac_f64_e32 v[0:1], s[12:13], v[4:5]
	v_fmac_f64_e32 v[2:3], s[12:13], v[6:7]
	v_fma_f64 v[0:1], -v[6:7], s[14:15], v[0:1]
	v_fmac_f64_e32 v[2:3], s[14:15], v[4:5]
.LBB78_30:
	s_or_b64 exec, exec, s[0:1]
	s_lshl_b64 s[0:1], s[8:9], 4
	s_add_u32 s0, s4, s0
	s_addc_u32 s1, s5, s1
	s_waitcnt lgkmcnt(0)
	global_store_dwordx4 v8, v[0:3], s[0:1]
.LBB78_31:
	s_endpgm
	.section	.rodata,"a",@progbits
	.p2align	6, 0x0
	.amdhsa_kernel _ZN9rocsparseL29csrmvn_lrb_medium_rows_kernelILj256Ell21rocsparse_complex_numIdES2_S2_S2_EEvbT0_PT1_S5_jNS_24const_host_device_scalarIT5_EEPKS3_PKS4_PKT2_PKT3_S8_PT4_21rocsparse_index_base_b
		.amdhsa_group_segment_fixed_size 8192
		.amdhsa_private_segment_fixed_size 0
		.amdhsa_kernarg_size 120
		.amdhsa_user_sgpr_count 8
		.amdhsa_user_sgpr_private_segment_buffer 1
		.amdhsa_user_sgpr_dispatch_ptr 1
		.amdhsa_user_sgpr_queue_ptr 0
		.amdhsa_user_sgpr_kernarg_segment_ptr 1
		.amdhsa_user_sgpr_dispatch_id 0
		.amdhsa_user_sgpr_flat_scratch_init 0
		.amdhsa_user_sgpr_kernarg_preload_length 0
		.amdhsa_user_sgpr_kernarg_preload_offset 0
		.amdhsa_user_sgpr_private_segment_size 0
		.amdhsa_uses_dynamic_stack 0
		.amdhsa_system_sgpr_private_segment_wavefront_offset 0
		.amdhsa_system_sgpr_workgroup_id_x 1
		.amdhsa_system_sgpr_workgroup_id_y 0
		.amdhsa_system_sgpr_workgroup_id_z 0
		.amdhsa_system_sgpr_workgroup_info 0
		.amdhsa_system_vgpr_workitem_id 2
		.amdhsa_next_free_vgpr 32
		.amdhsa_next_free_sgpr 24
		.amdhsa_accum_offset 32
		.amdhsa_reserve_vcc 1
		.amdhsa_reserve_flat_scratch 0
		.amdhsa_float_round_mode_32 0
		.amdhsa_float_round_mode_16_64 0
		.amdhsa_float_denorm_mode_32 3
		.amdhsa_float_denorm_mode_16_64 3
		.amdhsa_dx10_clamp 1
		.amdhsa_ieee_mode 1
		.amdhsa_fp16_overflow 0
		.amdhsa_tg_split 0
		.amdhsa_exception_fp_ieee_invalid_op 0
		.amdhsa_exception_fp_denorm_src 0
		.amdhsa_exception_fp_ieee_div_zero 0
		.amdhsa_exception_fp_ieee_overflow 0
		.amdhsa_exception_fp_ieee_underflow 0
		.amdhsa_exception_fp_ieee_inexact 0
		.amdhsa_exception_int_div_zero 0
	.end_amdhsa_kernel
	.section	.text._ZN9rocsparseL29csrmvn_lrb_medium_rows_kernelILj256Ell21rocsparse_complex_numIdES2_S2_S2_EEvbT0_PT1_S5_jNS_24const_host_device_scalarIT5_EEPKS3_PKS4_PKT2_PKT3_S8_PT4_21rocsparse_index_base_b,"axG",@progbits,_ZN9rocsparseL29csrmvn_lrb_medium_rows_kernelILj256Ell21rocsparse_complex_numIdES2_S2_S2_EEvbT0_PT1_S5_jNS_24const_host_device_scalarIT5_EEPKS3_PKS4_PKT2_PKT3_S8_PT4_21rocsparse_index_base_b,comdat
.Lfunc_end78:
	.size	_ZN9rocsparseL29csrmvn_lrb_medium_rows_kernelILj256Ell21rocsparse_complex_numIdES2_S2_S2_EEvbT0_PT1_S5_jNS_24const_host_device_scalarIT5_EEPKS3_PKS4_PKT2_PKT3_S8_PT4_21rocsparse_index_base_b, .Lfunc_end78-_ZN9rocsparseL29csrmvn_lrb_medium_rows_kernelILj256Ell21rocsparse_complex_numIdES2_S2_S2_EEvbT0_PT1_S5_jNS_24const_host_device_scalarIT5_EEPKS3_PKS4_PKT2_PKT3_S8_PT4_21rocsparse_index_base_b
                                        ; -- End function
	.section	.AMDGPU.csdata,"",@progbits
; Kernel info:
; codeLenInByte = 1512
; NumSgprs: 28
; NumVgprs: 32
; NumAgprs: 0
; TotalNumVgprs: 32
; ScratchSize: 0
; MemoryBound: 0
; FloatMode: 240
; IeeeMode: 1
; LDSByteSize: 8192 bytes/workgroup (compile time only)
; SGPRBlocks: 3
; VGPRBlocks: 3
; NumSGPRsForWavesPerEU: 28
; NumVGPRsForWavesPerEU: 32
; AccumOffset: 32
; Occupancy: 8
; WaveLimiterHint : 1
; COMPUTE_PGM_RSRC2:SCRATCH_EN: 0
; COMPUTE_PGM_RSRC2:USER_SGPR: 8
; COMPUTE_PGM_RSRC2:TRAP_HANDLER: 0
; COMPUTE_PGM_RSRC2:TGID_X_EN: 1
; COMPUTE_PGM_RSRC2:TGID_Y_EN: 0
; COMPUTE_PGM_RSRC2:TGID_Z_EN: 0
; COMPUTE_PGM_RSRC2:TIDIG_COMP_CNT: 2
; COMPUTE_PGM_RSRC3_GFX90A:ACCUM_OFFSET: 7
; COMPUTE_PGM_RSRC3_GFX90A:TG_SPLIT: 0
	.section	.text._ZN9rocsparseL27csrmvn_lrb_long_rows_kernelIll21rocsparse_complex_numIdES2_S2_S2_EEvbT_PjPT0_S6_jNS_24const_host_device_scalarIT4_EEPKS3_PKS5_PKT1_PKT2_S9_PT3_21rocsparse_index_base_b,"axG",@progbits,_ZN9rocsparseL27csrmvn_lrb_long_rows_kernelIll21rocsparse_complex_numIdES2_S2_S2_EEvbT_PjPT0_S6_jNS_24const_host_device_scalarIT4_EEPKS3_PKS5_PKT1_PKT2_S9_PT3_21rocsparse_index_base_b,comdat
	.globl	_ZN9rocsparseL27csrmvn_lrb_long_rows_kernelIll21rocsparse_complex_numIdES2_S2_S2_EEvbT_PjPT0_S6_jNS_24const_host_device_scalarIT4_EEPKS3_PKS5_PKT1_PKT2_S9_PT3_21rocsparse_index_base_b ; -- Begin function _ZN9rocsparseL27csrmvn_lrb_long_rows_kernelIll21rocsparse_complex_numIdES2_S2_S2_EEvbT_PjPT0_S6_jNS_24const_host_device_scalarIT4_EEPKS3_PKS5_PKT1_PKT2_S9_PT3_21rocsparse_index_base_b
	.p2align	8
	.type	_ZN9rocsparseL27csrmvn_lrb_long_rows_kernelIll21rocsparse_complex_numIdES2_S2_S2_EEvbT_PjPT0_S6_jNS_24const_host_device_scalarIT4_EEPKS3_PKS5_PKT1_PKT2_S9_PT3_21rocsparse_index_base_b,@function
_ZN9rocsparseL27csrmvn_lrb_long_rows_kernelIll21rocsparse_complex_numIdES2_S2_S2_EEvbT_PjPT0_S6_jNS_24const_host_device_scalarIT4_EEPKS3_PKS5_PKT1_PKT2_S9_PT3_21rocsparse_index_base_b: ; @_ZN9rocsparseL27csrmvn_lrb_long_rows_kernelIll21rocsparse_complex_numIdES2_S2_S2_EEvbT_PjPT0_S6_jNS_24const_host_device_scalarIT4_EEPKS3_PKS5_PKT1_PKT2_S9_PT3_21rocsparse_index_base_b
; %bb.0:
	s_load_dwordx2 s[20:21], s[6:7], 0x78
	s_load_dwordx4 s[12:15], s[6:7], 0x30
	s_load_dwordx2 s[10:11], s[4:5], 0x4
	s_load_dwordx4 s[16:19], s[6:7], 0x60
	s_mov_b64 s[2:3], src_shared_base
	v_and_b32_e32 v14, 0x3ff, v0
	s_waitcnt lgkmcnt(0)
	s_bitcmp1_b32 s21, 0
	s_cselect_b64 s[0:1], -1, 0
	s_and_b64 vcc, s[0:1], exec
	s_cselect_b32 s2, s3, s13
	s_lshr_b32 s4, s10, 16
	s_mul_i32 s4, s4, s11
	v_mul_lo_u32 v1, s4, v14
	v_bfe_u32 v2, v0, 10, 10
	v_mad_u32_u24 v1, v2, s11, v1
	v_bfe_u32 v0, v0, 20, 10
	v_add_lshl_u32 v6, v1, v0, 3
	v_mov_b32_e32 v4, s12
	v_add_u32_e32 v5, 0x1800, v6
	v_pk_mov_b32 v[0:1], s[12:13], s[12:13] op_sel:[0,1]
	v_pk_mov_b32 v[2:3], s[16:17], s[16:17] op_sel:[0,1]
	ds_write2st64_b64 v6, v[2:3], v[0:1] offset0:8 offset1:12
	v_cndmask_b32_e64 v0, v4, v5, s[0:1]
	v_mov_b32_e32 v1, s2
	flat_load_dwordx2 v[4:5], v[0:1]
	s_xor_b64 s[4:5], s[0:1], -1
	v_add_u32_e32 v0, 0x1000, v6
	v_pk_mov_b32 v[6:7], s[14:15], s[14:15] op_sel:[0,1]
	s_cbranch_vccnz .LBB79_2
; %bb.1:
	v_pk_mov_b32 v[2:3], s[12:13], s[12:13] op_sel:[0,1]
	flat_load_dwordx2 v[6:7], v[2:3] offset:8
.LBB79_2:
	s_and_b64 s[10:11], s[0:1], exec
	s_cselect_b32 s2, s3, s17
	v_mov_b32_e32 v1, s16
	v_cndmask_b32_e64 v0, v1, v0, s[0:1]
	v_mov_b32_e32 v1, s2
	flat_load_dwordx2 v[10:11], v[0:1]
	s_andn2_b64 vcc, exec, s[4:5]
	v_pk_mov_b32 v[8:9], s[18:19], s[18:19] op_sel:[0,1]
	s_cbranch_vccnz .LBB79_4
; %bb.3:
	v_pk_mov_b32 v[0:1], s[16:17], s[16:17] op_sel:[0,1]
	flat_load_dwordx2 v[8:9], v[0:1] offset:8
.LBB79_4:
	s_waitcnt vmcnt(0) lgkmcnt(0)
	v_cmp_eq_f64_e32 vcc, 0, v[4:5]
	v_cmp_eq_f64_e64 s[0:1], 0, v[6:7]
	s_and_b64 s[4:5], vcc, s[0:1]
	s_mov_b64 s[0:1], -1
	s_and_saveexec_b64 s[2:3], s[4:5]
; %bb.5:
	v_cmp_neq_f64_e32 vcc, 1.0, v[10:11]
	v_cmp_neq_f64_e64 s[0:1], 0, v[8:9]
	s_or_b64 s[0:1], vcc, s[0:1]
	s_orn2_b64 s[0:1], s[0:1], exec
; %bb.6:
	s_or_b64 exec, exec, s[2:3]
	s_and_saveexec_b64 s[2:3], s[0:1]
	s_cbranch_execz .LBB79_44
; %bb.7:
	s_load_dword s0, s[6:7], 0x28
	s_load_dwordx2 s[2:3], s[6:7], 0x20
	s_mov_b32 s27, 0
	s_mov_b32 s1, s27
	s_load_dwordx4 s[12:15], s[6:7], 0x10
	s_waitcnt lgkmcnt(0)
	s_lshl_b64 s[4:5], s[0:1], 3
	s_add_u32 s2, s2, s4
	s_addc_u32 s3, s3, s5
	s_lshl_b32 s0, -1, s0
	s_not_b32 s0, s0
	s_mul_hi_u32 s0, s0, 0x2aaaaaab
	s_lshr_b32 s0, s0, 7
	s_add_i32 s4, s0, 1
	v_cvt_f32_u32_e32 v0, s4
	s_not_b32 s0, s0
	s_load_dwordx2 s[2:3], s[2:3], 0x0
	v_rcp_iflag_f32_e32 v0, v0
	v_mul_f32_e32 v0, 0x4f7ffffe, v0
	v_cvt_u32_f32_e32 v0, v0
	v_readfirstlane_b32 s5, v0
	s_mul_i32 s0, s0, s5
	s_mul_hi_u32 s0, s5, s0
	s_add_i32 s5, s5, s0
	s_mul_hi_u32 s0, s8, s5
	s_mul_i32 s5, s0, s4
	s_sub_i32 s5, s8, s5
	s_add_i32 s9, s0, 1
	s_sub_i32 s10, s5, s4
	s_cmp_ge_u32 s5, s4
	s_cselect_b32 s0, s9, s0
	s_cselect_b32 s5, s10, s5
	s_add_i32 s9, s0, 1
	s_cmp_ge_u32 s5, s4
	s_cselect_b32 s0, s9, s0
	s_mul_i32 s4, s0, s4
	s_waitcnt lgkmcnt(0)
	s_lshl_b64 s[2:3], s[2:3], 3
	s_sub_i32 s21, s8, s4
	s_add_u32 s2, s14, s2
	s_addc_u32 s3, s15, s3
	s_lshl_b64 s[0:1], s[0:1], 3
	s_add_u32 s0, s2, s0
	s_addc_u32 s1, s3, s1
	s_load_dwordx2 s[14:15], s[0:1], 0x0
	s_load_dwordx2 s[2:3], s[6:7], 0x40
	;; [unrolled: 1-line block ×3, first 2 shown]
	v_or_b32_e32 v0, s21, v14
	v_cmp_eq_u32_e32 vcc, 0, v0
	s_waitcnt lgkmcnt(0)
	s_lshl_b64 s[0:1], s[14:15], 3
	s_add_u32 s0, s2, s0
	s_addc_u32 s1, s3, s1
	s_ashr_i32 s9, s8, 31
	s_sub_u32 s18, s8, s21
	s_subb_u32 s19, s9, 0
	s_lshl_b64 s[8:9], s[8:9], 2
	s_add_u32 s16, s12, s8
	s_addc_u32 s17, s13, s9
	s_load_dwordx4 s[0:3], s[0:1], 0x0
	v_pk_mov_b32 v[0:1], 0, 0
	s_load_dword s26, s[16:17], 0x0
	v_pk_mov_b32 v[2:3], v[0:1], v[0:1] op_sel:[0,1]
	s_and_saveexec_b64 s[22:23], vcc
	s_cbranch_execz .LBB79_11
; %bb.8:
	s_lshl_b64 s[8:9], s[14:15], 4
	s_add_u32 s8, s4, s8
	s_addc_u32 s9, s5, s9
	s_load_dwordx4 s[8:11], s[8:9], 0x0
	s_mov_b64 s[24:25], exec
	v_mbcnt_lo_u32_b32 v12, s24, 0
	v_add_f64 v[10:11], v[10:11], -1.0
	v_mbcnt_hi_u32_b32 v12, s25, v12
	s_waitcnt lgkmcnt(0)
	v_mul_f64 v[0:1], s[10:11], -v[8:9]
	v_mul_f64 v[2:3], v[10:11], s[10:11]
	v_cmp_eq_u32_e32 vcc, 0, v12
	s_waitcnt vmcnt(0) expcnt(0) lgkmcnt(0)
	s_and_saveexec_b64 s[10:11], vcc
	s_cbranch_execz .LBB79_10
; %bb.9:
	s_lshl_b64 s[28:29], s[18:19], 2
	s_add_u32 s28, s12, s28
	s_addc_u32 s29, s13, s29
	s_bcnt1_i32_b64 s24, s[24:25]
	s_and_b32 s24, s24, 1
	v_mov_b32_e32 v12, 0
	v_mov_b32_e32 v13, s24
	global_atomic_xor v12, v13, s[28:29]
.LBB79_10:
	s_or_b64 exec, exec, s[10:11]
	v_fmac_f64_e32 v[0:1], s[8:9], v[10:11]
	v_fmac_f64_e32 v[2:3], s[8:9], v[8:9]
.LBB79_11:
	s_or_b64 exec, exec, s[22:23]
	s_waitcnt lgkmcnt(0)
	s_sub_u32 s0, s0, s20
	s_mul_i32 s9, s21, 0x300
	s_subb_u32 s1, s1, 0
	s_mul_hi_u32 s8, s21, 0x300
	s_add_u32 s10, s0, s9
	s_addc_u32 s11, s1, s8
	s_sub_u32 s0, s2, s20
	s_subb_u32 s1, s3, 0
	s_add_u32 s2, s10, 0x300
	s_addc_u32 s3, s11, 0
	v_pk_mov_b32 v[8:9], s[0:1], s[0:1] op_sel:[0,1]
	v_cmp_lt_i64_e32 vcc, s[2:3], v[8:9]
	s_and_b64 s[8:9], vcc, exec
	v_mov_b32_e32 v9, s11
	v_add_co_u32_e32 v8, vcc, s10, v14
	s_cselect_b32 s9, s3, s1
	s_cselect_b32 s8, s2, s0
	v_addc_co_u32_e32 v9, vcc, 0, v9, vcc
	v_cmp_gt_i64_e32 vcc, s[8:9], v[8:9]
	s_and_saveexec_b64 s[10:11], vcc
	s_cbranch_execz .LBB79_15
; %bb.12:
	s_load_dword s0, s[6:7], 0x0
	s_load_dwordx4 s[28:31], s[6:7], 0x48
	s_load_dwordx2 s[22:23], s[6:7], 0x58
	v_lshlrev_b64 v[10:11], 4, v[8:9]
	s_mov_b64 s[6:7], 0
	s_waitcnt lgkmcnt(0)
	s_bitcmp1_b32 s0, 0
	v_mov_b32_e32 v12, s31
	v_add_co_u32_e32 v10, vcc, s30, v10
	v_addc_co_u32_e32 v11, vcc, v11, v12, vcc
	v_add_co_u32_e32 v10, vcc, 8, v10
	v_addc_co_u32_e32 v11, vcc, 0, v11, vcc
	v_lshlrev_b64 v[12:13], 3, v[8:9]
	v_mov_b32_e32 v15, s29
	v_add_co_u32_e32 v12, vcc, s28, v12
	s_cselect_b64 s[0:1], -1, 0
	v_addc_co_u32_e32 v13, vcc, v15, v13, vcc
	v_mov_b32_e32 v15, s27
	v_mov_b32_e32 v16, s23
	s_movk_i32 s23, 0x100
.LBB79_13:                              ; =>This Inner Loop Header: Depth=1
	global_load_dwordx2 v[22:23], v[12:13], off
	global_load_dwordx4 v[18:21], v[10:11], off offset:-8
	s_waitcnt vmcnt(1)
	v_subrev_co_u32_e32 v22, vcc, s20, v22
	v_subb_co_u32_e32 v23, vcc, v23, v15, vcc
	v_lshlrev_b64 v[22:23], 4, v[22:23]
	v_add_co_u32_e32 v22, vcc, s22, v22
	v_addc_co_u32_e32 v23, vcc, v16, v23, vcc
	global_load_dwordx4 v[22:25], v[22:23], off
	v_add_co_u32_e32 v8, vcc, s23, v8
	s_waitcnt vmcnt(1)
	v_xor_b32_e32 v17, 0x80000000, v21
	v_addc_co_u32_e32 v9, vcc, 0, v9, vcc
	v_cndmask_b32_e64 v21, v21, v17, s[0:1]
	v_add_co_u32_e32 v10, vcc, 0x1000, v10
	v_mul_f64 v[26:27], v[20:21], -v[6:7]
	v_mul_f64 v[20:21], v[4:5], v[20:21]
	v_addc_co_u32_e32 v11, vcc, 0, v11, vcc
	v_fmac_f64_e32 v[26:27], v[4:5], v[18:19]
	v_fmac_f64_e32 v[20:21], v[6:7], v[18:19]
	v_add_co_u32_e32 v12, vcc, 0x800, v12
	v_cmp_le_i64_e64 s[2:3], s[8:9], v[8:9]
	v_addc_co_u32_e32 v13, vcc, 0, v13, vcc
	s_or_b64 s[6:7], s[2:3], s[6:7]
	s_waitcnt vmcnt(0)
	v_fmac_f64_e32 v[0:1], v[26:27], v[22:23]
	v_fmac_f64_e32 v[2:3], v[20:21], v[22:23]
	v_fma_f64 v[0:1], -v[20:21], v[24:25], v[0:1]
	v_fmac_f64_e32 v[2:3], v[26:27], v[24:25]
	s_andn2_b64 exec, exec, s[6:7]
	s_cbranch_execnz .LBB79_13
; %bb.14:
	s_or_b64 exec, exec, s[6:7]
.LBB79_15:
	s_or_b64 exec, exec, s[10:11]
	s_movk_i32 s0, 0x80
	v_lshlrev_b32_e32 v4, 4, v14
	v_cmp_gt_u32_e32 vcc, s0, v14
	ds_write_b128 v4, v[0:3]
	s_waitcnt lgkmcnt(0)
	s_barrier
	s_and_saveexec_b64 s[0:1], vcc
	s_cbranch_execz .LBB79_17
; %bb.16:
	ds_read_b128 v[0:3], v4 offset:2048
	ds_read_b128 v[6:9], v4
	s_waitcnt lgkmcnt(0)
	v_add_f64 v[0:1], v[0:1], v[6:7]
	v_add_f64 v[2:3], v[2:3], v[8:9]
	ds_write_b128 v4, v[0:3]
.LBB79_17:
	s_or_b64 exec, exec, s[0:1]
	v_cmp_gt_u32_e32 vcc, 64, v14
	s_waitcnt lgkmcnt(0)
	s_barrier
	s_and_saveexec_b64 s[0:1], vcc
	s_cbranch_execz .LBB79_19
; %bb.18:
	ds_read_b128 v[0:3], v4 offset:1024
	ds_read_b128 v[6:9], v4
	s_waitcnt lgkmcnt(0)
	v_add_f64 v[0:1], v[0:1], v[6:7]
	v_add_f64 v[2:3], v[2:3], v[8:9]
	ds_write_b128 v4, v[0:3]
.LBB79_19:
	s_or_b64 exec, exec, s[0:1]
	v_cmp_gt_u32_e32 vcc, 32, v14
	;; [unrolled: 14-line block ×6, first 2 shown]
	s_waitcnt lgkmcnt(0)
	s_barrier
	s_and_saveexec_b64 s[0:1], vcc
	s_cbranch_execz .LBB79_29
; %bb.28:
	ds_read_b128 v[0:3], v4
	ds_read_b128 v[6:9], v4 offset:32
	s_waitcnt lgkmcnt(0)
	v_add_f64 v[0:1], v[6:7], v[0:1]
	v_add_f64 v[2:3], v[8:9], v[2:3]
	ds_write_b128 v4, v[0:3]
.LBB79_29:
	s_or_b64 exec, exec, s[0:1]
	v_cmp_eq_u32_e32 vcc, 0, v14
	s_waitcnt lgkmcnt(0)
	s_barrier
	s_and_saveexec_b64 s[0:1], vcc
	s_cbranch_execz .LBB79_31
; %bb.30:
	v_mov_b32_e32 v8, 0
	ds_read_b128 v[0:3], v8
	ds_read_b128 v[4:7], v8 offset:16
	s_waitcnt lgkmcnt(0)
	v_add_f64 v[0:1], v[4:5], v[0:1]
	v_add_f64 v[2:3], v[6:7], v[2:3]
	ds_write_b128 v8, v[0:3]
.LBB79_31:
	s_or_b64 exec, exec, s[0:1]
	s_waitcnt lgkmcnt(0)
	s_barrier
	s_and_b64 exec, exec, vcc
	s_cbranch_execz .LBB79_44
; %bb.32:
	s_cmp_eq_u32 s21, 0
	s_cbranch_scc1 .LBB79_38
; %bb.33:
	s_lshl_b64 s[0:1], s[18:19], 2
	s_add_u32 s0, s12, s0
	s_addc_u32 s1, s13, s1
	v_mov_b32_e32 v0, 0
	s_branch .LBB79_35
.LBB79_34:                              ;   in Loop: Header=BB79_35 Depth=1
	s_or_b64 exec, exec, s[2:3]
	s_waitcnt vmcnt(0)
	v_readfirstlane_b32 s2, v1
	s_cmp_eq_u32 s2, s26
	s_cbranch_scc0 .LBB79_37
.LBB79_35:                              ; =>This Inner Loop Header: Depth=1
	v_mbcnt_lo_u32_b32 v1, exec_lo, 0
	v_mbcnt_hi_u32_b32 v1, exec_hi, v1
	v_cmp_eq_u32_e32 vcc, 0, v1
                                        ; implicit-def: $vgpr1
	s_and_saveexec_b64 s[2:3], vcc
	s_cbranch_execz .LBB79_34
; %bb.36:                               ;   in Loop: Header=BB79_35 Depth=1
	global_load_dword v1, v0, s[0:1] glc
	s_branch .LBB79_34
.LBB79_37:
	v_mov_b32_e32 v0, 0
	global_load_dword v1, v0, s[16:17]
	s_waitcnt vmcnt(0)
	v_xor_b32_e32 v1, 1, v1
	global_store_dword v0, v1, s[16:17]
.LBB79_38:
	v_mov_b32_e32 v8, 0
	ds_read_b128 v[0:3], v8
	s_mov_b64 s[6:7], exec
	s_lshl_b64 s[0:1], s[14:15], 4
	v_mbcnt_lo_u32_b32 v4, s6, 0
	s_add_u32 s0, s4, s0
	v_mbcnt_hi_u32_b32 v4, s7, v4
	s_addc_u32 s1, s5, s1
	v_cmp_eq_u32_e32 vcc, 0, v4
	s_and_saveexec_b64 s[2:3], vcc
	s_cbranch_execz .LBB79_41
; %bb.39:
	global_load_dwordx2 v[6:7], v8, s[0:1]
	s_bcnt1_i32_b64 s4, s[6:7]
	v_cvt_f64_u32_e32 v[4:5], s4
	s_waitcnt lgkmcnt(0)
	v_mul_f64 v[0:1], v[0:1], v[4:5]
	s_mov_b64 s[4:5], 0
.LBB79_40:                              ; =>This Inner Loop Header: Depth=1
	s_waitcnt vmcnt(0)
	v_add_f64 v[4:5], v[6:7], v[0:1]
	global_atomic_cmpswap_x2 v[4:5], v8, v[4:7], s[0:1] glc
	s_waitcnt vmcnt(0)
	v_cmp_eq_u64_e32 vcc, v[4:5], v[6:7]
	s_or_b64 s[4:5], vcc, s[4:5]
	v_pk_mov_b32 v[6:7], v[4:5], v[4:5] op_sel:[0,1]
	s_andn2_b64 exec, exec, s[4:5]
	s_cbranch_execnz .LBB79_40
.LBB79_41:
	s_or_b64 exec, exec, s[2:3]
	s_mov_b64 s[2:3], exec
	s_waitcnt lgkmcnt(0)
	v_mbcnt_lo_u32_b32 v0, s2, 0
	v_mbcnt_hi_u32_b32 v0, s3, v0
	v_cmp_eq_u32_e32 vcc, 0, v0
	s_and_b64 s[4:5], exec, vcc
	s_mov_b64 exec, s[4:5]
	s_cbranch_execz .LBB79_44
; %bb.42:
	v_mov_b32_e32 v6, 0
	global_load_dwordx2 v[4:5], v6, s[0:1] offset:8
	s_bcnt1_i32_b64 s2, s[2:3]
	v_cvt_f64_u32_e32 v[0:1], s2
	v_mul_f64 v[0:1], v[2:3], v[0:1]
	s_mov_b64 s[2:3], 0
.LBB79_43:                              ; =>This Inner Loop Header: Depth=1
	s_waitcnt vmcnt(0)
	v_add_f64 v[2:3], v[4:5], v[0:1]
	global_atomic_cmpswap_x2 v[2:3], v6, v[2:5], s[0:1] offset:8 glc
	s_waitcnt vmcnt(0)
	v_cmp_eq_u64_e32 vcc, v[2:3], v[4:5]
	s_or_b64 s[2:3], vcc, s[2:3]
	v_pk_mov_b32 v[4:5], v[2:3], v[2:3] op_sel:[0,1]
	s_andn2_b64 exec, exec, s[2:3]
	s_cbranch_execnz .LBB79_43
.LBB79_44:
	s_endpgm
	.section	.rodata,"a",@progbits
	.p2align	6, 0x0
	.amdhsa_kernel _ZN9rocsparseL27csrmvn_lrb_long_rows_kernelIll21rocsparse_complex_numIdES2_S2_S2_EEvbT_PjPT0_S6_jNS_24const_host_device_scalarIT4_EEPKS3_PKS5_PKT1_PKT2_S9_PT3_21rocsparse_index_base_b
		.amdhsa_group_segment_fixed_size 8192
		.amdhsa_private_segment_fixed_size 0
		.amdhsa_kernarg_size 128
		.amdhsa_user_sgpr_count 8
		.amdhsa_user_sgpr_private_segment_buffer 1
		.amdhsa_user_sgpr_dispatch_ptr 1
		.amdhsa_user_sgpr_queue_ptr 0
		.amdhsa_user_sgpr_kernarg_segment_ptr 1
		.amdhsa_user_sgpr_dispatch_id 0
		.amdhsa_user_sgpr_flat_scratch_init 0
		.amdhsa_user_sgpr_kernarg_preload_length 0
		.amdhsa_user_sgpr_kernarg_preload_offset 0
		.amdhsa_user_sgpr_private_segment_size 0
		.amdhsa_uses_dynamic_stack 0
		.amdhsa_system_sgpr_private_segment_wavefront_offset 0
		.amdhsa_system_sgpr_workgroup_id_x 1
		.amdhsa_system_sgpr_workgroup_id_y 0
		.amdhsa_system_sgpr_workgroup_id_z 0
		.amdhsa_system_sgpr_workgroup_info 0
		.amdhsa_system_vgpr_workitem_id 2
		.amdhsa_next_free_vgpr 28
		.amdhsa_next_free_sgpr 32
		.amdhsa_accum_offset 28
		.amdhsa_reserve_vcc 1
		.amdhsa_reserve_flat_scratch 0
		.amdhsa_float_round_mode_32 0
		.amdhsa_float_round_mode_16_64 0
		.amdhsa_float_denorm_mode_32 3
		.amdhsa_float_denorm_mode_16_64 3
		.amdhsa_dx10_clamp 1
		.amdhsa_ieee_mode 1
		.amdhsa_fp16_overflow 0
		.amdhsa_tg_split 0
		.amdhsa_exception_fp_ieee_invalid_op 0
		.amdhsa_exception_fp_denorm_src 0
		.amdhsa_exception_fp_ieee_div_zero 0
		.amdhsa_exception_fp_ieee_overflow 0
		.amdhsa_exception_fp_ieee_underflow 0
		.amdhsa_exception_fp_ieee_inexact 0
		.amdhsa_exception_int_div_zero 0
	.end_amdhsa_kernel
	.section	.text._ZN9rocsparseL27csrmvn_lrb_long_rows_kernelIll21rocsparse_complex_numIdES2_S2_S2_EEvbT_PjPT0_S6_jNS_24const_host_device_scalarIT4_EEPKS3_PKS5_PKT1_PKT2_S9_PT3_21rocsparse_index_base_b,"axG",@progbits,_ZN9rocsparseL27csrmvn_lrb_long_rows_kernelIll21rocsparse_complex_numIdES2_S2_S2_EEvbT_PjPT0_S6_jNS_24const_host_device_scalarIT4_EEPKS3_PKS5_PKT1_PKT2_S9_PT3_21rocsparse_index_base_b,comdat
.Lfunc_end79:
	.size	_ZN9rocsparseL27csrmvn_lrb_long_rows_kernelIll21rocsparse_complex_numIdES2_S2_S2_EEvbT_PjPT0_S6_jNS_24const_host_device_scalarIT4_EEPKS3_PKS5_PKT1_PKT2_S9_PT3_21rocsparse_index_base_b, .Lfunc_end79-_ZN9rocsparseL27csrmvn_lrb_long_rows_kernelIll21rocsparse_complex_numIdES2_S2_S2_EEvbT_PjPT0_S6_jNS_24const_host_device_scalarIT4_EEPKS3_PKS5_PKT1_PKT2_S9_PT3_21rocsparse_index_base_b
                                        ; -- End function
	.section	.AMDGPU.csdata,"",@progbits
; Kernel info:
; codeLenInByte = 2124
; NumSgprs: 36
; NumVgprs: 28
; NumAgprs: 0
; TotalNumVgprs: 28
; ScratchSize: 0
; MemoryBound: 0
; FloatMode: 240
; IeeeMode: 1
; LDSByteSize: 8192 bytes/workgroup (compile time only)
; SGPRBlocks: 4
; VGPRBlocks: 3
; NumSGPRsForWavesPerEU: 36
; NumVGPRsForWavesPerEU: 28
; AccumOffset: 28
; Occupancy: 8
; WaveLimiterHint : 1
; COMPUTE_PGM_RSRC2:SCRATCH_EN: 0
; COMPUTE_PGM_RSRC2:USER_SGPR: 8
; COMPUTE_PGM_RSRC2:TRAP_HANDLER: 0
; COMPUTE_PGM_RSRC2:TGID_X_EN: 1
; COMPUTE_PGM_RSRC2:TGID_Y_EN: 0
; COMPUTE_PGM_RSRC2:TGID_Z_EN: 0
; COMPUTE_PGM_RSRC2:TIDIG_COMP_CNT: 2
; COMPUTE_PGM_RSRC3_GFX90A:ACCUM_OFFSET: 6
; COMPUTE_PGM_RSRC3_GFX90A:TG_SPLIT: 0
	.section	.text._ZN9rocsparseL28csrmvn_lrb_short_rows_kernelIiiaaiiEEvbT_PT0_S3_jNS_24const_host_device_scalarIT4_EEPKS1_PKS2_PKT1_PKT2_S6_PT3_21rocsparse_index_base_b,"axG",@progbits,_ZN9rocsparseL28csrmvn_lrb_short_rows_kernelIiiaaiiEEvbT_PT0_S3_jNS_24const_host_device_scalarIT4_EEPKS1_PKS2_PKT1_PKT2_S6_PT3_21rocsparse_index_base_b,comdat
	.globl	_ZN9rocsparseL28csrmvn_lrb_short_rows_kernelIiiaaiiEEvbT_PT0_S3_jNS_24const_host_device_scalarIT4_EEPKS1_PKS2_PKT1_PKT2_S6_PT3_21rocsparse_index_base_b ; -- Begin function _ZN9rocsparseL28csrmvn_lrb_short_rows_kernelIiiaaiiEEvbT_PT0_S3_jNS_24const_host_device_scalarIT4_EEPKS1_PKS2_PKT1_PKT2_S6_PT3_21rocsparse_index_base_b
	.p2align	8
	.type	_ZN9rocsparseL28csrmvn_lrb_short_rows_kernelIiiaaiiEEvbT_PT0_S3_jNS_24const_host_device_scalarIT4_EEPKS1_PKS2_PKT1_PKT2_S6_PT3_21rocsparse_index_base_b,@function
_ZN9rocsparseL28csrmvn_lrb_short_rows_kernelIiiaaiiEEvbT_PT0_S3_jNS_24const_host_device_scalarIT4_EEPKS1_PKS2_PKT1_PKT2_S6_PT3_21rocsparse_index_base_b: ; @_ZN9rocsparseL28csrmvn_lrb_short_rows_kernelIiiaaiiEEvbT_PT0_S3_jNS_24const_host_device_scalarIT4_EEPKS1_PKS2_PKT1_PKT2_S6_PT3_21rocsparse_index_base_b
; %bb.0:
	s_load_dwordx2 s[16:17], s[4:5], 0x58
	s_load_dwordx2 s[8:9], s[4:5], 0x20
	s_mov_b64 s[10:11], -1
                                        ; implicit-def: $sgpr20
	s_waitcnt lgkmcnt(0)
	s_bitcmp1_b32 s17, 0
	s_cselect_b64 s[0:1], -1, 0
	s_xor_b64 s[2:3], s[0:1], -1
	s_and_b64 vcc, exec, s[2:3]
	s_cbranch_vccnz .LBB80_4
; %bb.1:
	s_load_dwordx2 s[0:1], s[4:5], 0x48
	s_andn2_b64 vcc, exec, s[10:11]
	s_cbranch_vccz .LBB80_5
.LBB80_2:
	s_and_b64 vcc, exec, s[2:3]
	s_cbranch_vccz .LBB80_6
.LBB80_3:
	s_waitcnt lgkmcnt(0)
	s_load_dword s17, s[0:1], 0x0
	s_cbranch_execz .LBB80_7
	s_branch .LBB80_8
.LBB80_4:
	s_load_dword s20, s[8:9], 0x0
	s_load_dwordx2 s[0:1], s[4:5], 0x48
	s_cbranch_execnz .LBB80_2
.LBB80_5:
	s_waitcnt lgkmcnt(0)
	s_mov_b32 s20, s8
	s_and_b64 vcc, exec, s[2:3]
	s_cbranch_vccnz .LBB80_3
.LBB80_6:
                                        ; implicit-def: $sgpr17
.LBB80_7:
	s_waitcnt lgkmcnt(0)
	s_mov_b32 s17, s0
.LBB80_8:
	s_waitcnt lgkmcnt(0)
	s_cmp_lg_u32 s20, 0
	s_cselect_b64 s[0:1], -1, 0
	s_cmp_lg_u32 s17, 1
	s_cselect_b64 s[2:3], -1, 0
	s_or_b64 s[0:1], s[0:1], s[2:3]
	s_andn2_b64 vcc, exec, s[0:1]
	s_mov_b32 s19, 0
	s_cbranch_vccnz .LBB80_22
; %bb.9:
	s_load_dword s18, s[4:5], 0x18
	s_load_dwordx4 s[0:3], s[4:5], 0x8
	s_mov_b32 s9, s19
	s_waitcnt lgkmcnt(0)
	s_lshl_b64 s[10:11], s[18:19], 2
	s_add_u32 s10, s2, s10
	s_addc_u32 s11, s3, s11
	s_add_i32 s8, s18, 1
	s_lshl_b64 s[8:9], s[8:9], 2
	s_add_u32 s2, s2, s8
	s_addc_u32 s3, s3, s9
	s_load_dword s19, s[10:11], 0x0
	s_load_dword s7, s[2:3], 0x0
	s_lshl_b32 s21, s6, 8
	s_add_i32 s3, s21, 0x100
	s_waitcnt lgkmcnt(0)
	s_sub_i32 s2, s7, s19
	s_min_u32 s22, s2, s3
	s_cmp_gt_u32 s18, 23
	s_cbranch_scc1 .LBB80_16
; %bb.10:
	s_load_dwordx8 s[8:15], s[4:5], 0x28
	v_bfe_u32 v1, v0, 0, s18
	s_lshl_b32 s23, 0x100, s18
	v_subrev_u32_e32 v6, s16, v1
	s_mov_b32 s24, 0
	v_lshl_add_u32 v7, v0, 2, 0
	v_mov_b32_e32 v3, 0
	s_branch .LBB80_13
.LBB80_11:                              ;   in Loop: Header=BB80_13 Depth=1
	s_or_b64 exec, exec, s[6:7]
	ds_write_b32 v7, v2
.LBB80_12:                              ;   in Loop: Header=BB80_13 Depth=1
	s_or_b64 exec, exec, s[2:3]
	s_addk_i32 s24, 0x100
	s_cmp_ge_u32 s24, s23
	v_add_u32_e32 v7, 0x400, v7
	s_cbranch_scc1 .LBB80_16
.LBB80_13:                              ; =>This Inner Loop Header: Depth=1
	v_add_u32_e32 v2, s24, v0
	v_lshrrev_b32_e32 v2, s18, v2
	v_add_u32_e32 v2, s21, v2
	v_cmp_gt_u32_e32 vcc, s22, v2
	s_and_saveexec_b64 s[2:3], vcc
	s_cbranch_execz .LBB80_12
; %bb.14:                               ;   in Loop: Header=BB80_13 Depth=1
	v_add_u32_e32 v2, s19, v2
	v_lshlrev_b64 v[4:5], 2, v[2:3]
	v_mov_b32_e32 v2, s1
	v_add_co_u32_e32 v4, vcc, s0, v4
	v_addc_co_u32_e32 v5, vcc, v2, v5, vcc
	global_load_dword v4, v[4:5], off
	s_waitcnt lgkmcnt(0)
	v_mov_b32_e32 v2, s9
	s_waitcnt vmcnt(0)
	v_ashrrev_i32_e32 v5, 31, v4
	v_lshlrev_b64 v[4:5], 2, v[4:5]
	v_add_co_u32_e32 v4, vcc, s8, v4
	v_addc_co_u32_e32 v5, vcc, v2, v5, vcc
	global_load_dwordx2 v[4:5], v[4:5], off
	s_waitcnt vmcnt(0)
	v_sub_u32_e32 v2, v5, v4
	v_cmp_lt_u32_e32 vcc, v1, v2
	v_mov_b32_e32 v2, 0
	s_and_saveexec_b64 s[6:7], vcc
	s_cbranch_execz .LBB80_11
; %bb.15:                               ;   in Loop: Header=BB80_13 Depth=1
	v_add_u32_e32 v2, v6, v4
	v_lshlrev_b64 v[4:5], 2, v[2:3]
	v_mov_b32_e32 v8, s11
	v_add_co_u32_e32 v4, vcc, s10, v4
	v_addc_co_u32_e32 v5, vcc, v8, v5, vcc
	global_load_dword v4, v[4:5], off
	v_mov_b32_e32 v5, s15
	global_load_sbyte v2, v2, s[12:13]
	s_waitcnt vmcnt(1)
	v_subrev_u32_e32 v4, s16, v4
	v_ashrrev_i32_e32 v8, 31, v4
	v_add_co_u32_e32 v4, vcc, s14, v4
	v_addc_co_u32_e32 v5, vcc, v5, v8, vcc
	global_load_sbyte v4, v[4:5], off
	s_waitcnt vmcnt(1)
	v_mul_lo_u32 v2, s20, v2
	s_waitcnt vmcnt(0)
	v_mul_lo_u32 v2, v2, v4
	s_branch .LBB80_11
.LBB80_16:
	s_sub_i32 s2, s22, s21
	v_cmp_gt_u32_e32 vcc, s2, v0
	s_waitcnt lgkmcnt(0)
	s_barrier
	s_and_saveexec_b64 s[2:3], vcc
	s_cbranch_execz .LBB80_22
; %bb.17:
	s_add_i32 s19, s19, s21
	v_add_u32_e32 v2, s19, v0
	v_mov_b32_e32 v3, 0
	v_lshlrev_b64 v[4:5], 2, v[2:3]
	v_mov_b32_e32 v1, s1
	v_add_co_u32_e32 v4, vcc, s0, v4
	v_addc_co_u32_e32 v5, vcc, v1, v5, vcc
	global_load_dword v4, v[4:5], off
	s_load_dwordx2 s[0:1], s[4:5], 0x50
	v_lshlrev_b32_e32 v0, s18, v0
	v_lshl_add_u32 v0, v0, 2, 0
	s_mov_b32 s2, 1
.LBB80_18:                              ; =>This Inner Loop Header: Depth=1
	ds_read_b32 v1, v0
	s_lshr_b32 s3, s2, s18
	s_add_i32 s2, s2, 1
	v_add_u32_e32 v0, 4, v0
	s_cmp_lg_u32 s3, 0
	s_waitcnt lgkmcnt(0)
	v_add_u32_e32 v3, v1, v3
	s_cbranch_scc0 .LBB80_18
; %bb.19:
	s_waitcnt vmcnt(0)
	v_ashrrev_i32_e32 v5, 31, v4
	s_cmp_lg_u32 s17, 0
	v_lshlrev_b64 v[0:1], 2, v[4:5]
	s_cbranch_scc0 .LBB80_21
; %bb.20:
	v_mov_b32_e32 v2, s1
	v_add_co_u32_e32 v4, vcc, s0, v0
	v_addc_co_u32_e32 v5, vcc, v2, v1, vcc
	global_load_dword v4, v[4:5], off
	v_mov_b32_e32 v2, v3
	s_waitcnt vmcnt(0)
	v_mad_u64_u32 v[2:3], s[2:3], v4, s17, v[2:3]
	v_mov_b32_e32 v3, v2
.LBB80_21:
	v_mov_b32_e32 v2, s1
	v_add_co_u32_e32 v0, vcc, s0, v0
	v_addc_co_u32_e32 v1, vcc, v2, v1, vcc
	global_store_dword v[0:1], v3, off
.LBB80_22:
	s_endpgm
	.section	.rodata,"a",@progbits
	.p2align	6, 0x0
	.amdhsa_kernel _ZN9rocsparseL28csrmvn_lrb_short_rows_kernelIiiaaiiEEvbT_PT0_S3_jNS_24const_host_device_scalarIT4_EEPKS1_PKS2_PKT1_PKT2_S6_PT3_21rocsparse_index_base_b
		.amdhsa_group_segment_fixed_size 0
		.amdhsa_private_segment_fixed_size 0
		.amdhsa_kernarg_size 96
		.amdhsa_user_sgpr_count 6
		.amdhsa_user_sgpr_private_segment_buffer 1
		.amdhsa_user_sgpr_dispatch_ptr 0
		.amdhsa_user_sgpr_queue_ptr 0
		.amdhsa_user_sgpr_kernarg_segment_ptr 1
		.amdhsa_user_sgpr_dispatch_id 0
		.amdhsa_user_sgpr_flat_scratch_init 0
		.amdhsa_user_sgpr_kernarg_preload_length 0
		.amdhsa_user_sgpr_kernarg_preload_offset 0
		.amdhsa_user_sgpr_private_segment_size 0
		.amdhsa_uses_dynamic_stack 0
		.amdhsa_system_sgpr_private_segment_wavefront_offset 0
		.amdhsa_system_sgpr_workgroup_id_x 1
		.amdhsa_system_sgpr_workgroup_id_y 0
		.amdhsa_system_sgpr_workgroup_id_z 0
		.amdhsa_system_sgpr_workgroup_info 0
		.amdhsa_system_vgpr_workitem_id 0
		.amdhsa_next_free_vgpr 9
		.amdhsa_next_free_sgpr 25
		.amdhsa_accum_offset 12
		.amdhsa_reserve_vcc 1
		.amdhsa_reserve_flat_scratch 0
		.amdhsa_float_round_mode_32 0
		.amdhsa_float_round_mode_16_64 0
		.amdhsa_float_denorm_mode_32 3
		.amdhsa_float_denorm_mode_16_64 3
		.amdhsa_dx10_clamp 1
		.amdhsa_ieee_mode 1
		.amdhsa_fp16_overflow 0
		.amdhsa_tg_split 0
		.amdhsa_exception_fp_ieee_invalid_op 0
		.amdhsa_exception_fp_denorm_src 0
		.amdhsa_exception_fp_ieee_div_zero 0
		.amdhsa_exception_fp_ieee_overflow 0
		.amdhsa_exception_fp_ieee_underflow 0
		.amdhsa_exception_fp_ieee_inexact 0
		.amdhsa_exception_int_div_zero 0
	.end_amdhsa_kernel
	.section	.text._ZN9rocsparseL28csrmvn_lrb_short_rows_kernelIiiaaiiEEvbT_PT0_S3_jNS_24const_host_device_scalarIT4_EEPKS1_PKS2_PKT1_PKT2_S6_PT3_21rocsparse_index_base_b,"axG",@progbits,_ZN9rocsparseL28csrmvn_lrb_short_rows_kernelIiiaaiiEEvbT_PT0_S3_jNS_24const_host_device_scalarIT4_EEPKS1_PKS2_PKT1_PKT2_S6_PT3_21rocsparse_index_base_b,comdat
.Lfunc_end80:
	.size	_ZN9rocsparseL28csrmvn_lrb_short_rows_kernelIiiaaiiEEvbT_PT0_S3_jNS_24const_host_device_scalarIT4_EEPKS1_PKS2_PKT1_PKT2_S6_PT3_21rocsparse_index_base_b, .Lfunc_end80-_ZN9rocsparseL28csrmvn_lrb_short_rows_kernelIiiaaiiEEvbT_PT0_S3_jNS_24const_host_device_scalarIT4_EEPKS1_PKS2_PKT1_PKT2_S6_PT3_21rocsparse_index_base_b
                                        ; -- End function
	.section	.AMDGPU.csdata,"",@progbits
; Kernel info:
; codeLenInByte = 784
; NumSgprs: 29
; NumVgprs: 9
; NumAgprs: 0
; TotalNumVgprs: 9
; ScratchSize: 0
; MemoryBound: 0
; FloatMode: 240
; IeeeMode: 1
; LDSByteSize: 0 bytes/workgroup (compile time only)
; SGPRBlocks: 3
; VGPRBlocks: 1
; NumSGPRsForWavesPerEU: 29
; NumVGPRsForWavesPerEU: 9
; AccumOffset: 12
; Occupancy: 8
; WaveLimiterHint : 1
; COMPUTE_PGM_RSRC2:SCRATCH_EN: 0
; COMPUTE_PGM_RSRC2:USER_SGPR: 6
; COMPUTE_PGM_RSRC2:TRAP_HANDLER: 0
; COMPUTE_PGM_RSRC2:TGID_X_EN: 1
; COMPUTE_PGM_RSRC2:TGID_Y_EN: 0
; COMPUTE_PGM_RSRC2:TGID_Z_EN: 0
; COMPUTE_PGM_RSRC2:TIDIG_COMP_CNT: 0
; COMPUTE_PGM_RSRC3_GFX90A:ACCUM_OFFSET: 2
; COMPUTE_PGM_RSRC3_GFX90A:TG_SPLIT: 0
	.section	.text._ZN9rocsparseL30csrmvn_lrb_short_rows_2_kernelIiiaaiiEEvbT_PT0_S3_jNS_24const_host_device_scalarIT4_EEPKS1_PKS2_PKT1_PKT2_S6_PT3_21rocsparse_index_base_b,"axG",@progbits,_ZN9rocsparseL30csrmvn_lrb_short_rows_2_kernelIiiaaiiEEvbT_PT0_S3_jNS_24const_host_device_scalarIT4_EEPKS1_PKS2_PKT1_PKT2_S6_PT3_21rocsparse_index_base_b,comdat
	.globl	_ZN9rocsparseL30csrmvn_lrb_short_rows_2_kernelIiiaaiiEEvbT_PT0_S3_jNS_24const_host_device_scalarIT4_EEPKS1_PKS2_PKT1_PKT2_S6_PT3_21rocsparse_index_base_b ; -- Begin function _ZN9rocsparseL30csrmvn_lrb_short_rows_2_kernelIiiaaiiEEvbT_PT0_S3_jNS_24const_host_device_scalarIT4_EEPKS1_PKS2_PKT1_PKT2_S6_PT3_21rocsparse_index_base_b
	.p2align	8
	.type	_ZN9rocsparseL30csrmvn_lrb_short_rows_2_kernelIiiaaiiEEvbT_PT0_S3_jNS_24const_host_device_scalarIT4_EEPKS1_PKS2_PKT1_PKT2_S6_PT3_21rocsparse_index_base_b,@function
_ZN9rocsparseL30csrmvn_lrb_short_rows_2_kernelIiiaaiiEEvbT_PT0_S3_jNS_24const_host_device_scalarIT4_EEPKS1_PKS2_PKT1_PKT2_S6_PT3_21rocsparse_index_base_b: ; @_ZN9rocsparseL30csrmvn_lrb_short_rows_2_kernelIiiaaiiEEvbT_PT0_S3_jNS_24const_host_device_scalarIT4_EEPKS1_PKS2_PKT1_PKT2_S6_PT3_21rocsparse_index_base_b
; %bb.0:
	s_load_dwordx2 s[18:19], s[4:5], 0x58
	s_load_dwordx2 s[8:9], s[4:5], 0x20
	s_mov_b64 s[10:11], -1
                                        ; implicit-def: $sgpr20
	s_waitcnt lgkmcnt(0)
	s_bitcmp1_b32 s19, 0
	s_cselect_b64 s[0:1], -1, 0
	s_xor_b64 s[2:3], s[0:1], -1
	s_and_b64 vcc, exec, s[2:3]
	s_cbranch_vccnz .LBB81_4
; %bb.1:
	s_load_dwordx2 s[0:1], s[4:5], 0x48
	s_andn2_b64 vcc, exec, s[10:11]
	s_cbranch_vccz .LBB81_5
.LBB81_2:
	s_and_b64 vcc, exec, s[2:3]
	s_cbranch_vccz .LBB81_6
.LBB81_3:
	s_waitcnt lgkmcnt(0)
	s_load_dword s19, s[0:1], 0x0
	s_cbranch_execz .LBB81_7
	s_branch .LBB81_8
.LBB81_4:
	s_load_dword s20, s[8:9], 0x0
	s_load_dwordx2 s[0:1], s[4:5], 0x48
	s_cbranch_execnz .LBB81_2
.LBB81_5:
	s_waitcnt lgkmcnt(0)
	s_mov_b32 s20, s8
	s_and_b64 vcc, exec, s[2:3]
	s_cbranch_vccnz .LBB81_3
.LBB81_6:
                                        ; implicit-def: $sgpr19
.LBB81_7:
	s_waitcnt lgkmcnt(0)
	s_mov_b32 s19, s0
.LBB81_8:
	s_waitcnt lgkmcnt(0)
	s_cmp_lg_u32 s20, 0
	s_cselect_b64 s[0:1], -1, 0
	s_cmp_lg_u32 s19, 1
	s_cselect_b64 s[2:3], -1, 0
	s_or_b64 s[0:1], s[0:1], s[2:3]
	s_andn2_b64 vcc, exec, s[0:1]
	s_mov_b32 s17, 0
	s_cbranch_vccnz .LBB81_34
; %bb.9:
	s_load_dword s16, s[4:5], 0x18
	s_load_dwordx4 s[0:3], s[4:5], 0x8
	s_mov_b32 s9, s17
	s_waitcnt lgkmcnt(0)
	s_lshl_b64 s[10:11], s[16:17], 2
	s_add_u32 s22, s2, s10
	s_addc_u32 s23, s3, s11
	s_add_i32 s8, s16, 1
	s_lshl_b64 s[8:9], s[8:9], 2
	s_add_u32 s24, s2, s8
	s_addc_u32 s25, s3, s9
	s_load_dword s21, s[22:23], 0x0
	s_load_dword s7, s[24:25], 0x0
	s_load_dwordx2 s[2:3], s[4:5], 0x50
	s_load_dwordx8 s[8:15], s[4:5], 0x28
	s_lshr_b32 s17, 0x400, s16
	s_mul_i32 s22, s17, s6
	s_waitcnt lgkmcnt(0)
	s_sub_i32 s4, s7, s21
	s_add_i32 s5, s22, s17
	v_lshrrev_b32_e32 v2, s16, v0
	s_min_u32 s23, s4, s5
	v_bfe_u32 v6, v0, 0, s16
	v_add_u32_e32 v2, s22, v2
	v_subrev_u32_e32 v1, s18, v6
	v_cmp_gt_u32_e32 vcc, s23, v2
	s_and_saveexec_b64 s[4:5], vcc
	s_cbranch_execz .LBB81_13
; %bb.10:
	v_add_u32_e32 v2, s21, v2
	v_mov_b32_e32 v3, 0
	v_lshlrev_b64 v[4:5], 2, v[2:3]
	v_mov_b32_e32 v2, s1
	v_add_co_u32_e32 v4, vcc, s0, v4
	v_addc_co_u32_e32 v5, vcc, v2, v5, vcc
	global_load_dword v4, v[4:5], off
	v_mov_b32_e32 v2, s9
	s_waitcnt vmcnt(0)
	v_ashrrev_i32_e32 v5, 31, v4
	v_lshlrev_b64 v[4:5], 2, v[4:5]
	v_add_co_u32_e32 v4, vcc, s8, v4
	v_addc_co_u32_e32 v5, vcc, v2, v5, vcc
	global_load_dwordx2 v[4:5], v[4:5], off
	s_waitcnt vmcnt(0)
	v_sub_u32_e32 v2, v5, v4
	v_cmp_lt_u32_e32 vcc, v6, v2
	s_and_saveexec_b64 s[6:7], vcc
	s_cbranch_execz .LBB81_12
; %bb.11:
	v_add_u32_e32 v2, v4, v1
	v_mov_b32_e32 v3, 0
	v_lshlrev_b64 v[4:5], 2, v[2:3]
	v_mov_b32_e32 v3, s11
	v_add_co_u32_e32 v4, vcc, s10, v4
	v_addc_co_u32_e32 v5, vcc, v3, v5, vcc
	global_load_dword v3, v[4:5], off
	v_mov_b32_e32 v4, s15
	global_load_sbyte v5, v2, s[12:13]
	s_waitcnt vmcnt(1)
	v_subrev_u32_e32 v2, s18, v3
	v_ashrrev_i32_e32 v3, 31, v2
	v_add_co_u32_e32 v2, vcc, s14, v2
	v_addc_co_u32_e32 v3, vcc, v4, v3, vcc
	global_load_sbyte v2, v[2:3], off
	s_waitcnt vmcnt(1)
	v_mul_lo_u32 v3, s20, v5
	s_waitcnt vmcnt(0)
	v_mul_lo_u32 v3, v3, v2
.LBB81_12:
	s_or_b64 exec, exec, s[6:7]
	v_lshlrev_b32_e32 v2, 2, v0
	ds_write_b32 v2, v3
.LBB81_13:
	s_or_b64 exec, exec, s[4:5]
	v_or_b32_e32 v2, 0x100, v0
	v_lshrrev_b32_e32 v2, s16, v2
	v_add_u32_e32 v2, s22, v2
	v_cmp_gt_u32_e32 vcc, s23, v2
	s_and_saveexec_b64 s[4:5], vcc
	s_cbranch_execz .LBB81_17
; %bb.14:
	v_add_u32_e32 v2, s21, v2
	v_mov_b32_e32 v3, 0
	v_lshlrev_b64 v[4:5], 2, v[2:3]
	v_mov_b32_e32 v2, s1
	v_add_co_u32_e32 v4, vcc, s0, v4
	v_addc_co_u32_e32 v5, vcc, v2, v5, vcc
	global_load_dword v4, v[4:5], off
	v_mov_b32_e32 v2, s9
	s_waitcnt vmcnt(0)
	v_ashrrev_i32_e32 v5, 31, v4
	v_lshlrev_b64 v[4:5], 2, v[4:5]
	v_add_co_u32_e32 v4, vcc, s8, v4
	v_addc_co_u32_e32 v5, vcc, v2, v5, vcc
	global_load_dwordx2 v[4:5], v[4:5], off
	s_waitcnt vmcnt(0)
	v_sub_u32_e32 v2, v5, v4
	v_cmp_lt_u32_e32 vcc, v6, v2
	s_and_saveexec_b64 s[6:7], vcc
	s_cbranch_execz .LBB81_16
; %bb.15:
	v_add_u32_e32 v2, v4, v1
	v_mov_b32_e32 v3, 0
	v_lshlrev_b64 v[4:5], 2, v[2:3]
	v_mov_b32_e32 v3, s11
	v_add_co_u32_e32 v4, vcc, s10, v4
	v_addc_co_u32_e32 v5, vcc, v3, v5, vcc
	global_load_dword v3, v[4:5], off
	v_mov_b32_e32 v4, s15
	global_load_sbyte v5, v2, s[12:13]
	s_waitcnt vmcnt(1)
	v_subrev_u32_e32 v2, s18, v3
	v_ashrrev_i32_e32 v3, 31, v2
	v_add_co_u32_e32 v2, vcc, s14, v2
	v_addc_co_u32_e32 v3, vcc, v4, v3, vcc
	global_load_sbyte v2, v[2:3], off
	s_waitcnt vmcnt(1)
	v_mul_lo_u32 v3, s20, v5
	s_waitcnt vmcnt(0)
	v_mul_lo_u32 v3, v3, v2
.LBB81_16:
	s_or_b64 exec, exec, s[6:7]
	v_lshlrev_b32_e32 v2, 2, v0
	ds_write_b32 v2, v3 offset:1024
.LBB81_17:
	s_or_b64 exec, exec, s[4:5]
	v_or_b32_e32 v2, 0x200, v0
	v_lshrrev_b32_e32 v2, s16, v2
	v_add_u32_e32 v2, s22, v2
	v_cmp_gt_u32_e32 vcc, s23, v2
	s_and_saveexec_b64 s[4:5], vcc
	s_cbranch_execz .LBB81_21
; %bb.18:
	v_add_u32_e32 v2, s21, v2
	v_mov_b32_e32 v3, 0
	v_lshlrev_b64 v[4:5], 2, v[2:3]
	v_mov_b32_e32 v2, s1
	v_add_co_u32_e32 v4, vcc, s0, v4
	v_addc_co_u32_e32 v5, vcc, v2, v5, vcc
	global_load_dword v4, v[4:5], off
	v_mov_b32_e32 v2, s9
	s_waitcnt vmcnt(0)
	v_ashrrev_i32_e32 v5, 31, v4
	v_lshlrev_b64 v[4:5], 2, v[4:5]
	v_add_co_u32_e32 v4, vcc, s8, v4
	v_addc_co_u32_e32 v5, vcc, v2, v5, vcc
	global_load_dwordx2 v[4:5], v[4:5], off
	s_waitcnt vmcnt(0)
	v_sub_u32_e32 v2, v5, v4
	v_cmp_lt_u32_e32 vcc, v6, v2
	s_and_saveexec_b64 s[6:7], vcc
	s_cbranch_execz .LBB81_20
; %bb.19:
	v_add_u32_e32 v2, v4, v1
	v_mov_b32_e32 v3, 0
	v_lshlrev_b64 v[4:5], 2, v[2:3]
	v_mov_b32_e32 v3, s11
	v_add_co_u32_e32 v4, vcc, s10, v4
	v_addc_co_u32_e32 v5, vcc, v3, v5, vcc
	global_load_dword v3, v[4:5], off
	v_mov_b32_e32 v4, s15
	global_load_sbyte v5, v2, s[12:13]
	s_waitcnt vmcnt(1)
	v_subrev_u32_e32 v2, s18, v3
	v_ashrrev_i32_e32 v3, 31, v2
	v_add_co_u32_e32 v2, vcc, s14, v2
	v_addc_co_u32_e32 v3, vcc, v4, v3, vcc
	global_load_sbyte v2, v[2:3], off
	s_waitcnt vmcnt(1)
	v_mul_lo_u32 v3, s20, v5
	s_waitcnt vmcnt(0)
	v_mul_lo_u32 v3, v3, v2
.LBB81_20:
	s_or_b64 exec, exec, s[6:7]
	v_lshlrev_b32_e32 v2, 2, v0
	ds_write_b32 v2, v3 offset:2048
.LBB81_21:
	;; [unrolled: 52-line block ×3, first 2 shown]
	s_or_b64 exec, exec, s[4:5]
	s_cmp_lt_u32 s16, 11
	s_waitcnt lgkmcnt(0)
	s_barrier
	s_cbranch_scc0 .LBB81_34
; %bb.26:
	s_sub_i32 s8, s23, s22
	s_add_i32 s21, s21, s22
	s_cmp_lg_u32 s19, 0
	s_mov_b32 s9, 0
	s_cselect_b64 s[4:5], -1, 0
	v_mov_b32_e32 v3, 0
	s_branch .LBB81_29
.LBB81_27:                              ;   in Loop: Header=BB81_29 Depth=1
	v_mov_b32_e32 v1, s3
	v_add_co_u32_e32 v6, vcc, s2, v6
	v_addc_co_u32_e32 v7, vcc, v1, v7, vcc
	global_store_dword v[6:7], v4, off
.LBB81_28:                              ;   in Loop: Header=BB81_29 Depth=1
	s_or_b64 exec, exec, s[6:7]
	s_addk_i32 s9, 0x100
	s_cmp_lt_u32 s9, s17
	s_cbranch_scc0 .LBB81_34
.LBB81_29:                              ; =>This Loop Header: Depth=1
                                        ;     Child Loop BB81_31 Depth 2
	v_add_u32_e32 v1, s9, v0
	v_cmp_gt_u32_e32 vcc, s8, v1
	s_and_saveexec_b64 s[6:7], vcc
	s_cbranch_execz .LBB81_28
; %bb.30:                               ;   in Loop: Header=BB81_29 Depth=1
	v_add_u32_e32 v2, s21, v1
	v_lshlrev_b64 v[4:5], 2, v[2:3]
	v_mov_b32_e32 v2, s1
	v_add_co_u32_e32 v4, vcc, s0, v4
	v_addc_co_u32_e32 v5, vcc, v2, v5, vcc
	global_load_dword v6, v[4:5], off
	v_lshlrev_b32_e32 v1, s16, v1
	v_lshlrev_b32_e32 v1, 2, v1
	s_mov_b32 s10, 1
	v_mov_b32_e32 v4, 0
.LBB81_31:                              ;   Parent Loop BB81_29 Depth=1
                                        ; =>  This Inner Loop Header: Depth=2
	ds_read_b32 v2, v1
	s_lshr_b32 s11, s10, s16
	s_add_i32 s10, s10, 1
	v_add_u32_e32 v1, 4, v1
	s_cmp_lg_u32 s11, 0
	s_waitcnt lgkmcnt(0)
	v_add_u32_e32 v4, v2, v4
	s_cbranch_scc0 .LBB81_31
; %bb.32:                               ;   in Loop: Header=BB81_29 Depth=1
	s_waitcnt vmcnt(0)
	v_ashrrev_i32_e32 v7, 31, v6
	s_and_b64 vcc, exec, s[4:5]
	v_lshlrev_b64 v[6:7], 2, v[6:7]
	s_cbranch_vccz .LBB81_27
; %bb.33:                               ;   in Loop: Header=BB81_29 Depth=1
	v_mov_b32_e32 v1, s3
	v_add_co_u32_e32 v8, vcc, s2, v6
	v_addc_co_u32_e32 v9, vcc, v1, v7, vcc
	global_load_dword v1, v[8:9], off
	s_waitcnt vmcnt(0)
	v_mad_u64_u32 v[4:5], s[10:11], v1, s19, v[4:5]
	s_branch .LBB81_27
.LBB81_34:
	s_endpgm
	.section	.rodata,"a",@progbits
	.p2align	6, 0x0
	.amdhsa_kernel _ZN9rocsparseL30csrmvn_lrb_short_rows_2_kernelIiiaaiiEEvbT_PT0_S3_jNS_24const_host_device_scalarIT4_EEPKS1_PKS2_PKT1_PKT2_S6_PT3_21rocsparse_index_base_b
		.amdhsa_group_segment_fixed_size 4096
		.amdhsa_private_segment_fixed_size 0
		.amdhsa_kernarg_size 96
		.amdhsa_user_sgpr_count 6
		.amdhsa_user_sgpr_private_segment_buffer 1
		.amdhsa_user_sgpr_dispatch_ptr 0
		.amdhsa_user_sgpr_queue_ptr 0
		.amdhsa_user_sgpr_kernarg_segment_ptr 1
		.amdhsa_user_sgpr_dispatch_id 0
		.amdhsa_user_sgpr_flat_scratch_init 0
		.amdhsa_user_sgpr_kernarg_preload_length 0
		.amdhsa_user_sgpr_kernarg_preload_offset 0
		.amdhsa_user_sgpr_private_segment_size 0
		.amdhsa_uses_dynamic_stack 0
		.amdhsa_system_sgpr_private_segment_wavefront_offset 0
		.amdhsa_system_sgpr_workgroup_id_x 1
		.amdhsa_system_sgpr_workgroup_id_y 0
		.amdhsa_system_sgpr_workgroup_id_z 0
		.amdhsa_system_sgpr_workgroup_info 0
		.amdhsa_system_vgpr_workitem_id 0
		.amdhsa_next_free_vgpr 10
		.amdhsa_next_free_sgpr 26
		.amdhsa_accum_offset 12
		.amdhsa_reserve_vcc 1
		.amdhsa_reserve_flat_scratch 0
		.amdhsa_float_round_mode_32 0
		.amdhsa_float_round_mode_16_64 0
		.amdhsa_float_denorm_mode_32 3
		.amdhsa_float_denorm_mode_16_64 3
		.amdhsa_dx10_clamp 1
		.amdhsa_ieee_mode 1
		.amdhsa_fp16_overflow 0
		.amdhsa_tg_split 0
		.amdhsa_exception_fp_ieee_invalid_op 0
		.amdhsa_exception_fp_denorm_src 0
		.amdhsa_exception_fp_ieee_div_zero 0
		.amdhsa_exception_fp_ieee_overflow 0
		.amdhsa_exception_fp_ieee_underflow 0
		.amdhsa_exception_fp_ieee_inexact 0
		.amdhsa_exception_int_div_zero 0
	.end_amdhsa_kernel
	.section	.text._ZN9rocsparseL30csrmvn_lrb_short_rows_2_kernelIiiaaiiEEvbT_PT0_S3_jNS_24const_host_device_scalarIT4_EEPKS1_PKS2_PKT1_PKT2_S6_PT3_21rocsparse_index_base_b,"axG",@progbits,_ZN9rocsparseL30csrmvn_lrb_short_rows_2_kernelIiiaaiiEEvbT_PT0_S3_jNS_24const_host_device_scalarIT4_EEPKS1_PKS2_PKT1_PKT2_S6_PT3_21rocsparse_index_base_b,comdat
.Lfunc_end81:
	.size	_ZN9rocsparseL30csrmvn_lrb_short_rows_2_kernelIiiaaiiEEvbT_PT0_S3_jNS_24const_host_device_scalarIT4_EEPKS1_PKS2_PKT1_PKT2_S6_PT3_21rocsparse_index_base_b, .Lfunc_end81-_ZN9rocsparseL30csrmvn_lrb_short_rows_2_kernelIiiaaiiEEvbT_PT0_S3_jNS_24const_host_device_scalarIT4_EEPKS1_PKS2_PKT1_PKT2_S6_PT3_21rocsparse_index_base_b
                                        ; -- End function
	.section	.AMDGPU.csdata,"",@progbits
; Kernel info:
; codeLenInByte = 1488
; NumSgprs: 30
; NumVgprs: 10
; NumAgprs: 0
; TotalNumVgprs: 10
; ScratchSize: 0
; MemoryBound: 0
; FloatMode: 240
; IeeeMode: 1
; LDSByteSize: 4096 bytes/workgroup (compile time only)
; SGPRBlocks: 3
; VGPRBlocks: 1
; NumSGPRsForWavesPerEU: 30
; NumVGPRsForWavesPerEU: 10
; AccumOffset: 12
; Occupancy: 8
; WaveLimiterHint : 1
; COMPUTE_PGM_RSRC2:SCRATCH_EN: 0
; COMPUTE_PGM_RSRC2:USER_SGPR: 6
; COMPUTE_PGM_RSRC2:TRAP_HANDLER: 0
; COMPUTE_PGM_RSRC2:TGID_X_EN: 1
; COMPUTE_PGM_RSRC2:TGID_Y_EN: 0
; COMPUTE_PGM_RSRC2:TGID_Z_EN: 0
; COMPUTE_PGM_RSRC2:TIDIG_COMP_CNT: 0
; COMPUTE_PGM_RSRC3_GFX90A:ACCUM_OFFSET: 2
; COMPUTE_PGM_RSRC3_GFX90A:TG_SPLIT: 0
	.section	.text._ZN9rocsparseL41csrmvn_lrb_medium_rows_warp_reduce_kernelILj256ELj32EiiaaiiEEvbT1_lPT2_S3_jNS_24const_host_device_scalarIT6_EEPKS1_PKS2_PKT3_PKT4_S6_PT5_21rocsparse_index_base_b,"axG",@progbits,_ZN9rocsparseL41csrmvn_lrb_medium_rows_warp_reduce_kernelILj256ELj32EiiaaiiEEvbT1_lPT2_S3_jNS_24const_host_device_scalarIT6_EEPKS1_PKS2_PKT3_PKT4_S6_PT5_21rocsparse_index_base_b,comdat
	.globl	_ZN9rocsparseL41csrmvn_lrb_medium_rows_warp_reduce_kernelILj256ELj32EiiaaiiEEvbT1_lPT2_S3_jNS_24const_host_device_scalarIT6_EEPKS1_PKS2_PKT3_PKT4_S6_PT5_21rocsparse_index_base_b ; -- Begin function _ZN9rocsparseL41csrmvn_lrb_medium_rows_warp_reduce_kernelILj256ELj32EiiaaiiEEvbT1_lPT2_S3_jNS_24const_host_device_scalarIT6_EEPKS1_PKS2_PKT3_PKT4_S6_PT5_21rocsparse_index_base_b
	.p2align	8
	.type	_ZN9rocsparseL41csrmvn_lrb_medium_rows_warp_reduce_kernelILj256ELj32EiiaaiiEEvbT1_lPT2_S3_jNS_24const_host_device_scalarIT6_EEPKS1_PKS2_PKT3_PKT4_S6_PT5_21rocsparse_index_base_b,@function
_ZN9rocsparseL41csrmvn_lrb_medium_rows_warp_reduce_kernelILj256ELj32EiiaaiiEEvbT1_lPT2_S3_jNS_24const_host_device_scalarIT6_EEPKS1_PKS2_PKT3_PKT4_S6_PT5_21rocsparse_index_base_b: ; @_ZN9rocsparseL41csrmvn_lrb_medium_rows_warp_reduce_kernelILj256ELj32EiiaaiiEEvbT1_lPT2_S3_jNS_24const_host_device_scalarIT6_EEPKS1_PKS2_PKT3_PKT4_S6_PT5_21rocsparse_index_base_b
; %bb.0:
	s_load_dwordx2 s[12:13], s[4:5], 0x60
	s_load_dwordx2 s[8:9], s[4:5], 0x28
	s_mov_b64 s[10:11], -1
                                        ; implicit-def: $sgpr22
	s_waitcnt lgkmcnt(0)
	s_bitcmp1_b32 s13, 0
	s_cselect_b64 s[0:1], -1, 0
	s_xor_b64 s[2:3], s[0:1], -1
	s_and_b64 vcc, exec, s[2:3]
	s_cbranch_vccnz .LBB82_4
; %bb.1:
	s_load_dwordx2 s[0:1], s[4:5], 0x50
	s_andn2_b64 vcc, exec, s[10:11]
	s_cbranch_vccz .LBB82_5
.LBB82_2:
	s_and_b64 vcc, exec, s[2:3]
	s_cbranch_vccz .LBB82_6
.LBB82_3:
	s_waitcnt lgkmcnt(0)
	s_load_dword s13, s[0:1], 0x0
	s_cbranch_execz .LBB82_7
	s_branch .LBB82_8
.LBB82_4:
	s_load_dword s22, s[8:9], 0x0
	s_load_dwordx2 s[0:1], s[4:5], 0x50
	s_cbranch_execnz .LBB82_2
.LBB82_5:
	s_waitcnt lgkmcnt(0)
	s_mov_b32 s22, s8
	s_and_b64 vcc, exec, s[2:3]
	s_cbranch_vccnz .LBB82_3
.LBB82_6:
                                        ; implicit-def: $sgpr13
.LBB82_7:
	s_waitcnt lgkmcnt(0)
	s_mov_b32 s13, s0
.LBB82_8:
	s_waitcnt lgkmcnt(0)
	s_cmp_lg_u32 s22, 0
	s_cselect_b64 s[0:1], -1, 0
	s_cmp_lg_u32 s13, 1
	s_cselect_b64 s[2:3], -1, 0
	s_or_b64 s[0:1], s[0:1], s[2:3]
	s_andn2_b64 vcc, exec, s[0:1]
	s_cbranch_vccnz .LBB82_26
; %bb.9:
	s_load_dwordx2 s[0:1], s[4:5], 0x8
	v_lshrrev_b32_e32 v1, 5, v0
	v_lshl_or_b32 v2, s6, 3, v1
	v_ashrrev_i32_e32 v3, 31, v2
	s_waitcnt lgkmcnt(0)
	v_cmp_gt_i64_e32 vcc, s[0:1], v[2:3]
	s_and_saveexec_b64 s[0:1], vcc
	s_cbranch_execz .LBB82_26
; %bb.10:
	s_load_dword s6, s[4:5], 0x20
	s_load_dwordx4 s[0:3], s[4:5], 0x10
	s_mov_b32 s7, 0
	v_and_b32_e32 v10, 31, v0
	v_subrev_u32_e32 v0, s12, v10
	s_waitcnt lgkmcnt(0)
	s_lshl_b64 s[6:7], s[6:7], 2
	s_add_u32 s2, s2, s6
	s_addc_u32 s3, s3, s7
	s_load_dword s2, s[2:3], 0x0
	v_mov_b32_e32 v1, s1
	s_waitcnt lgkmcnt(0)
	v_add_u32_e32 v2, s2, v2
	v_ashrrev_i32_e32 v3, 31, v2
	v_lshlrev_b64 v[2:3], 2, v[2:3]
	v_add_co_u32_e32 v2, vcc, s0, v2
	v_addc_co_u32_e32 v3, vcc, v1, v3, vcc
	global_load_dword v2, v[2:3], off
	s_load_dwordx2 s[0:1], s[4:5], 0x30
	s_waitcnt lgkmcnt(0)
	v_mov_b32_e32 v1, s1
	s_waitcnt vmcnt(0)
	v_ashrrev_i32_e32 v3, 31, v2
	v_lshlrev_b64 v[2:3], 2, v[2:3]
	v_add_co_u32_e32 v4, vcc, s0, v2
	v_addc_co_u32_e32 v5, vcc, v1, v3, vcc
	global_load_dwordx2 v[6:7], v[4:5], off
	v_mov_b32_e32 v4, 0
	s_waitcnt vmcnt(0)
	v_subrev_u32_e32 v11, s12, v7
	v_add_u32_e32 v0, v6, v0
	v_cmp_lt_i32_e32 vcc, v0, v11
	s_and_saveexec_b64 s[6:7], vcc
	s_cbranch_execz .LBB82_22
; %bb.11:
	v_add_u32_e32 v1, v6, v10
	v_subrev_u32_e32 v1, s12, v1
	v_add_u32_e32 v1, 32, v1
	s_load_dwordx4 s[8:11], s[4:5], 0x38
	s_load_dwordx2 s[14:15], s[4:5], 0x48
	v_max_i32_e32 v1, v1, v11
	v_not_b32_e32 v4, v6
	v_add3_u32 v1, v1, s12, v4
	v_sub_u32_e32 v1, v1, v10
	s_movk_i32 s0, 0x1a0
	v_cmp_gt_u32_e32 vcc, s0, v1
	s_movk_i32 s0, 0x19f
	v_cmp_lt_u32_e64 s[0:1], s0, v1
	v_mov_b32_e32 v4, 0
	s_and_saveexec_b64 s[16:17], s[0:1]
	s_cbranch_execz .LBB82_17
; %bb.12:
	v_and_b32_e32 v4, 0xffffffe0, v1
	v_add_u32_e32 v4, v0, v4
	v_cmp_ge_i32_e64 s[0:1], v4, v0
	s_mov_b64 s[2:3], -1
	v_mov_b32_e32 v4, 0
	s_and_saveexec_b64 s[18:19], s[0:1]
	s_cbranch_execz .LBB82_16
; %bb.13:
	v_lshrrev_b32_e32 v1, 5, v1
	v_add_u32_e32 v12, 1, v1
	v_and_b32_e32 v13, 0xffffffe, v12
	v_add_u32_e32 v1, 32, v0
	s_mov_b32 s23, s22
	s_mov_b32 s24, s12
	s_mov_b64 s[20:21], 0
	v_mov_b32_e32 v4, 0
	s_waitcnt lgkmcnt(0)
	v_mov_b32_e32 v14, s11
	v_mov_b32_e32 v15, s9
	;; [unrolled: 1-line block ×4, first 2 shown]
	v_pk_mov_b32 v[8:9], v[0:1], v[0:1] op_sel:[0,1]
	v_mov_b32_e32 v6, 0
.LBB82_14:                              ; =>This Inner Loop Header: Depth=1
	v_ashrrev_i32_e32 v21, 31, v8
	v_mov_b32_e32 v20, v8
	v_lshlrev_b64 v[22:23], 2, v[20:21]
	v_ashrrev_i32_e32 v19, 31, v9
	v_mov_b32_e32 v18, v9
	v_add_co_u32_e64 v22, s[0:1], s8, v22
	v_lshlrev_b64 v[24:25], 2, v[18:19]
	v_addc_co_u32_e64 v23, s[0:1], v15, v23, s[0:1]
	v_add_co_u32_e64 v24, s[0:1], s8, v24
	v_addc_co_u32_e64 v25, s[0:1], v15, v25, s[0:1]
	global_load_dword v1, v[22:23], off
	global_load_dword v5, v[24:25], off
	v_add_co_u32_e64 v20, s[0:1], s10, v20
	v_addc_co_u32_e64 v21, s[0:1], v14, v21, s[0:1]
	v_add_co_u32_e64 v18, s[0:1], s10, v18
	v_addc_co_u32_e64 v19, s[0:1], v14, v19, s[0:1]
	global_load_sbyte v7, v[18:19], off
	global_load_sbyte v22, v[20:21], off
	v_add_u32_e32 v17, -2, v17
	v_add_u32_e32 v9, 64, v9
	v_add_u32_e32 v8, 64, v8
	s_waitcnt vmcnt(3)
	v_subrev_u32_e32 v1, s12, v1
	s_waitcnt vmcnt(2)
	v_subrev_u32_e32 v5, s24, v5
	v_ashrrev_i32_e32 v19, 31, v5
	v_add_co_u32_e64 v18, s[0:1], s14, v5
	v_ashrrev_i32_e32 v21, 31, v1
	v_add_co_u32_e64 v20, s[2:3], s14, v1
	v_addc_co_u32_e64 v19, s[0:1], v16, v19, s[0:1]
	v_addc_co_u32_e64 v21, s[2:3], v16, v21, s[2:3]
	global_load_sbyte v1, v[18:19], off
	global_load_sbyte v5, v[20:21], off
	v_cmp_eq_u32_e64 s[0:1], 0, v17
	s_waitcnt vmcnt(2)
	v_mul_lo_u32 v18, s22, v22
	v_mul_lo_u32 v7, s23, v7
	s_or_b64 s[20:21], s[0:1], s[20:21]
	s_waitcnt vmcnt(1)
	v_mad_u64_u32 v[6:7], s[0:1], v7, v1, v[6:7]
	s_waitcnt vmcnt(0)
	v_mad_u64_u32 v[4:5], s[0:1], v18, v5, v[4:5]
	s_andn2_b64 exec, exec, s[20:21]
	s_cbranch_execnz .LBB82_14
; %bb.15:
	s_or_b64 exec, exec, s[20:21]
	v_mov_b32_e32 v1, v6
	v_cmp_ne_u32_e64 s[0:1], v12, v13
	v_lshl_add_u32 v0, v13, 5, v0
	v_add_u32_e32 v4, v4, v1
	s_orn2_b64 s[2:3], s[0:1], exec
.LBB82_16:
	s_or_b64 exec, exec, s[18:19]
	s_andn2_b64 s[0:1], vcc, exec
	s_and_b64 s[2:3], s[2:3], exec
	s_or_b64 vcc, s[0:1], s[2:3]
.LBB82_17:
	s_or_b64 exec, exec, s[16:17]
	s_and_saveexec_b64 s[0:1], vcc
	s_cbranch_execz .LBB82_21
; %bb.18:
	s_mov_b64 s[2:3], 0
	s_waitcnt lgkmcnt(0)
	v_mov_b32_e32 v6, s11
	v_mov_b32_e32 v7, s9
	;; [unrolled: 1-line block ×3, first 2 shown]
.LBB82_19:                              ; =>This Inner Loop Header: Depth=1
	v_ashrrev_i32_e32 v1, 31, v0
	v_lshlrev_b64 v[12:13], 2, v[0:1]
	v_add_co_u32_e32 v12, vcc, s8, v12
	v_addc_co_u32_e32 v13, vcc, v7, v13, vcc
	global_load_dword v5, v[12:13], off
	v_add_co_u32_e32 v12, vcc, s10, v0
	v_addc_co_u32_e32 v13, vcc, v6, v1, vcc
	global_load_sbyte v1, v[12:13], off
	v_add_u32_e32 v0, 32, v0
	s_waitcnt vmcnt(1)
	v_subrev_u32_e32 v5, s12, v5
	v_ashrrev_i32_e32 v9, 31, v5
	v_add_co_u32_e32 v12, vcc, s14, v5
	v_addc_co_u32_e32 v13, vcc, v8, v9, vcc
	global_load_sbyte v5, v[12:13], off
	s_waitcnt vmcnt(1)
	v_mul_lo_u32 v1, s22, v1
	v_cmp_ge_i32_e32 vcc, v0, v11
	s_or_b64 s[2:3], vcc, s[2:3]
	s_waitcnt vmcnt(0)
	v_mad_u64_u32 v[4:5], s[16:17], v1, v5, v[4:5]
	s_andn2_b64 exec, exec, s[2:3]
	s_cbranch_execnz .LBB82_19
; %bb.20:
	s_or_b64 exec, exec, s[2:3]
.LBB82_21:
	s_or_b64 exec, exec, s[0:1]
.LBB82_22:
	s_or_b64 exec, exec, s[6:7]
	v_mov_b32_dpp v0, v4 row_shr:1 row_mask:0xf bank_mask:0xf
	v_add_u32_e32 v0, v0, v4
	v_cmp_eq_u32_e32 vcc, 31, v10
	s_nop 0
	v_mov_b32_dpp v1, v0 row_shr:2 row_mask:0xf bank_mask:0xf
	v_add_u32_e32 v0, v0, v1
	s_nop 1
	v_mov_b32_dpp v1, v0 row_shr:4 row_mask:0xf bank_mask:0xe
	v_add_u32_e32 v0, v0, v1
	;; [unrolled: 3-line block ×3, first 2 shown]
	s_nop 1
	v_mov_b32_dpp v1, v0 row_bcast:15 row_mask:0xa bank_mask:0xf
	s_and_b64 exec, exec, vcc
	s_cbranch_execz .LBB82_26
; %bb.23:
	s_load_dwordx2 s[0:1], s[4:5], 0x58
	s_cmp_eq_u32 s13, 0
	v_add_u32_e32 v0, v0, v1
	s_cbranch_scc1 .LBB82_25
; %bb.24:
	s_waitcnt lgkmcnt(0)
	v_mov_b32_e32 v1, s1
	v_add_co_u32_e32 v4, vcc, s0, v2
	v_addc_co_u32_e32 v5, vcc, v1, v3, vcc
	global_load_dword v1, v[4:5], off
	s_waitcnt vmcnt(0)
	v_mad_u64_u32 v[0:1], s[2:3], v1, s13, v[0:1]
.LBB82_25:
	s_waitcnt lgkmcnt(0)
	v_mov_b32_e32 v1, s1
	v_add_co_u32_e32 v2, vcc, s0, v2
	v_addc_co_u32_e32 v3, vcc, v1, v3, vcc
	global_store_dword v[2:3], v0, off
.LBB82_26:
	s_endpgm
	.section	.rodata,"a",@progbits
	.p2align	6, 0x0
	.amdhsa_kernel _ZN9rocsparseL41csrmvn_lrb_medium_rows_warp_reduce_kernelILj256ELj32EiiaaiiEEvbT1_lPT2_S3_jNS_24const_host_device_scalarIT6_EEPKS1_PKS2_PKT3_PKT4_S6_PT5_21rocsparse_index_base_b
		.amdhsa_group_segment_fixed_size 0
		.amdhsa_private_segment_fixed_size 0
		.amdhsa_kernarg_size 104
		.amdhsa_user_sgpr_count 6
		.amdhsa_user_sgpr_private_segment_buffer 1
		.amdhsa_user_sgpr_dispatch_ptr 0
		.amdhsa_user_sgpr_queue_ptr 0
		.amdhsa_user_sgpr_kernarg_segment_ptr 1
		.amdhsa_user_sgpr_dispatch_id 0
		.amdhsa_user_sgpr_flat_scratch_init 0
		.amdhsa_user_sgpr_kernarg_preload_length 0
		.amdhsa_user_sgpr_kernarg_preload_offset 0
		.amdhsa_user_sgpr_private_segment_size 0
		.amdhsa_uses_dynamic_stack 0
		.amdhsa_system_sgpr_private_segment_wavefront_offset 0
		.amdhsa_system_sgpr_workgroup_id_x 1
		.amdhsa_system_sgpr_workgroup_id_y 0
		.amdhsa_system_sgpr_workgroup_id_z 0
		.amdhsa_system_sgpr_workgroup_info 0
		.amdhsa_system_vgpr_workitem_id 0
		.amdhsa_next_free_vgpr 26
		.amdhsa_next_free_sgpr 25
		.amdhsa_accum_offset 28
		.amdhsa_reserve_vcc 1
		.amdhsa_reserve_flat_scratch 0
		.amdhsa_float_round_mode_32 0
		.amdhsa_float_round_mode_16_64 0
		.amdhsa_float_denorm_mode_32 3
		.amdhsa_float_denorm_mode_16_64 3
		.amdhsa_dx10_clamp 1
		.amdhsa_ieee_mode 1
		.amdhsa_fp16_overflow 0
		.amdhsa_tg_split 0
		.amdhsa_exception_fp_ieee_invalid_op 0
		.amdhsa_exception_fp_denorm_src 0
		.amdhsa_exception_fp_ieee_div_zero 0
		.amdhsa_exception_fp_ieee_overflow 0
		.amdhsa_exception_fp_ieee_underflow 0
		.amdhsa_exception_fp_ieee_inexact 0
		.amdhsa_exception_int_div_zero 0
	.end_amdhsa_kernel
	.section	.text._ZN9rocsparseL41csrmvn_lrb_medium_rows_warp_reduce_kernelILj256ELj32EiiaaiiEEvbT1_lPT2_S3_jNS_24const_host_device_scalarIT6_EEPKS1_PKS2_PKT3_PKT4_S6_PT5_21rocsparse_index_base_b,"axG",@progbits,_ZN9rocsparseL41csrmvn_lrb_medium_rows_warp_reduce_kernelILj256ELj32EiiaaiiEEvbT1_lPT2_S3_jNS_24const_host_device_scalarIT6_EEPKS1_PKS2_PKT3_PKT4_S6_PT5_21rocsparse_index_base_b,comdat
.Lfunc_end82:
	.size	_ZN9rocsparseL41csrmvn_lrb_medium_rows_warp_reduce_kernelILj256ELj32EiiaaiiEEvbT1_lPT2_S3_jNS_24const_host_device_scalarIT6_EEPKS1_PKS2_PKT3_PKT4_S6_PT5_21rocsparse_index_base_b, .Lfunc_end82-_ZN9rocsparseL41csrmvn_lrb_medium_rows_warp_reduce_kernelILj256ELj32EiiaaiiEEvbT1_lPT2_S3_jNS_24const_host_device_scalarIT6_EEPKS1_PKS2_PKT3_PKT4_S6_PT5_21rocsparse_index_base_b
                                        ; -- End function
	.section	.AMDGPU.csdata,"",@progbits
; Kernel info:
; codeLenInByte = 1208
; NumSgprs: 29
; NumVgprs: 26
; NumAgprs: 0
; TotalNumVgprs: 26
; ScratchSize: 0
; MemoryBound: 0
; FloatMode: 240
; IeeeMode: 1
; LDSByteSize: 0 bytes/workgroup (compile time only)
; SGPRBlocks: 3
; VGPRBlocks: 3
; NumSGPRsForWavesPerEU: 29
; NumVGPRsForWavesPerEU: 26
; AccumOffset: 28
; Occupancy: 8
; WaveLimiterHint : 1
; COMPUTE_PGM_RSRC2:SCRATCH_EN: 0
; COMPUTE_PGM_RSRC2:USER_SGPR: 6
; COMPUTE_PGM_RSRC2:TRAP_HANDLER: 0
; COMPUTE_PGM_RSRC2:TGID_X_EN: 1
; COMPUTE_PGM_RSRC2:TGID_Y_EN: 0
; COMPUTE_PGM_RSRC2:TGID_Z_EN: 0
; COMPUTE_PGM_RSRC2:TIDIG_COMP_CNT: 0
; COMPUTE_PGM_RSRC3_GFX90A:ACCUM_OFFSET: 6
; COMPUTE_PGM_RSRC3_GFX90A:TG_SPLIT: 0
	.section	.text._ZN9rocsparseL41csrmvn_lrb_medium_rows_warp_reduce_kernelILj256ELj64EiiaaiiEEvbT1_lPT2_S3_jNS_24const_host_device_scalarIT6_EEPKS1_PKS2_PKT3_PKT4_S6_PT5_21rocsparse_index_base_b,"axG",@progbits,_ZN9rocsparseL41csrmvn_lrb_medium_rows_warp_reduce_kernelILj256ELj64EiiaaiiEEvbT1_lPT2_S3_jNS_24const_host_device_scalarIT6_EEPKS1_PKS2_PKT3_PKT4_S6_PT5_21rocsparse_index_base_b,comdat
	.globl	_ZN9rocsparseL41csrmvn_lrb_medium_rows_warp_reduce_kernelILj256ELj64EiiaaiiEEvbT1_lPT2_S3_jNS_24const_host_device_scalarIT6_EEPKS1_PKS2_PKT3_PKT4_S6_PT5_21rocsparse_index_base_b ; -- Begin function _ZN9rocsparseL41csrmvn_lrb_medium_rows_warp_reduce_kernelILj256ELj64EiiaaiiEEvbT1_lPT2_S3_jNS_24const_host_device_scalarIT6_EEPKS1_PKS2_PKT3_PKT4_S6_PT5_21rocsparse_index_base_b
	.p2align	8
	.type	_ZN9rocsparseL41csrmvn_lrb_medium_rows_warp_reduce_kernelILj256ELj64EiiaaiiEEvbT1_lPT2_S3_jNS_24const_host_device_scalarIT6_EEPKS1_PKS2_PKT3_PKT4_S6_PT5_21rocsparse_index_base_b,@function
_ZN9rocsparseL41csrmvn_lrb_medium_rows_warp_reduce_kernelILj256ELj64EiiaaiiEEvbT1_lPT2_S3_jNS_24const_host_device_scalarIT6_EEPKS1_PKS2_PKT3_PKT4_S6_PT5_21rocsparse_index_base_b: ; @_ZN9rocsparseL41csrmvn_lrb_medium_rows_warp_reduce_kernelILj256ELj64EiiaaiiEEvbT1_lPT2_S3_jNS_24const_host_device_scalarIT6_EEPKS1_PKS2_PKT3_PKT4_S6_PT5_21rocsparse_index_base_b
; %bb.0:
	s_load_dwordx2 s[12:13], s[4:5], 0x60
	s_load_dwordx2 s[8:9], s[4:5], 0x28
	s_mov_b64 s[10:11], -1
                                        ; implicit-def: $sgpr22
	s_waitcnt lgkmcnt(0)
	s_bitcmp1_b32 s13, 0
	s_cselect_b64 s[0:1], -1, 0
	s_xor_b64 s[2:3], s[0:1], -1
	s_and_b64 vcc, exec, s[2:3]
	s_cbranch_vccnz .LBB83_4
; %bb.1:
	s_load_dwordx2 s[0:1], s[4:5], 0x50
	s_andn2_b64 vcc, exec, s[10:11]
	s_cbranch_vccz .LBB83_5
.LBB83_2:
	s_and_b64 vcc, exec, s[2:3]
	s_cbranch_vccz .LBB83_6
.LBB83_3:
	s_waitcnt lgkmcnt(0)
	s_load_dword s13, s[0:1], 0x0
	s_cbranch_execz .LBB83_7
	s_branch .LBB83_8
.LBB83_4:
	s_load_dword s22, s[8:9], 0x0
	s_load_dwordx2 s[0:1], s[4:5], 0x50
	s_cbranch_execnz .LBB83_2
.LBB83_5:
	s_waitcnt lgkmcnt(0)
	s_mov_b32 s22, s8
	s_and_b64 vcc, exec, s[2:3]
	s_cbranch_vccnz .LBB83_3
.LBB83_6:
                                        ; implicit-def: $sgpr13
.LBB83_7:
	s_waitcnt lgkmcnt(0)
	s_mov_b32 s13, s0
.LBB83_8:
	s_waitcnt lgkmcnt(0)
	s_cmp_lg_u32 s22, 0
	s_cselect_b64 s[0:1], -1, 0
	s_cmp_lg_u32 s13, 1
	s_cselect_b64 s[2:3], -1, 0
	s_or_b64 s[0:1], s[0:1], s[2:3]
	s_andn2_b64 vcc, exec, s[0:1]
	s_cbranch_vccnz .LBB83_26
; %bb.9:
	s_load_dwordx2 s[0:1], s[4:5], 0x8
	v_lshrrev_b32_e32 v1, 6, v0
	v_lshl_or_b32 v2, s6, 2, v1
	v_ashrrev_i32_e32 v3, 31, v2
	s_waitcnt lgkmcnt(0)
	v_cmp_gt_i64_e32 vcc, s[0:1], v[2:3]
	s_and_saveexec_b64 s[0:1], vcc
	s_cbranch_execz .LBB83_26
; %bb.10:
	s_load_dword s6, s[4:5], 0x20
	s_load_dwordx4 s[0:3], s[4:5], 0x10
	s_mov_b32 s7, 0
	v_and_b32_e32 v10, 63, v0
	v_subrev_u32_e32 v0, s12, v10
	s_waitcnt lgkmcnt(0)
	s_lshl_b64 s[6:7], s[6:7], 2
	s_add_u32 s2, s2, s6
	s_addc_u32 s3, s3, s7
	s_load_dword s2, s[2:3], 0x0
	v_mov_b32_e32 v1, s1
	s_waitcnt lgkmcnt(0)
	v_add_u32_e32 v2, s2, v2
	v_ashrrev_i32_e32 v3, 31, v2
	v_lshlrev_b64 v[2:3], 2, v[2:3]
	v_add_co_u32_e32 v2, vcc, s0, v2
	v_addc_co_u32_e32 v3, vcc, v1, v3, vcc
	global_load_dword v2, v[2:3], off
	s_load_dwordx2 s[0:1], s[4:5], 0x30
	s_waitcnt lgkmcnt(0)
	v_mov_b32_e32 v1, s1
	s_waitcnt vmcnt(0)
	v_ashrrev_i32_e32 v3, 31, v2
	v_lshlrev_b64 v[2:3], 2, v[2:3]
	v_add_co_u32_e32 v4, vcc, s0, v2
	v_addc_co_u32_e32 v5, vcc, v1, v3, vcc
	global_load_dwordx2 v[6:7], v[4:5], off
	v_mov_b32_e32 v4, 0
	s_waitcnt vmcnt(0)
	v_subrev_u32_e32 v11, s12, v7
	v_add_u32_e32 v0, v6, v0
	v_cmp_lt_i32_e32 vcc, v0, v11
	s_and_saveexec_b64 s[6:7], vcc
	s_cbranch_execz .LBB83_22
; %bb.11:
	v_add_u32_e32 v1, v6, v10
	v_subrev_u32_e32 v1, s12, v1
	v_add_u32_e32 v1, 64, v1
	s_load_dwordx4 s[8:11], s[4:5], 0x38
	s_load_dwordx2 s[14:15], s[4:5], 0x48
	v_max_i32_e32 v1, v1, v11
	v_not_b32_e32 v4, v6
	v_add3_u32 v1, v1, s12, v4
	v_sub_u32_e32 v1, v1, v10
	s_movk_i32 s0, 0x340
	v_cmp_gt_u32_e32 vcc, s0, v1
	s_movk_i32 s0, 0x33f
	v_cmp_lt_u32_e64 s[0:1], s0, v1
	v_mov_b32_e32 v4, 0
	s_and_saveexec_b64 s[16:17], s[0:1]
	s_cbranch_execz .LBB83_17
; %bb.12:
	v_and_b32_e32 v4, 0xffffffc0, v1
	v_add_u32_e32 v4, v0, v4
	v_cmp_ge_i32_e64 s[0:1], v4, v0
	s_mov_b64 s[2:3], -1
	v_mov_b32_e32 v4, 0
	s_and_saveexec_b64 s[18:19], s[0:1]
	s_cbranch_execz .LBB83_16
; %bb.13:
	v_lshrrev_b32_e32 v1, 6, v1
	v_add_u32_e32 v12, 1, v1
	v_and_b32_e32 v13, 0x7fffffe, v12
	v_add_u32_e32 v1, 64, v0
	s_mov_b32 s23, s22
	s_mov_b32 s24, s12
	s_mov_b64 s[20:21], 0
	v_mov_b32_e32 v4, 0
	s_waitcnt lgkmcnt(0)
	v_mov_b32_e32 v14, s11
	v_mov_b32_e32 v15, s9
	;; [unrolled: 1-line block ×4, first 2 shown]
	v_pk_mov_b32 v[8:9], v[0:1], v[0:1] op_sel:[0,1]
	v_mov_b32_e32 v6, 0
.LBB83_14:                              ; =>This Inner Loop Header: Depth=1
	v_ashrrev_i32_e32 v21, 31, v8
	v_mov_b32_e32 v20, v8
	v_lshlrev_b64 v[22:23], 2, v[20:21]
	v_ashrrev_i32_e32 v19, 31, v9
	v_mov_b32_e32 v18, v9
	v_add_co_u32_e64 v22, s[0:1], s8, v22
	v_lshlrev_b64 v[24:25], 2, v[18:19]
	v_addc_co_u32_e64 v23, s[0:1], v15, v23, s[0:1]
	v_add_co_u32_e64 v24, s[0:1], s8, v24
	v_addc_co_u32_e64 v25, s[0:1], v15, v25, s[0:1]
	global_load_dword v1, v[22:23], off
	global_load_dword v5, v[24:25], off
	v_add_co_u32_e64 v20, s[0:1], s10, v20
	v_addc_co_u32_e64 v21, s[0:1], v14, v21, s[0:1]
	v_add_co_u32_e64 v18, s[0:1], s10, v18
	v_addc_co_u32_e64 v19, s[0:1], v14, v19, s[0:1]
	global_load_sbyte v7, v[18:19], off
	global_load_sbyte v22, v[20:21], off
	v_add_u32_e32 v17, -2, v17
	v_add_u32_e32 v9, 0x80, v9
	v_add_u32_e32 v8, 0x80, v8
	s_waitcnt vmcnt(3)
	v_subrev_u32_e32 v1, s12, v1
	s_waitcnt vmcnt(2)
	v_subrev_u32_e32 v5, s24, v5
	v_ashrrev_i32_e32 v19, 31, v5
	v_add_co_u32_e64 v18, s[0:1], s14, v5
	v_ashrrev_i32_e32 v21, 31, v1
	v_add_co_u32_e64 v20, s[2:3], s14, v1
	v_addc_co_u32_e64 v19, s[0:1], v16, v19, s[0:1]
	v_addc_co_u32_e64 v21, s[2:3], v16, v21, s[2:3]
	global_load_sbyte v1, v[18:19], off
	global_load_sbyte v5, v[20:21], off
	v_cmp_eq_u32_e64 s[0:1], 0, v17
	s_waitcnt vmcnt(2)
	v_mul_lo_u32 v18, s22, v22
	v_mul_lo_u32 v7, s23, v7
	s_or_b64 s[20:21], s[0:1], s[20:21]
	s_waitcnt vmcnt(1)
	v_mad_u64_u32 v[6:7], s[0:1], v7, v1, v[6:7]
	s_waitcnt vmcnt(0)
	v_mad_u64_u32 v[4:5], s[0:1], v18, v5, v[4:5]
	s_andn2_b64 exec, exec, s[20:21]
	s_cbranch_execnz .LBB83_14
; %bb.15:
	s_or_b64 exec, exec, s[20:21]
	v_mov_b32_e32 v1, v6
	v_cmp_ne_u32_e64 s[0:1], v12, v13
	v_lshl_add_u32 v0, v13, 6, v0
	v_add_u32_e32 v4, v4, v1
	s_orn2_b64 s[2:3], s[0:1], exec
.LBB83_16:
	s_or_b64 exec, exec, s[18:19]
	s_andn2_b64 s[0:1], vcc, exec
	s_and_b64 s[2:3], s[2:3], exec
	s_or_b64 vcc, s[0:1], s[2:3]
.LBB83_17:
	s_or_b64 exec, exec, s[16:17]
	s_and_saveexec_b64 s[0:1], vcc
	s_cbranch_execz .LBB83_21
; %bb.18:
	s_mov_b64 s[2:3], 0
	s_waitcnt lgkmcnt(0)
	v_mov_b32_e32 v6, s11
	v_mov_b32_e32 v7, s9
	;; [unrolled: 1-line block ×3, first 2 shown]
.LBB83_19:                              ; =>This Inner Loop Header: Depth=1
	v_ashrrev_i32_e32 v1, 31, v0
	v_lshlrev_b64 v[12:13], 2, v[0:1]
	v_add_co_u32_e32 v12, vcc, s8, v12
	v_addc_co_u32_e32 v13, vcc, v7, v13, vcc
	global_load_dword v5, v[12:13], off
	v_add_co_u32_e32 v12, vcc, s10, v0
	v_addc_co_u32_e32 v13, vcc, v6, v1, vcc
	global_load_sbyte v1, v[12:13], off
	v_add_u32_e32 v0, 64, v0
	s_waitcnt vmcnt(1)
	v_subrev_u32_e32 v5, s12, v5
	v_ashrrev_i32_e32 v9, 31, v5
	v_add_co_u32_e32 v12, vcc, s14, v5
	v_addc_co_u32_e32 v13, vcc, v8, v9, vcc
	global_load_sbyte v5, v[12:13], off
	s_waitcnt vmcnt(1)
	v_mul_lo_u32 v1, s22, v1
	v_cmp_ge_i32_e32 vcc, v0, v11
	s_or_b64 s[2:3], vcc, s[2:3]
	s_waitcnt vmcnt(0)
	v_mad_u64_u32 v[4:5], s[16:17], v1, v5, v[4:5]
	s_andn2_b64 exec, exec, s[2:3]
	s_cbranch_execnz .LBB83_19
; %bb.20:
	s_or_b64 exec, exec, s[2:3]
.LBB83_21:
	s_or_b64 exec, exec, s[0:1]
.LBB83_22:
	s_or_b64 exec, exec, s[6:7]
	v_mov_b32_dpp v0, v4 row_shr:1 row_mask:0xf bank_mask:0xf
	v_add_u32_e32 v0, v0, v4
	v_cmp_eq_u32_e32 vcc, 63, v10
	s_nop 0
	v_mov_b32_dpp v1, v0 row_shr:2 row_mask:0xf bank_mask:0xf
	v_add_u32_e32 v0, v0, v1
	s_nop 1
	v_mov_b32_dpp v1, v0 row_shr:4 row_mask:0xf bank_mask:0xe
	v_add_u32_e32 v0, v0, v1
	;; [unrolled: 3-line block ×3, first 2 shown]
	s_nop 1
	v_mov_b32_dpp v1, v0 row_bcast:15 row_mask:0xa bank_mask:0xf
	v_add_u32_e32 v0, v0, v1
	s_nop 1
	v_mov_b32_dpp v1, v0 row_bcast:31 row_mask:0xc bank_mask:0xf
	s_and_b64 exec, exec, vcc
	s_cbranch_execz .LBB83_26
; %bb.23:
	s_load_dwordx2 s[0:1], s[4:5], 0x58
	s_cmp_eq_u32 s13, 0
	v_add_u32_e32 v0, v0, v1
	s_cbranch_scc1 .LBB83_25
; %bb.24:
	s_waitcnt lgkmcnt(0)
	v_mov_b32_e32 v1, s1
	v_add_co_u32_e32 v4, vcc, s0, v2
	v_addc_co_u32_e32 v5, vcc, v1, v3, vcc
	global_load_dword v1, v[4:5], off
	s_waitcnt vmcnt(0)
	v_mad_u64_u32 v[0:1], s[2:3], v1, s13, v[0:1]
.LBB83_25:
	s_waitcnt lgkmcnt(0)
	v_mov_b32_e32 v1, s1
	v_add_co_u32_e32 v2, vcc, s0, v2
	v_addc_co_u32_e32 v3, vcc, v1, v3, vcc
	global_store_dword v[2:3], v0, off
.LBB83_26:
	s_endpgm
	.section	.rodata,"a",@progbits
	.p2align	6, 0x0
	.amdhsa_kernel _ZN9rocsparseL41csrmvn_lrb_medium_rows_warp_reduce_kernelILj256ELj64EiiaaiiEEvbT1_lPT2_S3_jNS_24const_host_device_scalarIT6_EEPKS1_PKS2_PKT3_PKT4_S6_PT5_21rocsparse_index_base_b
		.amdhsa_group_segment_fixed_size 0
		.amdhsa_private_segment_fixed_size 0
		.amdhsa_kernarg_size 104
		.amdhsa_user_sgpr_count 6
		.amdhsa_user_sgpr_private_segment_buffer 1
		.amdhsa_user_sgpr_dispatch_ptr 0
		.amdhsa_user_sgpr_queue_ptr 0
		.amdhsa_user_sgpr_kernarg_segment_ptr 1
		.amdhsa_user_sgpr_dispatch_id 0
		.amdhsa_user_sgpr_flat_scratch_init 0
		.amdhsa_user_sgpr_kernarg_preload_length 0
		.amdhsa_user_sgpr_kernarg_preload_offset 0
		.amdhsa_user_sgpr_private_segment_size 0
		.amdhsa_uses_dynamic_stack 0
		.amdhsa_system_sgpr_private_segment_wavefront_offset 0
		.amdhsa_system_sgpr_workgroup_id_x 1
		.amdhsa_system_sgpr_workgroup_id_y 0
		.amdhsa_system_sgpr_workgroup_id_z 0
		.amdhsa_system_sgpr_workgroup_info 0
		.amdhsa_system_vgpr_workitem_id 0
		.amdhsa_next_free_vgpr 26
		.amdhsa_next_free_sgpr 25
		.amdhsa_accum_offset 28
		.amdhsa_reserve_vcc 1
		.amdhsa_reserve_flat_scratch 0
		.amdhsa_float_round_mode_32 0
		.amdhsa_float_round_mode_16_64 0
		.amdhsa_float_denorm_mode_32 3
		.amdhsa_float_denorm_mode_16_64 3
		.amdhsa_dx10_clamp 1
		.amdhsa_ieee_mode 1
		.amdhsa_fp16_overflow 0
		.amdhsa_tg_split 0
		.amdhsa_exception_fp_ieee_invalid_op 0
		.amdhsa_exception_fp_denorm_src 0
		.amdhsa_exception_fp_ieee_div_zero 0
		.amdhsa_exception_fp_ieee_overflow 0
		.amdhsa_exception_fp_ieee_underflow 0
		.amdhsa_exception_fp_ieee_inexact 0
		.amdhsa_exception_int_div_zero 0
	.end_amdhsa_kernel
	.section	.text._ZN9rocsparseL41csrmvn_lrb_medium_rows_warp_reduce_kernelILj256ELj64EiiaaiiEEvbT1_lPT2_S3_jNS_24const_host_device_scalarIT6_EEPKS1_PKS2_PKT3_PKT4_S6_PT5_21rocsparse_index_base_b,"axG",@progbits,_ZN9rocsparseL41csrmvn_lrb_medium_rows_warp_reduce_kernelILj256ELj64EiiaaiiEEvbT1_lPT2_S3_jNS_24const_host_device_scalarIT6_EEPKS1_PKS2_PKT3_PKT4_S6_PT5_21rocsparse_index_base_b,comdat
.Lfunc_end83:
	.size	_ZN9rocsparseL41csrmvn_lrb_medium_rows_warp_reduce_kernelILj256ELj64EiiaaiiEEvbT1_lPT2_S3_jNS_24const_host_device_scalarIT6_EEPKS1_PKS2_PKT3_PKT4_S6_PT5_21rocsparse_index_base_b, .Lfunc_end83-_ZN9rocsparseL41csrmvn_lrb_medium_rows_warp_reduce_kernelILj256ELj64EiiaaiiEEvbT1_lPT2_S3_jNS_24const_host_device_scalarIT6_EEPKS1_PKS2_PKT3_PKT4_S6_PT5_21rocsparse_index_base_b
                                        ; -- End function
	.section	.AMDGPU.csdata,"",@progbits
; Kernel info:
; codeLenInByte = 1232
; NumSgprs: 29
; NumVgprs: 26
; NumAgprs: 0
; TotalNumVgprs: 26
; ScratchSize: 0
; MemoryBound: 0
; FloatMode: 240
; IeeeMode: 1
; LDSByteSize: 0 bytes/workgroup (compile time only)
; SGPRBlocks: 3
; VGPRBlocks: 3
; NumSGPRsForWavesPerEU: 29
; NumVGPRsForWavesPerEU: 26
; AccumOffset: 28
; Occupancy: 8
; WaveLimiterHint : 1
; COMPUTE_PGM_RSRC2:SCRATCH_EN: 0
; COMPUTE_PGM_RSRC2:USER_SGPR: 6
; COMPUTE_PGM_RSRC2:TRAP_HANDLER: 0
; COMPUTE_PGM_RSRC2:TGID_X_EN: 1
; COMPUTE_PGM_RSRC2:TGID_Y_EN: 0
; COMPUTE_PGM_RSRC2:TGID_Z_EN: 0
; COMPUTE_PGM_RSRC2:TIDIG_COMP_CNT: 0
; COMPUTE_PGM_RSRC3_GFX90A:ACCUM_OFFSET: 6
; COMPUTE_PGM_RSRC3_GFX90A:TG_SPLIT: 0
	.section	.text._ZN9rocsparseL29csrmvn_lrb_medium_rows_kernelILj256EiiaaiiEEvbT0_PT1_S3_jNS_24const_host_device_scalarIT5_EEPKS1_PKS2_PKT2_PKT3_S6_PT4_21rocsparse_index_base_b,"axG",@progbits,_ZN9rocsparseL29csrmvn_lrb_medium_rows_kernelILj256EiiaaiiEEvbT0_PT1_S3_jNS_24const_host_device_scalarIT5_EEPKS1_PKS2_PKT2_PKT3_S6_PT4_21rocsparse_index_base_b,comdat
	.globl	_ZN9rocsparseL29csrmvn_lrb_medium_rows_kernelILj256EiiaaiiEEvbT0_PT1_S3_jNS_24const_host_device_scalarIT5_EEPKS1_PKS2_PKT2_PKT3_S6_PT4_21rocsparse_index_base_b ; -- Begin function _ZN9rocsparseL29csrmvn_lrb_medium_rows_kernelILj256EiiaaiiEEvbT0_PT1_S3_jNS_24const_host_device_scalarIT5_EEPKS1_PKS2_PKT2_PKT3_S6_PT4_21rocsparse_index_base_b
	.p2align	8
	.type	_ZN9rocsparseL29csrmvn_lrb_medium_rows_kernelILj256EiiaaiiEEvbT0_PT1_S3_jNS_24const_host_device_scalarIT5_EEPKS1_PKS2_PKT2_PKT3_S6_PT4_21rocsparse_index_base_b,@function
_ZN9rocsparseL29csrmvn_lrb_medium_rows_kernelILj256EiiaaiiEEvbT0_PT1_S3_jNS_24const_host_device_scalarIT5_EEPKS1_PKS2_PKT2_PKT3_S6_PT4_21rocsparse_index_base_b: ; @_ZN9rocsparseL29csrmvn_lrb_medium_rows_kernelILj256EiiaaiiEEvbT0_PT1_S3_jNS_24const_host_device_scalarIT5_EEPKS1_PKS2_PKT2_PKT3_S6_PT4_21rocsparse_index_base_b
; %bb.0:
	s_load_dwordx2 s[12:13], s[4:5], 0x58
	s_load_dwordx2 s[8:9], s[4:5], 0x20
	s_mov_b64 s[10:11], -1
                                        ; implicit-def: $sgpr24
	s_waitcnt lgkmcnt(0)
	s_bitcmp1_b32 s13, 0
	s_cselect_b64 s[0:1], -1, 0
	s_xor_b64 s[2:3], s[0:1], -1
	s_and_b64 vcc, exec, s[2:3]
	s_cbranch_vccnz .LBB84_4
; %bb.1:
	s_load_dwordx2 s[0:1], s[4:5], 0x48
	s_andn2_b64 vcc, exec, s[10:11]
	s_cbranch_vccz .LBB84_5
.LBB84_2:
	s_and_b64 vcc, exec, s[2:3]
	s_cbranch_vccz .LBB84_6
.LBB84_3:
	s_waitcnt lgkmcnt(0)
	s_load_dword s13, s[0:1], 0x0
	s_cbranch_execz .LBB84_7
	s_branch .LBB84_8
.LBB84_4:
	s_load_dword s24, s[8:9], 0x0
	s_load_dwordx2 s[0:1], s[4:5], 0x48
	s_cbranch_execnz .LBB84_2
.LBB84_5:
	s_waitcnt lgkmcnt(0)
	s_mov_b32 s24, s8
	s_and_b64 vcc, exec, s[2:3]
	s_cbranch_vccnz .LBB84_3
.LBB84_6:
                                        ; implicit-def: $sgpr13
.LBB84_7:
	s_waitcnt lgkmcnt(0)
	s_mov_b32 s13, s0
.LBB84_8:
	s_waitcnt lgkmcnt(0)
	s_cmp_lg_u32 s24, 0
	s_cselect_b64 s[0:1], -1, 0
	s_cmp_lg_u32 s13, 1
	s_cselect_b64 s[2:3], -1, 0
	s_or_b64 s[0:1], s[0:1], s[2:3]
	s_andn2_b64 vcc, exec, s[0:1]
	s_mov_b32 s1, 0
	s_cbranch_vccnz .LBB84_41
; %bb.9:
	s_load_dword s0, s[4:5], 0x18
	s_load_dwordx4 s[8:11], s[4:5], 0x8
	v_subrev_u32_e32 v1, s12, v0
	v_mov_b32_e32 v4, 0
	s_waitcnt lgkmcnt(0)
	s_lshl_b64 s[0:1], s[0:1], 2
	s_add_u32 s0, s10, s0
	s_addc_u32 s1, s11, s1
	s_load_dword s0, s[0:1], 0x0
	s_waitcnt lgkmcnt(0)
	s_add_i32 s0, s0, s6
	s_ashr_i32 s1, s0, 31
	s_lshl_b64 s[0:1], s[0:1], 2
	s_add_u32 s0, s8, s0
	s_addc_u32 s1, s9, s1
	s_load_dword s2, s[0:1], 0x0
	s_load_dwordx2 s[8:9], s[4:5], 0x28
	s_waitcnt lgkmcnt(0)
	s_ashr_i32 s3, s2, 31
	s_lshl_b64 s[6:7], s[2:3], 2
	s_add_u32 s0, s8, s6
	s_addc_u32 s1, s9, s7
	s_load_dwordx2 s[0:1], s[0:1], 0x0
	s_waitcnt lgkmcnt(0)
	s_sub_i32 s25, s1, s12
	v_add_u32_e32 v2, s0, v1
	v_cmp_gt_i32_e32 vcc, s25, v2
	s_and_saveexec_b64 s[14:15], vcc
	s_cbranch_execz .LBB84_21
; %bb.10:
	v_add_u32_e32 v1, s0, v0
	v_subrev_u32_e32 v1, s12, v1
	v_add_u32_e32 v1, 0x100, v1
	s_load_dwordx4 s[8:11], s[4:5], 0x30
	s_load_dwordx2 s[16:17], s[4:5], 0x40
	v_max_i32_e32 v1, s25, v1
	v_not_b32_e32 v3, v0
	v_add3_u32 v1, v1, s12, v3
	v_subrev_u32_e32 v1, s0, v1
	s_movk_i32 s0, 0xd00
	v_cmp_gt_u32_e32 vcc, s0, v1
	s_movk_i32 s0, 0xcff
	v_cmp_lt_u32_e64 s[0:1], s0, v1
	v_mov_b32_e32 v4, 0
	s_and_saveexec_b64 s[18:19], s[0:1]
	s_cbranch_execz .LBB84_16
; %bb.11:
	v_and_b32_e32 v3, 0xffffff00, v1
	v_add_u32_e32 v3, v2, v3
	v_cmp_ge_i32_e64 s[0:1], v3, v2
	s_mov_b64 s[2:3], -1
	v_mov_b32_e32 v4, 0
	s_and_saveexec_b64 s[20:21], s[0:1]
	s_cbranch_execz .LBB84_15
; %bb.12:
	v_lshrrev_b32_e32 v1, 8, v1
	v_add_u32_e32 v1, 1, v1
	v_and_b32_e32 v10, 0x1fffffe, v1
	v_add_u32_e32 v3, 0x100, v2
	s_mov_b32 s26, s24
	s_mov_b32 s27, s12
	s_mov_b64 s[22:23], 0
	v_mov_b32_e32 v4, 0
	s_waitcnt lgkmcnt(0)
	v_mov_b32_e32 v11, s11
	v_mov_b32_e32 v12, s9
	;; [unrolled: 1-line block ×4, first 2 shown]
	v_pk_mov_b32 v[8:9], v[2:3], v[2:3] op_sel:[0,1]
	v_mov_b32_e32 v6, 0
.LBB84_13:                              ; =>This Inner Loop Header: Depth=1
	v_ashrrev_i32_e32 v19, 31, v8
	v_mov_b32_e32 v18, v8
	v_lshlrev_b64 v[20:21], 2, v[18:19]
	v_ashrrev_i32_e32 v17, 31, v9
	v_mov_b32_e32 v16, v9
	v_add_co_u32_e64 v20, s[0:1], s8, v20
	v_lshlrev_b64 v[22:23], 2, v[16:17]
	v_addc_co_u32_e64 v21, s[0:1], v12, v21, s[0:1]
	v_add_co_u32_e64 v22, s[0:1], s8, v22
	v_addc_co_u32_e64 v23, s[0:1], v12, v23, s[0:1]
	global_load_dword v3, v[20:21], off
	global_load_dword v5, v[22:23], off
	v_add_co_u32_e64 v18, s[0:1], s10, v18
	v_addc_co_u32_e64 v19, s[0:1], v11, v19, s[0:1]
	v_add_co_u32_e64 v16, s[0:1], s10, v16
	v_addc_co_u32_e64 v17, s[0:1], v11, v17, s[0:1]
	global_load_sbyte v7, v[16:17], off
	global_load_sbyte v15, v[18:19], off
	v_add_u32_e32 v14, -2, v14
	v_add_u32_e32 v9, 0x200, v9
	v_add_u32_e32 v8, 0x200, v8
	s_waitcnt vmcnt(3)
	v_subrev_u32_e32 v3, s12, v3
	s_waitcnt vmcnt(2)
	v_subrev_u32_e32 v5, s27, v5
	v_ashrrev_i32_e32 v17, 31, v5
	v_add_co_u32_e64 v16, s[0:1], s16, v5
	v_ashrrev_i32_e32 v19, 31, v3
	v_add_co_u32_e64 v18, s[2:3], s16, v3
	v_addc_co_u32_e64 v17, s[0:1], v13, v17, s[0:1]
	v_addc_co_u32_e64 v19, s[2:3], v13, v19, s[2:3]
	global_load_sbyte v3, v[16:17], off
	global_load_sbyte v5, v[18:19], off
	v_cmp_eq_u32_e64 s[0:1], 0, v14
	s_waitcnt vmcnt(2)
	v_mul_lo_u32 v15, s24, v15
	v_mul_lo_u32 v7, s26, v7
	s_or_b64 s[22:23], s[0:1], s[22:23]
	s_waitcnt vmcnt(1)
	v_mad_u64_u32 v[6:7], s[0:1], v7, v3, v[6:7]
	s_waitcnt vmcnt(0)
	v_mad_u64_u32 v[4:5], s[0:1], v15, v5, v[4:5]
	s_andn2_b64 exec, exec, s[22:23]
	s_cbranch_execnz .LBB84_13
; %bb.14:
	s_or_b64 exec, exec, s[22:23]
	v_mov_b32_e32 v3, v6
	v_cmp_ne_u32_e64 s[0:1], v1, v10
	v_lshl_add_u32 v2, v10, 8, v2
	v_add_u32_e32 v4, v4, v3
	s_orn2_b64 s[2:3], s[0:1], exec
.LBB84_15:
	s_or_b64 exec, exec, s[20:21]
	s_andn2_b64 s[0:1], vcc, exec
	s_and_b64 s[2:3], s[2:3], exec
	s_or_b64 vcc, s[0:1], s[2:3]
.LBB84_16:
	s_or_b64 exec, exec, s[18:19]
	s_and_saveexec_b64 s[0:1], vcc
	s_cbranch_execz .LBB84_20
; %bb.17:
	s_mov_b64 s[2:3], 0
	s_waitcnt lgkmcnt(0)
	v_mov_b32_e32 v1, s11
	v_mov_b32_e32 v6, s9
	;; [unrolled: 1-line block ×3, first 2 shown]
.LBB84_18:                              ; =>This Inner Loop Header: Depth=1
	v_ashrrev_i32_e32 v3, 31, v2
	v_lshlrev_b64 v[8:9], 2, v[2:3]
	v_add_co_u32_e32 v8, vcc, s8, v8
	v_addc_co_u32_e32 v9, vcc, v6, v9, vcc
	global_load_dword v5, v[8:9], off
	v_add_co_u32_e32 v8, vcc, s10, v2
	v_addc_co_u32_e32 v9, vcc, v1, v3, vcc
	global_load_sbyte v3, v[8:9], off
	v_add_u32_e32 v2, 0x100, v2
	s_waitcnt vmcnt(1)
	v_subrev_u32_e32 v5, s12, v5
	v_ashrrev_i32_e32 v9, 31, v5
	v_add_co_u32_e32 v8, vcc, s16, v5
	v_addc_co_u32_e32 v9, vcc, v7, v9, vcc
	global_load_sbyte v5, v[8:9], off
	s_waitcnt vmcnt(1)
	v_mul_lo_u32 v3, s24, v3
	v_cmp_le_i32_e32 vcc, s25, v2
	s_or_b64 s[2:3], vcc, s[2:3]
	s_waitcnt vmcnt(0)
	v_mad_u64_u32 v[4:5], s[18:19], v3, v5, v[4:5]
	s_andn2_b64 exec, exec, s[2:3]
	s_cbranch_execnz .LBB84_18
; %bb.19:
	s_or_b64 exec, exec, s[2:3]
.LBB84_20:
	s_or_b64 exec, exec, s[0:1]
.LBB84_21:
	s_or_b64 exec, exec, s[14:15]
	s_movk_i32 s0, 0x80
	v_lshlrev_b32_e32 v1, 2, v0
	v_cmp_gt_u32_e32 vcc, s0, v0
	ds_write_b32 v1, v4
	s_waitcnt lgkmcnt(0)
	s_barrier
	s_and_saveexec_b64 s[0:1], vcc
	s_cbranch_execz .LBB84_23
; %bb.22:
	ds_read2st64_b32 v[2:3], v1 offset1:2
	s_waitcnt lgkmcnt(0)
	v_add_u32_e32 v2, v3, v2
	ds_write_b32 v1, v2
.LBB84_23:
	s_or_b64 exec, exec, s[0:1]
	v_cmp_gt_u32_e32 vcc, 64, v0
	s_waitcnt lgkmcnt(0)
	s_barrier
	s_and_saveexec_b64 s[0:1], vcc
	s_cbranch_execz .LBB84_25
; %bb.24:
	ds_read2st64_b32 v[2:3], v1 offset1:1
	s_waitcnt lgkmcnt(0)
	v_add_u32_e32 v2, v3, v2
	ds_write_b32 v1, v2
.LBB84_25:
	s_or_b64 exec, exec, s[0:1]
	v_cmp_gt_u32_e32 vcc, 32, v0
	s_waitcnt lgkmcnt(0)
	s_barrier
	s_and_saveexec_b64 s[0:1], vcc
	s_cbranch_execz .LBB84_27
; %bb.26:
	ds_read2_b32 v[2:3], v1 offset1:32
	s_waitcnt lgkmcnt(0)
	v_add_u32_e32 v2, v3, v2
	ds_write_b32 v1, v2
.LBB84_27:
	s_or_b64 exec, exec, s[0:1]
	v_cmp_gt_u32_e32 vcc, 16, v0
	s_waitcnt lgkmcnt(0)
	s_barrier
	s_and_saveexec_b64 s[0:1], vcc
	s_cbranch_execz .LBB84_29
; %bb.28:
	ds_read2_b32 v[2:3], v1 offset1:16
	s_waitcnt lgkmcnt(0)
	v_add_u32_e32 v2, v3, v2
	ds_write_b32 v1, v2
.LBB84_29:
	s_or_b64 exec, exec, s[0:1]
	v_cmp_gt_u32_e32 vcc, 8, v0
	s_waitcnt lgkmcnt(0)
	s_barrier
	s_and_saveexec_b64 s[0:1], vcc
	s_cbranch_execz .LBB84_31
; %bb.30:
	ds_read2_b32 v[2:3], v1 offset1:8
	s_waitcnt lgkmcnt(0)
	v_add_u32_e32 v2, v3, v2
	ds_write_b32 v1, v2
.LBB84_31:
	s_or_b64 exec, exec, s[0:1]
	v_cmp_gt_u32_e32 vcc, 4, v0
	s_waitcnt lgkmcnt(0)
	s_barrier
	s_and_saveexec_b64 s[0:1], vcc
	s_cbranch_execz .LBB84_33
; %bb.32:
	ds_read2_b32 v[2:3], v1 offset1:4
	s_waitcnt lgkmcnt(0)
	v_add_u32_e32 v2, v3, v2
	ds_write_b32 v1, v2
.LBB84_33:
	s_or_b64 exec, exec, s[0:1]
	v_cmp_gt_u32_e32 vcc, 2, v0
	s_waitcnt lgkmcnt(0)
	s_barrier
	s_and_saveexec_b64 s[0:1], vcc
	s_cbranch_execz .LBB84_35
; %bb.34:
	ds_read2_b32 v[2:3], v1 offset1:2
	s_waitcnt lgkmcnt(0)
	v_add_u32_e32 v2, v3, v2
	ds_write_b32 v1, v2
.LBB84_35:
	s_or_b64 exec, exec, s[0:1]
	v_cmp_eq_u32_e32 vcc, 0, v0
	s_waitcnt lgkmcnt(0)
	s_barrier
	s_and_saveexec_b64 s[0:1], vcc
	s_cbranch_execz .LBB84_37
; %bb.36:
	v_mov_b32_e32 v2, 0
	ds_read_b64 v[0:1], v2
	s_waitcnt lgkmcnt(0)
	v_add_u32_e32 v0, v1, v0
	ds_write_b32 v2, v0
.LBB84_37:
	s_or_b64 exec, exec, s[0:1]
	s_waitcnt lgkmcnt(0)
	s_barrier
	s_and_saveexec_b64 s[0:1], vcc
	s_cbranch_execz .LBB84_41
; %bb.38:
	v_mov_b32_e32 v0, 0
	s_load_dwordx2 s[0:1], s[4:5], 0x50
	ds_read_b32 v1, v0
	s_cmp_eq_u32 s13, 0
	s_cbranch_scc1 .LBB84_40
; %bb.39:
	s_waitcnt lgkmcnt(0)
	s_add_u32 s2, s0, s6
	s_addc_u32 s3, s1, s7
	s_load_dword s2, s[2:3], 0x0
	s_waitcnt lgkmcnt(0)
	s_mul_i32 s2, s2, s13
	v_add_u32_e32 v1, s2, v1
.LBB84_40:
	s_waitcnt lgkmcnt(0)
	s_add_u32 s0, s0, s6
	s_addc_u32 s1, s1, s7
	global_store_dword v0, v1, s[0:1]
.LBB84_41:
	s_endpgm
	.section	.rodata,"a",@progbits
	.p2align	6, 0x0
	.amdhsa_kernel _ZN9rocsparseL29csrmvn_lrb_medium_rows_kernelILj256EiiaaiiEEvbT0_PT1_S3_jNS_24const_host_device_scalarIT5_EEPKS1_PKS2_PKT2_PKT3_S6_PT4_21rocsparse_index_base_b
		.amdhsa_group_segment_fixed_size 1024
		.amdhsa_private_segment_fixed_size 0
		.amdhsa_kernarg_size 96
		.amdhsa_user_sgpr_count 6
		.amdhsa_user_sgpr_private_segment_buffer 1
		.amdhsa_user_sgpr_dispatch_ptr 0
		.amdhsa_user_sgpr_queue_ptr 0
		.amdhsa_user_sgpr_kernarg_segment_ptr 1
		.amdhsa_user_sgpr_dispatch_id 0
		.amdhsa_user_sgpr_flat_scratch_init 0
		.amdhsa_user_sgpr_kernarg_preload_length 0
		.amdhsa_user_sgpr_kernarg_preload_offset 0
		.amdhsa_user_sgpr_private_segment_size 0
		.amdhsa_uses_dynamic_stack 0
		.amdhsa_system_sgpr_private_segment_wavefront_offset 0
		.amdhsa_system_sgpr_workgroup_id_x 1
		.amdhsa_system_sgpr_workgroup_id_y 0
		.amdhsa_system_sgpr_workgroup_id_z 0
		.amdhsa_system_sgpr_workgroup_info 0
		.amdhsa_system_vgpr_workitem_id 0
		.amdhsa_next_free_vgpr 24
		.amdhsa_next_free_sgpr 28
		.amdhsa_accum_offset 24
		.amdhsa_reserve_vcc 1
		.amdhsa_reserve_flat_scratch 0
		.amdhsa_float_round_mode_32 0
		.amdhsa_float_round_mode_16_64 0
		.amdhsa_float_denorm_mode_32 3
		.amdhsa_float_denorm_mode_16_64 3
		.amdhsa_dx10_clamp 1
		.amdhsa_ieee_mode 1
		.amdhsa_fp16_overflow 0
		.amdhsa_tg_split 0
		.amdhsa_exception_fp_ieee_invalid_op 0
		.amdhsa_exception_fp_denorm_src 0
		.amdhsa_exception_fp_ieee_div_zero 0
		.amdhsa_exception_fp_ieee_overflow 0
		.amdhsa_exception_fp_ieee_underflow 0
		.amdhsa_exception_fp_ieee_inexact 0
		.amdhsa_exception_int_div_zero 0
	.end_amdhsa_kernel
	.section	.text._ZN9rocsparseL29csrmvn_lrb_medium_rows_kernelILj256EiiaaiiEEvbT0_PT1_S3_jNS_24const_host_device_scalarIT5_EEPKS1_PKS2_PKT2_PKT3_S6_PT4_21rocsparse_index_base_b,"axG",@progbits,_ZN9rocsparseL29csrmvn_lrb_medium_rows_kernelILj256EiiaaiiEEvbT0_PT1_S3_jNS_24const_host_device_scalarIT5_EEPKS1_PKS2_PKT2_PKT3_S6_PT4_21rocsparse_index_base_b,comdat
.Lfunc_end84:
	.size	_ZN9rocsparseL29csrmvn_lrb_medium_rows_kernelILj256EiiaaiiEEvbT0_PT1_S3_jNS_24const_host_device_scalarIT5_EEPKS1_PKS2_PKT2_PKT3_S6_PT4_21rocsparse_index_base_b, .Lfunc_end84-_ZN9rocsparseL29csrmvn_lrb_medium_rows_kernelILj256EiiaaiiEEvbT0_PT1_S3_jNS_24const_host_device_scalarIT5_EEPKS1_PKS2_PKT2_PKT3_S6_PT4_21rocsparse_index_base_b
                                        ; -- End function
	.section	.AMDGPU.csdata,"",@progbits
; Kernel info:
; codeLenInByte = 1500
; NumSgprs: 32
; NumVgprs: 24
; NumAgprs: 0
; TotalNumVgprs: 24
; ScratchSize: 0
; MemoryBound: 0
; FloatMode: 240
; IeeeMode: 1
; LDSByteSize: 1024 bytes/workgroup (compile time only)
; SGPRBlocks: 3
; VGPRBlocks: 2
; NumSGPRsForWavesPerEU: 32
; NumVGPRsForWavesPerEU: 24
; AccumOffset: 24
; Occupancy: 8
; WaveLimiterHint : 1
; COMPUTE_PGM_RSRC2:SCRATCH_EN: 0
; COMPUTE_PGM_RSRC2:USER_SGPR: 6
; COMPUTE_PGM_RSRC2:TRAP_HANDLER: 0
; COMPUTE_PGM_RSRC2:TGID_X_EN: 1
; COMPUTE_PGM_RSRC2:TGID_Y_EN: 0
; COMPUTE_PGM_RSRC2:TGID_Z_EN: 0
; COMPUTE_PGM_RSRC2:TIDIG_COMP_CNT: 0
; COMPUTE_PGM_RSRC3_GFX90A:ACCUM_OFFSET: 5
; COMPUTE_PGM_RSRC3_GFX90A:TG_SPLIT: 0
	.section	.text._ZN9rocsparseL27csrmvn_lrb_long_rows_kernelIiiaaiiEEvbT_PjPT0_S4_jNS_24const_host_device_scalarIT4_EEPKS1_PKS3_PKT1_PKT2_S7_PT3_21rocsparse_index_base_b,"axG",@progbits,_ZN9rocsparseL27csrmvn_lrb_long_rows_kernelIiiaaiiEEvbT_PjPT0_S4_jNS_24const_host_device_scalarIT4_EEPKS1_PKS3_PKT1_PKT2_S7_PT3_21rocsparse_index_base_b,comdat
	.globl	_ZN9rocsparseL27csrmvn_lrb_long_rows_kernelIiiaaiiEEvbT_PjPT0_S4_jNS_24const_host_device_scalarIT4_EEPKS1_PKS3_PKT1_PKT2_S7_PT3_21rocsparse_index_base_b ; -- Begin function _ZN9rocsparseL27csrmvn_lrb_long_rows_kernelIiiaaiiEEvbT_PjPT0_S4_jNS_24const_host_device_scalarIT4_EEPKS1_PKS3_PKT1_PKT2_S7_PT3_21rocsparse_index_base_b
	.p2align	8
	.type	_ZN9rocsparseL27csrmvn_lrb_long_rows_kernelIiiaaiiEEvbT_PjPT0_S4_jNS_24const_host_device_scalarIT4_EEPKS1_PKS3_PKT1_PKT2_S7_PT3_21rocsparse_index_base_b,@function
_ZN9rocsparseL27csrmvn_lrb_long_rows_kernelIiiaaiiEEvbT_PjPT0_S4_jNS_24const_host_device_scalarIT4_EEPKS1_PKS3_PKT1_PKT2_S7_PT3_21rocsparse_index_base_b: ; @_ZN9rocsparseL27csrmvn_lrb_long_rows_kernelIiiaaiiEEvbT_PjPT0_S4_jNS_24const_host_device_scalarIT4_EEPKS1_PKS3_PKT1_PKT2_S7_PT3_21rocsparse_index_base_b
; %bb.0:
	s_load_dwordx2 s[22:23], s[4:5], 0x60
	s_load_dwordx2 s[8:9], s[4:5], 0x28
	s_mov_b64 s[10:11], -1
                                        ; implicit-def: $sgpr31
	s_waitcnt lgkmcnt(0)
	s_bitcmp1_b32 s23, 0
	s_cselect_b64 s[0:1], -1, 0
	s_xor_b64 s[2:3], s[0:1], -1
	s_and_b64 vcc, exec, s[2:3]
	s_cbranch_vccnz .LBB85_4
; %bb.1:
	s_load_dwordx2 s[0:1], s[4:5], 0x50
	s_andn2_b64 vcc, exec, s[10:11]
	s_cbranch_vccz .LBB85_5
.LBB85_2:
	s_and_b64 vcc, exec, s[2:3]
	s_cbranch_vccz .LBB85_6
.LBB85_3:
	s_waitcnt lgkmcnt(0)
	s_load_dword s14, s[0:1], 0x0
	s_cbranch_execz .LBB85_7
	s_branch .LBB85_8
.LBB85_4:
	s_load_dword s31, s[8:9], 0x0
	s_load_dwordx2 s[0:1], s[4:5], 0x50
	s_cbranch_execnz .LBB85_2
.LBB85_5:
	s_waitcnt lgkmcnt(0)
	s_mov_b32 s31, s8
	s_and_b64 vcc, exec, s[2:3]
	s_cbranch_vccnz .LBB85_3
.LBB85_6:
                                        ; implicit-def: $sgpr14
.LBB85_7:
	s_waitcnt lgkmcnt(0)
	s_mov_b32 s14, s0
.LBB85_8:
	s_waitcnt lgkmcnt(0)
	s_cmp_lg_u32 s31, 0
	s_cselect_b64 s[0:1], -1, 0
	s_cmp_lg_u32 s14, 1
	s_cselect_b64 s[2:3], -1, 0
	s_or_b64 s[0:1], s[0:1], s[2:3]
	s_andn2_b64 vcc, exec, s[0:1]
	s_mov_b32 s1, 0
	s_cbranch_vccnz .LBB85_50
; %bb.9:
	s_load_dword s0, s[4:5], 0x20
	s_load_dwordx2 s[2:3], s[4:5], 0x18
	v_mov_b32_e32 v2, 0
	s_waitcnt lgkmcnt(0)
	s_lshl_b64 s[8:9], s[0:1], 2
	s_add_u32 s2, s2, s8
	s_addc_u32 s3, s3, s9
	s_lshl_b32 s0, -1, s0
	s_not_b32 s0, s0
	s_mul_hi_u32 s0, s0, 0x2aaaaaab
	s_lshr_b32 s0, s0, 7
	s_add_i32 s1, s0, 1
	v_cvt_f32_u32_e32 v1, s1
	s_load_dwordx4 s[8:11], s[4:5], 0x8
	s_load_dword s7, s[2:3], 0x0
	s_not_b32 s0, s0
	v_rcp_iflag_f32_e32 v1, v1
	v_mul_f32_e32 v1, 0x4f7ffffe, v1
	v_cvt_u32_f32_e32 v1, v1
	v_readfirstlane_b32 s2, v1
	s_mul_i32 s0, s0, s2
	s_mul_hi_u32 s0, s2, s0
	s_add_i32 s2, s2, s0
	s_mul_hi_u32 s0, s6, s2
	s_mul_i32 s2, s0, s1
	s_sub_i32 s2, s6, s2
	s_add_i32 s3, s0, 1
	s_sub_i32 s12, s2, s1
	s_cmp_ge_u32 s2, s1
	s_cselect_b32 s0, s3, s0
	s_cselect_b32 s2, s12, s2
	s_add_i32 s3, s0, 1
	s_cmp_ge_u32 s2, s1
	s_cselect_b32 s0, s3, s0
	s_mul_i32 s20, s0, s1
	s_waitcnt lgkmcnt(0)
	s_add_i32 s0, s0, s7
	s_ashr_i32 s1, s0, 31
	s_sub_i32 s30, s6, s20
	s_lshl_b64 s[0:1], s[0:1], 2
	s_add_u32 s0, s10, s0
	s_addc_u32 s1, s11, s1
	s_load_dword s2, s[0:1], 0x0
	s_load_dwordx2 s[12:13], s[4:5], 0x30
	s_load_dwordx2 s[10:11], s[4:5], 0x58
	v_or_b32_e32 v1, s30, v0
	v_cmp_eq_u32_e32 vcc, 0, v1
	s_waitcnt lgkmcnt(0)
	s_ashr_i32 s3, s2, 31
	s_lshl_b64 s[16:17], s[2:3], 2
	s_add_u32 s0, s12, s16
	s_addc_u32 s1, s13, s17
	s_ashr_i32 s7, s6, 31
	s_lshl_b64 s[2:3], s[6:7], 2
	s_add_u32 s18, s8, s2
	s_addc_u32 s19, s9, s3
	s_load_dwordx2 s[0:1], s[0:1], 0x0
	s_nop 0
	s_load_dword s23, s[18:19], 0x0
	s_and_saveexec_b64 s[2:3], vcc
	s_cbranch_execz .LBB85_13
; %bb.10:
	s_add_u32 s24, s10, s16
	s_addc_u32 s25, s11, s17
	s_load_dword s7, s[24:25], 0x0
	s_mov_b64 s[12:13], exec
	v_mbcnt_lo_u32_b32 v1, s12, 0
	s_add_i32 s14, s14, -1
	v_mbcnt_hi_u32_b32 v1, s13, v1
	s_waitcnt lgkmcnt(0)
	s_mul_i32 s7, s7, s14
	v_cmp_eq_u32_e32 vcc, 0, v1
	s_waitcnt vmcnt(0) expcnt(0) lgkmcnt(0)
	s_and_saveexec_b64 s[14:15], vcc
	s_cbranch_execz .LBB85_12
; %bb.11:
	s_ashr_i32 s21, s20, 31
	s_lshl_b64 s[24:25], s[20:21], 2
	s_add_u32 s24, s8, s24
	s_addc_u32 s25, s9, s25
	s_bcnt1_i32_b64 s12, s[12:13]
	s_and_b32 s12, s12, 1
	v_mov_b32_e32 v1, 0
	v_mov_b32_e32 v2, s12
	global_atomic_xor v1, v2, s[24:25]
.LBB85_12:
	s_or_b64 exec, exec, s[14:15]
	v_mov_b32_e32 v2, s7
.LBB85_13:
	s_or_b64 exec, exec, s[2:3]
	s_mul_i32 s2, s30, 0x300
	s_sub_i32 s2, s2, s22
	s_waitcnt lgkmcnt(0)
	s_add_i32 s2, s2, s0
	s_sub_i32 s1, s1, s22
	s_add_i32 s3, s2, 0x300
	s_min_i32 s21, s3, s1
	v_add_u32_e32 v4, s2, v0
	v_cmp_gt_i32_e32 vcc, s21, v4
	s_and_saveexec_b64 s[24:25], vcc
	s_cbranch_execz .LBB85_25
; %bb.14:
	s_mul_i32 s1, s6, 0x300
	s_add_i32 s0, s0, s1
	s_mul_i32 s1, s20, 0x300
	v_add_u32_e32 v1, s0, v0
	s_add_i32 s1, s1, s22
	v_subrev_u32_e32 v1, s1, v1
	v_add_u32_e32 v1, 0x100, v1
	s_load_dwordx2 s[26:27], s[4:5], 0x48
	s_load_dwordx4 s[12:15], s[4:5], 0x38
	v_max_i32_e32 v1, s21, v1
	v_not_b32_e32 v3, v0
	v_add3_u32 v1, s1, v1, v3
	v_subrev_u32_e32 v1, s0, v1
	s_movk_i32 s0, 0x1300
	v_cmp_gt_u32_e32 vcc, s0, v1
	s_movk_i32 s0, 0x12ff
	v_cmp_lt_u32_e64 s[0:1], s0, v1
	s_and_saveexec_b64 s[4:5], s[0:1]
	s_cbranch_execz .LBB85_20
; %bb.15:
	v_and_b32_e32 v3, 0xffffff00, v1
	v_add_u32_e32 v3, v4, v3
	v_cmp_ge_i32_e64 s[0:1], v3, v4
	s_mov_b64 s[2:3], -1
	s_and_saveexec_b64 s[6:7], s[0:1]
	s_cbranch_execz .LBB85_19
; %bb.16:
	v_lshrrev_b32_e32 v1, 8, v1
	v_add_u32_e32 v1, 1, v1
	v_and_b32_e32 v10, 0x1fffffe, v1
	v_add_u32_e32 v5, 0x100, v4
	s_mov_b32 s33, s31
	s_mov_b32 s34, s22
	s_mov_b64 s[28:29], 0
	v_mov_b32_e32 v6, 0
	s_waitcnt lgkmcnt(0)
	v_mov_b32_e32 v11, s15
	v_mov_b32_e32 v12, s13
	;; [unrolled: 1-line block ×4, first 2 shown]
	v_pk_mov_b32 v[8:9], v[4:5], v[4:5] op_sel:[0,1]
.LBB85_17:                              ; =>This Inner Loop Header: Depth=1
	v_ashrrev_i32_e32 v19, 31, v8
	v_mov_b32_e32 v18, v8
	v_lshlrev_b64 v[20:21], 2, v[18:19]
	v_ashrrev_i32_e32 v17, 31, v9
	v_mov_b32_e32 v16, v9
	v_add_co_u32_e64 v20, s[0:1], s12, v20
	v_lshlrev_b64 v[22:23], 2, v[16:17]
	v_addc_co_u32_e64 v21, s[0:1], v12, v21, s[0:1]
	v_add_co_u32_e64 v22, s[0:1], s12, v22
	v_addc_co_u32_e64 v23, s[0:1], v12, v23, s[0:1]
	global_load_dword v3, v[20:21], off
	global_load_dword v5, v[22:23], off
	v_add_co_u32_e64 v18, s[0:1], s14, v18
	v_addc_co_u32_e64 v19, s[0:1], v11, v19, s[0:1]
	v_add_co_u32_e64 v16, s[0:1], s14, v16
	v_addc_co_u32_e64 v17, s[0:1], v11, v17, s[0:1]
	global_load_sbyte v7, v[16:17], off
	global_load_sbyte v15, v[18:19], off
	v_add_u32_e32 v14, -2, v14
	v_add_u32_e32 v9, 0x200, v9
	v_add_u32_e32 v8, 0x200, v8
	s_waitcnt vmcnt(3)
	v_subrev_u32_e32 v3, s22, v3
	s_waitcnt vmcnt(2)
	v_subrev_u32_e32 v5, s34, v5
	v_ashrrev_i32_e32 v17, 31, v5
	v_add_co_u32_e64 v16, s[0:1], s26, v5
	v_ashrrev_i32_e32 v19, 31, v3
	v_add_co_u32_e64 v18, s[2:3], s26, v3
	v_addc_co_u32_e64 v17, s[0:1], v13, v17, s[0:1]
	v_addc_co_u32_e64 v19, s[2:3], v13, v19, s[2:3]
	global_load_sbyte v3, v[16:17], off
	global_load_sbyte v5, v[18:19], off
	v_cmp_eq_u32_e64 s[0:1], 0, v14
	s_waitcnt vmcnt(2)
	v_mul_lo_u32 v15, s31, v15
	v_mul_lo_u32 v7, s33, v7
	s_or_b64 s[28:29], s[0:1], s[28:29]
	s_waitcnt vmcnt(1)
	v_mad_u64_u32 v[6:7], s[0:1], v7, v3, v[6:7]
	s_waitcnt vmcnt(0)
	v_mad_u64_u32 v[2:3], s[0:1], v15, v5, v[2:3]
	s_andn2_b64 exec, exec, s[28:29]
	s_cbranch_execnz .LBB85_17
; %bb.18:
	s_or_b64 exec, exec, s[28:29]
	v_mov_b32_e32 v3, v6
	v_cmp_ne_u32_e64 s[0:1], v1, v10
	v_lshl_add_u32 v4, v10, 8, v4
	v_add_u32_e32 v2, v2, v3
	s_orn2_b64 s[2:3], s[0:1], exec
.LBB85_19:
	s_or_b64 exec, exec, s[6:7]
	s_andn2_b64 s[0:1], vcc, exec
	s_and_b64 s[2:3], s[2:3], exec
	s_or_b64 vcc, s[0:1], s[2:3]
.LBB85_20:
	s_or_b64 exec, exec, s[4:5]
	s_and_saveexec_b64 s[0:1], vcc
	s_cbranch_execz .LBB85_24
; %bb.21:
	s_mov_b64 s[2:3], 0
	s_waitcnt lgkmcnt(0)
	v_mov_b32_e32 v1, s15
	v_mov_b32_e32 v6, s13
	;; [unrolled: 1-line block ×3, first 2 shown]
.LBB85_22:                              ; =>This Inner Loop Header: Depth=1
	v_ashrrev_i32_e32 v5, 31, v4
	v_lshlrev_b64 v[8:9], 2, v[4:5]
	v_add_co_u32_e32 v8, vcc, s12, v8
	v_addc_co_u32_e32 v9, vcc, v6, v9, vcc
	global_load_dword v3, v[8:9], off
	v_add_co_u32_e32 v8, vcc, s14, v4
	v_addc_co_u32_e32 v9, vcc, v1, v5, vcc
	global_load_sbyte v5, v[8:9], off
	v_add_u32_e32 v4, 0x100, v4
	s_waitcnt vmcnt(1)
	v_subrev_u32_e32 v3, s22, v3
	v_ashrrev_i32_e32 v9, 31, v3
	v_add_co_u32_e32 v8, vcc, s26, v3
	v_addc_co_u32_e32 v9, vcc, v7, v9, vcc
	global_load_sbyte v3, v[8:9], off
	s_waitcnt vmcnt(1)
	v_mul_lo_u32 v5, s31, v5
	v_cmp_le_i32_e32 vcc, s21, v4
	s_or_b64 s[2:3], vcc, s[2:3]
	s_waitcnt vmcnt(0)
	v_mad_u64_u32 v[2:3], s[4:5], v5, v3, v[2:3]
	s_andn2_b64 exec, exec, s[2:3]
	s_cbranch_execnz .LBB85_22
; %bb.23:
	s_or_b64 exec, exec, s[2:3]
.LBB85_24:
	s_or_b64 exec, exec, s[0:1]
.LBB85_25:
	s_or_b64 exec, exec, s[24:25]
	s_movk_i32 s0, 0x80
	v_lshlrev_b32_e32 v1, 2, v0
	v_cmp_gt_u32_e32 vcc, s0, v0
	ds_write_b32 v1, v2
	s_waitcnt lgkmcnt(0)
	s_barrier
	s_and_saveexec_b64 s[0:1], vcc
	s_cbranch_execz .LBB85_27
; %bb.26:
	ds_read2st64_b32 v[2:3], v1 offset1:2
	s_waitcnt lgkmcnt(0)
	v_add_u32_e32 v2, v3, v2
	ds_write_b32 v1, v2
.LBB85_27:
	s_or_b64 exec, exec, s[0:1]
	v_cmp_gt_u32_e32 vcc, 64, v0
	s_waitcnt lgkmcnt(0)
	s_barrier
	s_and_saveexec_b64 s[0:1], vcc
	s_cbranch_execz .LBB85_29
; %bb.28:
	ds_read2st64_b32 v[2:3], v1 offset1:1
	s_waitcnt lgkmcnt(0)
	v_add_u32_e32 v2, v3, v2
	ds_write_b32 v1, v2
.LBB85_29:
	s_or_b64 exec, exec, s[0:1]
	v_cmp_gt_u32_e32 vcc, 32, v0
	s_waitcnt lgkmcnt(0)
	s_barrier
	s_and_saveexec_b64 s[0:1], vcc
	s_cbranch_execz .LBB85_31
; %bb.30:
	ds_read2_b32 v[2:3], v1 offset1:32
	s_waitcnt lgkmcnt(0)
	v_add_u32_e32 v2, v3, v2
	ds_write_b32 v1, v2
.LBB85_31:
	s_or_b64 exec, exec, s[0:1]
	v_cmp_gt_u32_e32 vcc, 16, v0
	s_waitcnt lgkmcnt(0)
	s_barrier
	s_and_saveexec_b64 s[0:1], vcc
	s_cbranch_execz .LBB85_33
; %bb.32:
	ds_read2_b32 v[2:3], v1 offset1:16
	s_waitcnt lgkmcnt(0)
	v_add_u32_e32 v2, v3, v2
	ds_write_b32 v1, v2
.LBB85_33:
	;; [unrolled: 12-line block ×5, first 2 shown]
	s_or_b64 exec, exec, s[0:1]
	v_cmp_eq_u32_e32 vcc, 0, v0
	s_waitcnt lgkmcnt(0)
	s_barrier
	s_and_saveexec_b64 s[0:1], vcc
	s_cbranch_execz .LBB85_41
; %bb.40:
	v_mov_b32_e32 v2, 0
	ds_read_b64 v[0:1], v2
	s_waitcnt lgkmcnt(0)
	v_add_u32_e32 v0, v1, v0
	ds_write_b32 v2, v0
.LBB85_41:
	s_or_b64 exec, exec, s[0:1]
	s_waitcnt lgkmcnt(0)
	s_barrier
	s_and_saveexec_b64 s[0:1], vcc
	s_cbranch_execz .LBB85_50
; %bb.42:
	s_cmp_eq_u32 s30, 0
	s_cbranch_scc1 .LBB85_48
; %bb.43:
	s_ashr_i32 s21, s20, 31
	s_lshl_b64 s[0:1], s[20:21], 2
	s_add_u32 s0, s8, s0
	s_addc_u32 s1, s9, s1
	v_mov_b32_e32 v0, 0
	s_branch .LBB85_45
.LBB85_44:                              ;   in Loop: Header=BB85_45 Depth=1
	s_or_b64 exec, exec, s[2:3]
	s_waitcnt vmcnt(0)
	v_readfirstlane_b32 s2, v1
	s_cmp_eq_u32 s2, s23
	s_cbranch_scc0 .LBB85_47
.LBB85_45:                              ; =>This Inner Loop Header: Depth=1
	v_mbcnt_lo_u32_b32 v1, exec_lo, 0
	v_mbcnt_hi_u32_b32 v1, exec_hi, v1
	v_cmp_eq_u32_e32 vcc, 0, v1
                                        ; implicit-def: $vgpr1
	s_and_saveexec_b64 s[2:3], vcc
	s_cbranch_execz .LBB85_44
; %bb.46:                               ;   in Loop: Header=BB85_45 Depth=1
	global_load_dword v1, v0, s[0:1] glc
	s_branch .LBB85_44
.LBB85_47:
	v_mov_b32_e32 v0, 0
	global_load_dword v1, v0, s[18:19]
	s_waitcnt vmcnt(0)
	v_xor_b32_e32 v1, 1, v1
	global_store_dword v0, v1, s[18:19]
.LBB85_48:
	s_mov_b64 s[0:1], exec
	v_mbcnt_lo_u32_b32 v0, s0, 0
	v_mbcnt_hi_u32_b32 v0, s1, v0
	v_cmp_eq_u32_e32 vcc, 0, v0
	s_and_b64 s[2:3], exec, vcc
	s_mov_b64 exec, s[2:3]
	s_cbranch_execz .LBB85_50
; %bb.49:
	v_mov_b32_e32 v0, 0
	ds_read_b32 v1, v0
	s_add_u32 s2, s10, s16
	s_addc_u32 s3, s11, s17
	s_bcnt1_i32_b64 s0, s[0:1]
	s_waitcnt lgkmcnt(0)
	v_mul_lo_u32 v1, v1, s0
	global_atomic_add v0, v1, s[2:3]
.LBB85_50:
	s_endpgm
	.section	.rodata,"a",@progbits
	.p2align	6, 0x0
	.amdhsa_kernel _ZN9rocsparseL27csrmvn_lrb_long_rows_kernelIiiaaiiEEvbT_PjPT0_S4_jNS_24const_host_device_scalarIT4_EEPKS1_PKS3_PKT1_PKT2_S7_PT3_21rocsparse_index_base_b
		.amdhsa_group_segment_fixed_size 1024
		.amdhsa_private_segment_fixed_size 0
		.amdhsa_kernarg_size 104
		.amdhsa_user_sgpr_count 6
		.amdhsa_user_sgpr_private_segment_buffer 1
		.amdhsa_user_sgpr_dispatch_ptr 0
		.amdhsa_user_sgpr_queue_ptr 0
		.amdhsa_user_sgpr_kernarg_segment_ptr 1
		.amdhsa_user_sgpr_dispatch_id 0
		.amdhsa_user_sgpr_flat_scratch_init 0
		.amdhsa_user_sgpr_kernarg_preload_length 0
		.amdhsa_user_sgpr_kernarg_preload_offset 0
		.amdhsa_user_sgpr_private_segment_size 0
		.amdhsa_uses_dynamic_stack 0
		.amdhsa_system_sgpr_private_segment_wavefront_offset 0
		.amdhsa_system_sgpr_workgroup_id_x 1
		.amdhsa_system_sgpr_workgroup_id_y 0
		.amdhsa_system_sgpr_workgroup_id_z 0
		.amdhsa_system_sgpr_workgroup_info 0
		.amdhsa_system_vgpr_workitem_id 0
		.amdhsa_next_free_vgpr 24
		.amdhsa_next_free_sgpr 35
		.amdhsa_accum_offset 24
		.amdhsa_reserve_vcc 1
		.amdhsa_reserve_flat_scratch 0
		.amdhsa_float_round_mode_32 0
		.amdhsa_float_round_mode_16_64 0
		.amdhsa_float_denorm_mode_32 3
		.amdhsa_float_denorm_mode_16_64 3
		.amdhsa_dx10_clamp 1
		.amdhsa_ieee_mode 1
		.amdhsa_fp16_overflow 0
		.amdhsa_tg_split 0
		.amdhsa_exception_fp_ieee_invalid_op 0
		.amdhsa_exception_fp_denorm_src 0
		.amdhsa_exception_fp_ieee_div_zero 0
		.amdhsa_exception_fp_ieee_overflow 0
		.amdhsa_exception_fp_ieee_underflow 0
		.amdhsa_exception_fp_ieee_inexact 0
		.amdhsa_exception_int_div_zero 0
	.end_amdhsa_kernel
	.section	.text._ZN9rocsparseL27csrmvn_lrb_long_rows_kernelIiiaaiiEEvbT_PjPT0_S4_jNS_24const_host_device_scalarIT4_EEPKS1_PKS3_PKT1_PKT2_S7_PT3_21rocsparse_index_base_b,"axG",@progbits,_ZN9rocsparseL27csrmvn_lrb_long_rows_kernelIiiaaiiEEvbT_PjPT0_S4_jNS_24const_host_device_scalarIT4_EEPKS1_PKS3_PKT1_PKT2_S7_PT3_21rocsparse_index_base_b,comdat
.Lfunc_end85:
	.size	_ZN9rocsparseL27csrmvn_lrb_long_rows_kernelIiiaaiiEEvbT_PjPT0_S4_jNS_24const_host_device_scalarIT4_EEPKS1_PKS3_PKT1_PKT2_S7_PT3_21rocsparse_index_base_b, .Lfunc_end85-_ZN9rocsparseL27csrmvn_lrb_long_rows_kernelIiiaaiiEEvbT_PjPT0_S4_jNS_24const_host_device_scalarIT4_EEPKS1_PKS3_PKT1_PKT2_S7_PT3_21rocsparse_index_base_b
                                        ; -- End function
	.section	.AMDGPU.csdata,"",@progbits
; Kernel info:
; codeLenInByte = 1948
; NumSgprs: 39
; NumVgprs: 24
; NumAgprs: 0
; TotalNumVgprs: 24
; ScratchSize: 0
; MemoryBound: 0
; FloatMode: 240
; IeeeMode: 1
; LDSByteSize: 1024 bytes/workgroup (compile time only)
; SGPRBlocks: 4
; VGPRBlocks: 2
; NumSGPRsForWavesPerEU: 39
; NumVGPRsForWavesPerEU: 24
; AccumOffset: 24
; Occupancy: 8
; WaveLimiterHint : 1
; COMPUTE_PGM_RSRC2:SCRATCH_EN: 0
; COMPUTE_PGM_RSRC2:USER_SGPR: 6
; COMPUTE_PGM_RSRC2:TRAP_HANDLER: 0
; COMPUTE_PGM_RSRC2:TGID_X_EN: 1
; COMPUTE_PGM_RSRC2:TGID_Y_EN: 0
; COMPUTE_PGM_RSRC2:TGID_Z_EN: 0
; COMPUTE_PGM_RSRC2:TIDIG_COMP_CNT: 0
; COMPUTE_PGM_RSRC3_GFX90A:ACCUM_OFFSET: 5
; COMPUTE_PGM_RSRC3_GFX90A:TG_SPLIT: 0
	.section	.text._ZN9rocsparseL28csrmvn_lrb_short_rows_kernelIliaaiiEEvbT_PT0_S3_jNS_24const_host_device_scalarIT4_EEPKS1_PKS2_PKT1_PKT2_S6_PT3_21rocsparse_index_base_b,"axG",@progbits,_ZN9rocsparseL28csrmvn_lrb_short_rows_kernelIliaaiiEEvbT_PT0_S3_jNS_24const_host_device_scalarIT4_EEPKS1_PKS2_PKT1_PKT2_S6_PT3_21rocsparse_index_base_b,comdat
	.globl	_ZN9rocsparseL28csrmvn_lrb_short_rows_kernelIliaaiiEEvbT_PT0_S3_jNS_24const_host_device_scalarIT4_EEPKS1_PKS2_PKT1_PKT2_S6_PT3_21rocsparse_index_base_b ; -- Begin function _ZN9rocsparseL28csrmvn_lrb_short_rows_kernelIliaaiiEEvbT_PT0_S3_jNS_24const_host_device_scalarIT4_EEPKS1_PKS2_PKT1_PKT2_S6_PT3_21rocsparse_index_base_b
	.p2align	8
	.type	_ZN9rocsparseL28csrmvn_lrb_short_rows_kernelIliaaiiEEvbT_PT0_S3_jNS_24const_host_device_scalarIT4_EEPKS1_PKS2_PKT1_PKT2_S6_PT3_21rocsparse_index_base_b,@function
_ZN9rocsparseL28csrmvn_lrb_short_rows_kernelIliaaiiEEvbT_PT0_S3_jNS_24const_host_device_scalarIT4_EEPKS1_PKS2_PKT1_PKT2_S6_PT3_21rocsparse_index_base_b: ; @_ZN9rocsparseL28csrmvn_lrb_short_rows_kernelIliaaiiEEvbT_PT0_S3_jNS_24const_host_device_scalarIT4_EEPKS1_PKS2_PKT1_PKT2_S6_PT3_21rocsparse_index_base_b
; %bb.0:
	s_load_dwordx2 s[16:17], s[4:5], 0x60
	s_load_dwordx2 s[8:9], s[4:5], 0x28
	s_mov_b64 s[10:11], -1
                                        ; implicit-def: $sgpr20
	s_waitcnt lgkmcnt(0)
	s_bitcmp1_b32 s17, 0
	s_cselect_b64 s[0:1], -1, 0
	s_xor_b64 s[2:3], s[0:1], -1
	s_and_b64 vcc, exec, s[2:3]
	s_cbranch_vccnz .LBB86_4
; %bb.1:
	s_load_dwordx2 s[0:1], s[4:5], 0x50
	s_andn2_b64 vcc, exec, s[10:11]
	s_cbranch_vccz .LBB86_5
.LBB86_2:
	s_and_b64 vcc, exec, s[2:3]
	s_cbranch_vccz .LBB86_6
.LBB86_3:
	s_waitcnt lgkmcnt(0)
	s_load_dword s17, s[0:1], 0x0
	s_cbranch_execz .LBB86_7
	s_branch .LBB86_8
.LBB86_4:
	s_load_dword s20, s[8:9], 0x0
	s_load_dwordx2 s[0:1], s[4:5], 0x50
	s_cbranch_execnz .LBB86_2
.LBB86_5:
	s_waitcnt lgkmcnt(0)
	s_mov_b32 s20, s8
	s_and_b64 vcc, exec, s[2:3]
	s_cbranch_vccnz .LBB86_3
.LBB86_6:
                                        ; implicit-def: $sgpr17
.LBB86_7:
	s_waitcnt lgkmcnt(0)
	s_mov_b32 s17, s0
.LBB86_8:
	s_waitcnt lgkmcnt(0)
	s_cmp_lg_u32 s20, 0
	s_cselect_b64 s[0:1], -1, 0
	s_cmp_lg_u32 s17, 1
	s_cselect_b64 s[2:3], -1, 0
	s_or_b64 s[0:1], s[0:1], s[2:3]
	s_andn2_b64 vcc, exec, s[0:1]
	s_mov_b32 s19, 0
	s_cbranch_vccnz .LBB86_22
; %bb.9:
	s_load_dword s18, s[4:5], 0x20
	s_load_dwordx4 s[0:3], s[4:5], 0x10
	s_mov_b32 s9, s19
	s_waitcnt lgkmcnt(0)
	s_lshl_b64 s[10:11], s[18:19], 2
	s_add_u32 s10, s2, s10
	s_addc_u32 s11, s3, s11
	s_add_i32 s8, s18, 1
	s_lshl_b64 s[8:9], s[8:9], 2
	s_add_u32 s2, s2, s8
	s_addc_u32 s3, s3, s9
	s_load_dword s19, s[10:11], 0x0
	s_load_dword s7, s[2:3], 0x0
	s_lshl_b32 s21, s6, 8
	s_add_i32 s3, s21, 0x100
	s_waitcnt lgkmcnt(0)
	s_sub_i32 s2, s7, s19
	s_min_u32 s22, s2, s3
	s_cmp_gt_u32 s18, 23
	s_cbranch_scc1 .LBB86_16
; %bb.10:
	s_load_dwordx8 s[8:15], s[4:5], 0x30
	s_mov_b32 s24, 0
	v_mov_b32_e32 v9, 0
	s_lshl_b32 s23, 0x100, s18
	v_bfe_u32 v6, v0, 0, s18
	v_mov_b32_e32 v7, v9
	v_lshl_add_u32 v1, v0, 2, 0
	s_mov_b32 s25, s24
	s_branch .LBB86_13
.LBB86_11:                              ;   in Loop: Header=BB86_13 Depth=1
	s_or_b64 exec, exec, s[6:7]
	ds_write_b32 v1, v4
.LBB86_12:                              ;   in Loop: Header=BB86_13 Depth=1
	s_or_b64 exec, exec, s[2:3]
	s_addk_i32 s25, 0x100
	s_cmp_ge_u32 s25, s23
	v_add_u32_e32 v1, 0x400, v1
	s_cbranch_scc1 .LBB86_16
.LBB86_13:                              ; =>This Inner Loop Header: Depth=1
	v_add_u32_e32 v2, s25, v0
	v_lshrrev_b32_e32 v2, s18, v2
	v_add_u32_e32 v2, s21, v2
	v_cmp_gt_u32_e32 vcc, s22, v2
	s_and_saveexec_b64 s[2:3], vcc
	s_cbranch_execz .LBB86_12
; %bb.14:                               ;   in Loop: Header=BB86_13 Depth=1
	v_add_u32_e32 v8, s19, v2
	v_lshlrev_b64 v[2:3], 2, v[8:9]
	v_mov_b32_e32 v4, s1
	v_add_co_u32_e32 v2, vcc, s0, v2
	v_addc_co_u32_e32 v3, vcc, v4, v3, vcc
	global_load_dword v2, v[2:3], off
	s_waitcnt lgkmcnt(0)
	v_mov_b32_e32 v4, s9
	s_waitcnt vmcnt(0)
	v_ashrrev_i32_e32 v3, 31, v2
	v_lshlrev_b64 v[2:3], 3, v[2:3]
	v_add_co_u32_e32 v2, vcc, s8, v2
	v_addc_co_u32_e32 v3, vcc, v4, v3, vcc
	global_load_dwordx4 v[2:5], v[2:3], off
	s_waitcnt vmcnt(0)
	v_sub_co_u32_e32 v4, vcc, v4, v2
	v_subb_co_u32_e32 v5, vcc, v5, v3, vcc
	v_cmp_gt_i64_e32 vcc, v[4:5], v[6:7]
	v_mov_b32_e32 v4, 0
	s_and_saveexec_b64 s[6:7], vcc
	s_cbranch_execz .LBB86_11
; %bb.15:                               ;   in Loop: Header=BB86_13 Depth=1
	v_mov_b32_e32 v4, s24
	v_subrev_co_u32_e32 v2, vcc, s16, v2
	v_subb_co_u32_e32 v3, vcc, v3, v4, vcc
	v_add_co_u32_e32 v2, vcc, v2, v6
	v_addc_co_u32_e32 v3, vcc, 0, v3, vcc
	v_lshlrev_b64 v[4:5], 2, v[2:3]
	v_mov_b32_e32 v8, s11
	v_add_co_u32_e32 v4, vcc, s10, v4
	v_addc_co_u32_e32 v5, vcc, v8, v5, vcc
	global_load_dword v4, v[4:5], off
	v_mov_b32_e32 v5, s13
	v_add_co_u32_e32 v2, vcc, s12, v2
	v_addc_co_u32_e32 v3, vcc, v5, v3, vcc
	global_load_sbyte v5, v[2:3], off
	v_mov_b32_e32 v8, s15
	s_waitcnt vmcnt(1)
	v_subrev_u32_e32 v2, s16, v4
	v_ashrrev_i32_e32 v3, 31, v2
	v_add_co_u32_e32 v2, vcc, s14, v2
	v_addc_co_u32_e32 v3, vcc, v8, v3, vcc
	global_load_sbyte v2, v[2:3], off
	s_waitcnt vmcnt(1)
	v_mul_lo_u32 v3, s20, v5
	s_waitcnt vmcnt(0)
	v_mul_lo_u32 v4, v3, v2
	s_branch .LBB86_11
.LBB86_16:
	s_sub_i32 s2, s22, s21
	v_cmp_gt_u32_e32 vcc, s2, v0
	s_waitcnt lgkmcnt(0)
	s_barrier
	s_and_saveexec_b64 s[2:3], vcc
	s_cbranch_execz .LBB86_22
; %bb.17:
	s_add_i32 s19, s19, s21
	v_add_u32_e32 v2, s19, v0
	v_mov_b32_e32 v3, 0
	v_lshlrev_b64 v[4:5], 2, v[2:3]
	v_mov_b32_e32 v1, s1
	v_add_co_u32_e32 v4, vcc, s0, v4
	v_addc_co_u32_e32 v5, vcc, v1, v5, vcc
	global_load_dword v4, v[4:5], off
	s_load_dwordx2 s[0:1], s[4:5], 0x58
	v_lshlrev_b32_e32 v0, s18, v0
	v_lshl_add_u32 v0, v0, 2, 0
	s_mov_b32 s2, 1
.LBB86_18:                              ; =>This Inner Loop Header: Depth=1
	ds_read_b32 v1, v0
	s_lshr_b32 s3, s2, s18
	s_add_i32 s2, s2, 1
	v_add_u32_e32 v0, 4, v0
	s_cmp_lg_u32 s3, 0
	s_waitcnt lgkmcnt(0)
	v_add_u32_e32 v3, v1, v3
	s_cbranch_scc0 .LBB86_18
; %bb.19:
	s_waitcnt vmcnt(0)
	v_ashrrev_i32_e32 v5, 31, v4
	s_cmp_lg_u32 s17, 0
	v_lshlrev_b64 v[0:1], 2, v[4:5]
	s_cbranch_scc0 .LBB86_21
; %bb.20:
	v_mov_b32_e32 v2, s1
	v_add_co_u32_e32 v4, vcc, s0, v0
	v_addc_co_u32_e32 v5, vcc, v2, v1, vcc
	global_load_dword v4, v[4:5], off
	v_mov_b32_e32 v2, v3
	s_waitcnt vmcnt(0)
	v_mad_u64_u32 v[2:3], s[2:3], v4, s17, v[2:3]
	v_mov_b32_e32 v3, v2
.LBB86_21:
	v_mov_b32_e32 v2, s1
	v_add_co_u32_e32 v0, vcc, s0, v0
	v_addc_co_u32_e32 v1, vcc, v2, v1, vcc
	global_store_dword v[0:1], v3, off
.LBB86_22:
	s_endpgm
	.section	.rodata,"a",@progbits
	.p2align	6, 0x0
	.amdhsa_kernel _ZN9rocsparseL28csrmvn_lrb_short_rows_kernelIliaaiiEEvbT_PT0_S3_jNS_24const_host_device_scalarIT4_EEPKS1_PKS2_PKT1_PKT2_S6_PT3_21rocsparse_index_base_b
		.amdhsa_group_segment_fixed_size 0
		.amdhsa_private_segment_fixed_size 0
		.amdhsa_kernarg_size 104
		.amdhsa_user_sgpr_count 6
		.amdhsa_user_sgpr_private_segment_buffer 1
		.amdhsa_user_sgpr_dispatch_ptr 0
		.amdhsa_user_sgpr_queue_ptr 0
		.amdhsa_user_sgpr_kernarg_segment_ptr 1
		.amdhsa_user_sgpr_dispatch_id 0
		.amdhsa_user_sgpr_flat_scratch_init 0
		.amdhsa_user_sgpr_kernarg_preload_length 0
		.amdhsa_user_sgpr_kernarg_preload_offset 0
		.amdhsa_user_sgpr_private_segment_size 0
		.amdhsa_uses_dynamic_stack 0
		.amdhsa_system_sgpr_private_segment_wavefront_offset 0
		.amdhsa_system_sgpr_workgroup_id_x 1
		.amdhsa_system_sgpr_workgroup_id_y 0
		.amdhsa_system_sgpr_workgroup_id_z 0
		.amdhsa_system_sgpr_workgroup_info 0
		.amdhsa_system_vgpr_workitem_id 0
		.amdhsa_next_free_vgpr 10
		.amdhsa_next_free_sgpr 26
		.amdhsa_accum_offset 12
		.amdhsa_reserve_vcc 1
		.amdhsa_reserve_flat_scratch 0
		.amdhsa_float_round_mode_32 0
		.amdhsa_float_round_mode_16_64 0
		.amdhsa_float_denorm_mode_32 3
		.amdhsa_float_denorm_mode_16_64 3
		.amdhsa_dx10_clamp 1
		.amdhsa_ieee_mode 1
		.amdhsa_fp16_overflow 0
		.amdhsa_tg_split 0
		.amdhsa_exception_fp_ieee_invalid_op 0
		.amdhsa_exception_fp_denorm_src 0
		.amdhsa_exception_fp_ieee_div_zero 0
		.amdhsa_exception_fp_ieee_overflow 0
		.amdhsa_exception_fp_ieee_underflow 0
		.amdhsa_exception_fp_ieee_inexact 0
		.amdhsa_exception_int_div_zero 0
	.end_amdhsa_kernel
	.section	.text._ZN9rocsparseL28csrmvn_lrb_short_rows_kernelIliaaiiEEvbT_PT0_S3_jNS_24const_host_device_scalarIT4_EEPKS1_PKS2_PKT1_PKT2_S6_PT3_21rocsparse_index_base_b,"axG",@progbits,_ZN9rocsparseL28csrmvn_lrb_short_rows_kernelIliaaiiEEvbT_PT0_S3_jNS_24const_host_device_scalarIT4_EEPKS1_PKS2_PKT1_PKT2_S6_PT3_21rocsparse_index_base_b,comdat
.Lfunc_end86:
	.size	_ZN9rocsparseL28csrmvn_lrb_short_rows_kernelIliaaiiEEvbT_PT0_S3_jNS_24const_host_device_scalarIT4_EEPKS1_PKS2_PKT1_PKT2_S6_PT3_21rocsparse_index_base_b, .Lfunc_end86-_ZN9rocsparseL28csrmvn_lrb_short_rows_kernelIliaaiiEEvbT_PT0_S3_jNS_24const_host_device_scalarIT4_EEPKS1_PKS2_PKT1_PKT2_S6_PT3_21rocsparse_index_base_b
                                        ; -- End function
	.section	.AMDGPU.csdata,"",@progbits
; Kernel info:
; codeLenInByte = 820
; NumSgprs: 30
; NumVgprs: 10
; NumAgprs: 0
; TotalNumVgprs: 10
; ScratchSize: 0
; MemoryBound: 0
; FloatMode: 240
; IeeeMode: 1
; LDSByteSize: 0 bytes/workgroup (compile time only)
; SGPRBlocks: 3
; VGPRBlocks: 1
; NumSGPRsForWavesPerEU: 30
; NumVGPRsForWavesPerEU: 10
; AccumOffset: 12
; Occupancy: 8
; WaveLimiterHint : 1
; COMPUTE_PGM_RSRC2:SCRATCH_EN: 0
; COMPUTE_PGM_RSRC2:USER_SGPR: 6
; COMPUTE_PGM_RSRC2:TRAP_HANDLER: 0
; COMPUTE_PGM_RSRC2:TGID_X_EN: 1
; COMPUTE_PGM_RSRC2:TGID_Y_EN: 0
; COMPUTE_PGM_RSRC2:TGID_Z_EN: 0
; COMPUTE_PGM_RSRC2:TIDIG_COMP_CNT: 0
; COMPUTE_PGM_RSRC3_GFX90A:ACCUM_OFFSET: 2
; COMPUTE_PGM_RSRC3_GFX90A:TG_SPLIT: 0
	.section	.text._ZN9rocsparseL30csrmvn_lrb_short_rows_2_kernelIliaaiiEEvbT_PT0_S3_jNS_24const_host_device_scalarIT4_EEPKS1_PKS2_PKT1_PKT2_S6_PT3_21rocsparse_index_base_b,"axG",@progbits,_ZN9rocsparseL30csrmvn_lrb_short_rows_2_kernelIliaaiiEEvbT_PT0_S3_jNS_24const_host_device_scalarIT4_EEPKS1_PKS2_PKT1_PKT2_S6_PT3_21rocsparse_index_base_b,comdat
	.globl	_ZN9rocsparseL30csrmvn_lrb_short_rows_2_kernelIliaaiiEEvbT_PT0_S3_jNS_24const_host_device_scalarIT4_EEPKS1_PKS2_PKT1_PKT2_S6_PT3_21rocsparse_index_base_b ; -- Begin function _ZN9rocsparseL30csrmvn_lrb_short_rows_2_kernelIliaaiiEEvbT_PT0_S3_jNS_24const_host_device_scalarIT4_EEPKS1_PKS2_PKT1_PKT2_S6_PT3_21rocsparse_index_base_b
	.p2align	8
	.type	_ZN9rocsparseL30csrmvn_lrb_short_rows_2_kernelIliaaiiEEvbT_PT0_S3_jNS_24const_host_device_scalarIT4_EEPKS1_PKS2_PKT1_PKT2_S6_PT3_21rocsparse_index_base_b,@function
_ZN9rocsparseL30csrmvn_lrb_short_rows_2_kernelIliaaiiEEvbT_PT0_S3_jNS_24const_host_device_scalarIT4_EEPKS1_PKS2_PKT1_PKT2_S6_PT3_21rocsparse_index_base_b: ; @_ZN9rocsparseL30csrmvn_lrb_short_rows_2_kernelIliaaiiEEvbT_PT0_S3_jNS_24const_host_device_scalarIT4_EEPKS1_PKS2_PKT1_PKT2_S6_PT3_21rocsparse_index_base_b
; %bb.0:
	s_load_dwordx2 s[18:19], s[4:5], 0x60
	s_load_dwordx2 s[8:9], s[4:5], 0x28
	s_mov_b64 s[10:11], -1
                                        ; implicit-def: $sgpr20
	s_waitcnt lgkmcnt(0)
	s_bitcmp1_b32 s19, 0
	s_cselect_b64 s[0:1], -1, 0
	s_xor_b64 s[2:3], s[0:1], -1
	s_and_b64 vcc, exec, s[2:3]
	s_cbranch_vccnz .LBB87_4
; %bb.1:
	s_load_dwordx2 s[0:1], s[4:5], 0x50
	s_andn2_b64 vcc, exec, s[10:11]
	s_cbranch_vccz .LBB87_5
.LBB87_2:
	s_and_b64 vcc, exec, s[2:3]
	s_cbranch_vccz .LBB87_6
.LBB87_3:
	s_waitcnt lgkmcnt(0)
	s_load_dword s19, s[0:1], 0x0
	s_cbranch_execz .LBB87_7
	s_branch .LBB87_8
.LBB87_4:
	s_load_dword s20, s[8:9], 0x0
	s_load_dwordx2 s[0:1], s[4:5], 0x50
	s_cbranch_execnz .LBB87_2
.LBB87_5:
	s_waitcnt lgkmcnt(0)
	s_mov_b32 s20, s8
	s_and_b64 vcc, exec, s[2:3]
	s_cbranch_vccnz .LBB87_3
.LBB87_6:
                                        ; implicit-def: $sgpr19
.LBB87_7:
	s_waitcnt lgkmcnt(0)
	s_mov_b32 s19, s0
.LBB87_8:
	s_waitcnt lgkmcnt(0)
	s_cmp_lg_u32 s20, 0
	s_cselect_b64 s[0:1], -1, 0
	s_cmp_lg_u32 s19, 1
	s_cselect_b64 s[2:3], -1, 0
	s_or_b64 s[0:1], s[0:1], s[2:3]
	s_andn2_b64 vcc, exec, s[0:1]
	s_mov_b32 s17, 0
	s_cbranch_vccnz .LBB87_34
; %bb.9:
	s_load_dword s16, s[4:5], 0x20
	s_load_dwordx4 s[0:3], s[4:5], 0x10
	s_mov_b32 s9, s17
	v_mov_b32_e32 v7, 0
	s_waitcnt lgkmcnt(0)
	s_lshl_b64 s[10:11], s[16:17], 2
	s_add_u32 s22, s2, s10
	s_addc_u32 s23, s3, s11
	s_add_i32 s8, s16, 1
	s_lshl_b64 s[8:9], s[8:9], 2
	s_add_u32 s24, s2, s8
	s_addc_u32 s25, s3, s9
	s_load_dword s21, s[22:23], 0x0
	s_load_dword s7, s[24:25], 0x0
	s_load_dwordx2 s[2:3], s[4:5], 0x58
	s_load_dwordx8 s[8:15], s[4:5], 0x30
	s_lshr_b32 s17, 0x400, s16
	s_mul_i32 s22, s17, s6
	s_waitcnt lgkmcnt(0)
	s_sub_i32 s4, s7, s21
	s_add_i32 s5, s22, s17
	v_lshrrev_b32_e32 v1, s16, v0
	s_min_u32 s23, s4, s5
	v_add_u32_e32 v1, s22, v1
	v_bfe_u32 v6, v0, 0, s16
	v_cmp_gt_u32_e32 vcc, s23, v1
	s_and_saveexec_b64 s[4:5], vcc
	s_cbranch_execz .LBB87_13
; %bb.10:
	v_add_u32_e32 v2, s21, v1
	v_mov_b32_e32 v3, v7
	v_lshlrev_b64 v[2:3], 2, v[2:3]
	v_mov_b32_e32 v1, s1
	v_add_co_u32_e32 v2, vcc, s0, v2
	v_addc_co_u32_e32 v3, vcc, v1, v3, vcc
	global_load_dword v2, v[2:3], off
	v_mov_b32_e32 v1, s9
	s_waitcnt vmcnt(0)
	v_ashrrev_i32_e32 v3, 31, v2
	v_lshlrev_b64 v[2:3], 3, v[2:3]
	v_add_co_u32_e32 v2, vcc, s8, v2
	v_addc_co_u32_e32 v3, vcc, v1, v3, vcc
	global_load_dwordx4 v[2:5], v[2:3], off
	v_mov_b32_e32 v1, v7
	s_waitcnt vmcnt(0)
	v_sub_co_u32_e32 v4, vcc, v4, v2
	v_subb_co_u32_e32 v5, vcc, v5, v3, vcc
	v_cmp_gt_i64_e32 vcc, v[4:5], v[6:7]
	s_and_saveexec_b64 s[6:7], vcc
	s_cbranch_execz .LBB87_12
; %bb.11:
	v_subrev_co_u32_e32 v1, vcc, s18, v2
	v_subbrev_co_u32_e32 v3, vcc, 0, v3, vcc
	v_add_co_u32_e32 v2, vcc, v1, v6
	v_addc_co_u32_e32 v3, vcc, 0, v3, vcc
	v_lshlrev_b64 v[4:5], 2, v[2:3]
	v_mov_b32_e32 v1, s11
	v_add_co_u32_e32 v4, vcc, s10, v4
	v_addc_co_u32_e32 v5, vcc, v1, v5, vcc
	global_load_dword v1, v[4:5], off
	v_mov_b32_e32 v4, s13
	v_add_co_u32_e32 v2, vcc, s12, v2
	v_addc_co_u32_e32 v3, vcc, v4, v3, vcc
	v_mov_b32_e32 v5, s15
	global_load_sbyte v4, v[2:3], off
	s_waitcnt vmcnt(1)
	v_subrev_u32_e32 v1, s18, v1
	v_ashrrev_i32_e32 v3, 31, v1
	v_add_co_u32_e32 v2, vcc, s14, v1
	v_addc_co_u32_e32 v3, vcc, v5, v3, vcc
	global_load_sbyte v1, v[2:3], off
	s_waitcnt vmcnt(1)
	v_mul_lo_u32 v2, s20, v4
	s_waitcnt vmcnt(0)
	v_mul_lo_u32 v1, v2, v1
.LBB87_12:
	s_or_b64 exec, exec, s[6:7]
	v_lshlrev_b32_e32 v2, 2, v0
	ds_write_b32 v2, v1
.LBB87_13:
	s_or_b64 exec, exec, s[4:5]
	v_or_b32_e32 v1, 0x100, v0
	v_lshrrev_b32_e32 v1, s16, v1
	v_add_u32_e32 v1, s22, v1
	v_cmp_gt_u32_e32 vcc, s23, v1
	s_and_saveexec_b64 s[4:5], vcc
	s_cbranch_execz .LBB87_17
; %bb.14:
	v_add_u32_e32 v8, s21, v1
	v_mov_b32_e32 v9, 0
	v_lshlrev_b64 v[2:3], 2, v[8:9]
	v_mov_b32_e32 v1, s1
	v_add_co_u32_e32 v2, vcc, s0, v2
	v_addc_co_u32_e32 v3, vcc, v1, v3, vcc
	global_load_dword v2, v[2:3], off
	v_mov_b32_e32 v1, s9
	s_waitcnt vmcnt(0)
	v_ashrrev_i32_e32 v3, 31, v2
	v_lshlrev_b64 v[2:3], 3, v[2:3]
	v_add_co_u32_e32 v2, vcc, s8, v2
	v_addc_co_u32_e32 v3, vcc, v1, v3, vcc
	global_load_dwordx4 v[2:5], v[2:3], off
	s_waitcnt vmcnt(0)
	v_sub_co_u32_e32 v4, vcc, v4, v2
	v_subb_co_u32_e32 v5, vcc, v5, v3, vcc
	v_cmp_gt_i64_e32 vcc, v[4:5], v[6:7]
	s_and_saveexec_b64 s[6:7], vcc
	s_cbranch_execz .LBB87_16
; %bb.15:
	v_subrev_co_u32_e32 v1, vcc, s18, v2
	v_subbrev_co_u32_e32 v3, vcc, 0, v3, vcc
	v_add_co_u32_e32 v2, vcc, v1, v6
	v_addc_co_u32_e32 v3, vcc, 0, v3, vcc
	v_lshlrev_b64 v[4:5], 2, v[2:3]
	v_mov_b32_e32 v1, s11
	v_add_co_u32_e32 v4, vcc, s10, v4
	v_addc_co_u32_e32 v5, vcc, v1, v5, vcc
	global_load_dword v1, v[4:5], off
	v_mov_b32_e32 v4, s13
	v_add_co_u32_e32 v2, vcc, s12, v2
	v_addc_co_u32_e32 v3, vcc, v4, v3, vcc
	v_mov_b32_e32 v5, s15
	global_load_sbyte v4, v[2:3], off
	s_waitcnt vmcnt(1)
	v_subrev_u32_e32 v1, s18, v1
	v_ashrrev_i32_e32 v3, 31, v1
	v_add_co_u32_e32 v2, vcc, s14, v1
	v_addc_co_u32_e32 v3, vcc, v5, v3, vcc
	global_load_sbyte v1, v[2:3], off
	s_waitcnt vmcnt(1)
	v_mul_lo_u32 v2, s20, v4
	s_waitcnt vmcnt(0)
	v_mul_lo_u32 v9, v2, v1
.LBB87_16:
	s_or_b64 exec, exec, s[6:7]
	v_lshlrev_b32_e32 v1, 2, v0
	ds_write_b32 v1, v9 offset:1024
.LBB87_17:
	s_or_b64 exec, exec, s[4:5]
	v_or_b32_e32 v1, 0x200, v0
	v_lshrrev_b32_e32 v1, s16, v1
	v_add_u32_e32 v1, s22, v1
	v_cmp_gt_u32_e32 vcc, s23, v1
	s_and_saveexec_b64 s[4:5], vcc
	s_cbranch_execz .LBB87_21
; %bb.18:
	v_add_u32_e32 v8, s21, v1
	v_mov_b32_e32 v9, 0
	v_lshlrev_b64 v[2:3], 2, v[8:9]
	v_mov_b32_e32 v1, s1
	v_add_co_u32_e32 v2, vcc, s0, v2
	v_addc_co_u32_e32 v3, vcc, v1, v3, vcc
	global_load_dword v2, v[2:3], off
	v_mov_b32_e32 v1, s9
	s_waitcnt vmcnt(0)
	v_ashrrev_i32_e32 v3, 31, v2
	v_lshlrev_b64 v[2:3], 3, v[2:3]
	v_add_co_u32_e32 v2, vcc, s8, v2
	v_addc_co_u32_e32 v3, vcc, v1, v3, vcc
	global_load_dwordx4 v[2:5], v[2:3], off
	s_waitcnt vmcnt(0)
	v_sub_co_u32_e32 v4, vcc, v4, v2
	v_subb_co_u32_e32 v5, vcc, v5, v3, vcc
	v_cmp_gt_i64_e32 vcc, v[4:5], v[6:7]
	s_and_saveexec_b64 s[6:7], vcc
	s_cbranch_execz .LBB87_20
; %bb.19:
	v_subrev_co_u32_e32 v1, vcc, s18, v2
	v_subbrev_co_u32_e32 v3, vcc, 0, v3, vcc
	v_add_co_u32_e32 v2, vcc, v1, v6
	v_addc_co_u32_e32 v3, vcc, 0, v3, vcc
	v_lshlrev_b64 v[4:5], 2, v[2:3]
	v_mov_b32_e32 v1, s11
	v_add_co_u32_e32 v4, vcc, s10, v4
	v_addc_co_u32_e32 v5, vcc, v1, v5, vcc
	global_load_dword v1, v[4:5], off
	v_mov_b32_e32 v4, s13
	v_add_co_u32_e32 v2, vcc, s12, v2
	v_addc_co_u32_e32 v3, vcc, v4, v3, vcc
	v_mov_b32_e32 v5, s15
	global_load_sbyte v4, v[2:3], off
	s_waitcnt vmcnt(1)
	v_subrev_u32_e32 v1, s18, v1
	v_ashrrev_i32_e32 v3, 31, v1
	v_add_co_u32_e32 v2, vcc, s14, v1
	v_addc_co_u32_e32 v3, vcc, v5, v3, vcc
	global_load_sbyte v1, v[2:3], off
	s_waitcnt vmcnt(1)
	v_mul_lo_u32 v2, s20, v4
	s_waitcnt vmcnt(0)
	v_mul_lo_u32 v9, v2, v1
.LBB87_20:
	s_or_b64 exec, exec, s[6:7]
	v_lshlrev_b32_e32 v1, 2, v0
	ds_write_b32 v1, v9 offset:2048
.LBB87_21:
	;; [unrolled: 58-line block ×3, first 2 shown]
	s_or_b64 exec, exec, s[4:5]
	s_cmp_lt_u32 s16, 11
	s_waitcnt lgkmcnt(0)
	s_barrier
	s_cbranch_scc0 .LBB87_34
; %bb.26:
	s_sub_i32 s8, s23, s22
	s_add_i32 s21, s21, s22
	s_cmp_lg_u32 s19, 0
	s_mov_b32 s9, 0
	s_cselect_b64 s[4:5], -1, 0
	v_mov_b32_e32 v3, 0
	s_branch .LBB87_29
.LBB87_27:                              ;   in Loop: Header=BB87_29 Depth=1
	v_mov_b32_e32 v1, s3
	v_add_co_u32_e32 v6, vcc, s2, v6
	v_addc_co_u32_e32 v7, vcc, v1, v7, vcc
	global_store_dword v[6:7], v4, off
.LBB87_28:                              ;   in Loop: Header=BB87_29 Depth=1
	s_or_b64 exec, exec, s[6:7]
	s_addk_i32 s9, 0x100
	s_cmp_lt_u32 s9, s17
	s_cbranch_scc0 .LBB87_34
.LBB87_29:                              ; =>This Loop Header: Depth=1
                                        ;     Child Loop BB87_31 Depth 2
	v_add_u32_e32 v1, s9, v0
	v_cmp_gt_u32_e32 vcc, s8, v1
	s_and_saveexec_b64 s[6:7], vcc
	s_cbranch_execz .LBB87_28
; %bb.30:                               ;   in Loop: Header=BB87_29 Depth=1
	v_add_u32_e32 v2, s21, v1
	v_lshlrev_b64 v[4:5], 2, v[2:3]
	v_mov_b32_e32 v2, s1
	v_add_co_u32_e32 v4, vcc, s0, v4
	v_addc_co_u32_e32 v5, vcc, v2, v5, vcc
	global_load_dword v6, v[4:5], off
	v_lshlrev_b32_e32 v1, s16, v1
	v_lshlrev_b32_e32 v1, 2, v1
	s_mov_b32 s10, 1
	v_mov_b32_e32 v4, 0
.LBB87_31:                              ;   Parent Loop BB87_29 Depth=1
                                        ; =>  This Inner Loop Header: Depth=2
	ds_read_b32 v2, v1
	s_lshr_b32 s11, s10, s16
	s_add_i32 s10, s10, 1
	v_add_u32_e32 v1, 4, v1
	s_cmp_lg_u32 s11, 0
	s_waitcnt lgkmcnt(0)
	v_add_u32_e32 v4, v2, v4
	s_cbranch_scc0 .LBB87_31
; %bb.32:                               ;   in Loop: Header=BB87_29 Depth=1
	s_waitcnt vmcnt(0)
	v_ashrrev_i32_e32 v7, 31, v6
	s_and_b64 vcc, exec, s[4:5]
	v_lshlrev_b64 v[6:7], 2, v[6:7]
	s_cbranch_vccz .LBB87_27
; %bb.33:                               ;   in Loop: Header=BB87_29 Depth=1
	v_mov_b32_e32 v1, s3
	v_add_co_u32_e32 v8, vcc, s2, v6
	v_addc_co_u32_e32 v9, vcc, v1, v7, vcc
	global_load_dword v1, v[8:9], off
	s_waitcnt vmcnt(0)
	v_mad_u64_u32 v[4:5], s[10:11], v1, s19, v[4:5]
	s_branch .LBB87_27
.LBB87_34:
	s_endpgm
	.section	.rodata,"a",@progbits
	.p2align	6, 0x0
	.amdhsa_kernel _ZN9rocsparseL30csrmvn_lrb_short_rows_2_kernelIliaaiiEEvbT_PT0_S3_jNS_24const_host_device_scalarIT4_EEPKS1_PKS2_PKT1_PKT2_S6_PT3_21rocsparse_index_base_b
		.amdhsa_group_segment_fixed_size 4096
		.amdhsa_private_segment_fixed_size 0
		.amdhsa_kernarg_size 104
		.amdhsa_user_sgpr_count 6
		.amdhsa_user_sgpr_private_segment_buffer 1
		.amdhsa_user_sgpr_dispatch_ptr 0
		.amdhsa_user_sgpr_queue_ptr 0
		.amdhsa_user_sgpr_kernarg_segment_ptr 1
		.amdhsa_user_sgpr_dispatch_id 0
		.amdhsa_user_sgpr_flat_scratch_init 0
		.amdhsa_user_sgpr_kernarg_preload_length 0
		.amdhsa_user_sgpr_kernarg_preload_offset 0
		.amdhsa_user_sgpr_private_segment_size 0
		.amdhsa_uses_dynamic_stack 0
		.amdhsa_system_sgpr_private_segment_wavefront_offset 0
		.amdhsa_system_sgpr_workgroup_id_x 1
		.amdhsa_system_sgpr_workgroup_id_y 0
		.amdhsa_system_sgpr_workgroup_id_z 0
		.amdhsa_system_sgpr_workgroup_info 0
		.amdhsa_system_vgpr_workitem_id 0
		.amdhsa_next_free_vgpr 10
		.amdhsa_next_free_sgpr 26
		.amdhsa_accum_offset 12
		.amdhsa_reserve_vcc 1
		.amdhsa_reserve_flat_scratch 0
		.amdhsa_float_round_mode_32 0
		.amdhsa_float_round_mode_16_64 0
		.amdhsa_float_denorm_mode_32 3
		.amdhsa_float_denorm_mode_16_64 3
		.amdhsa_dx10_clamp 1
		.amdhsa_ieee_mode 1
		.amdhsa_fp16_overflow 0
		.amdhsa_tg_split 0
		.amdhsa_exception_fp_ieee_invalid_op 0
		.amdhsa_exception_fp_denorm_src 0
		.amdhsa_exception_fp_ieee_div_zero 0
		.amdhsa_exception_fp_ieee_overflow 0
		.amdhsa_exception_fp_ieee_underflow 0
		.amdhsa_exception_fp_ieee_inexact 0
		.amdhsa_exception_int_div_zero 0
	.end_amdhsa_kernel
	.section	.text._ZN9rocsparseL30csrmvn_lrb_short_rows_2_kernelIliaaiiEEvbT_PT0_S3_jNS_24const_host_device_scalarIT4_EEPKS1_PKS2_PKT1_PKT2_S6_PT3_21rocsparse_index_base_b,"axG",@progbits,_ZN9rocsparseL30csrmvn_lrb_short_rows_2_kernelIliaaiiEEvbT_PT0_S3_jNS_24const_host_device_scalarIT4_EEPKS1_PKS2_PKT1_PKT2_S6_PT3_21rocsparse_index_base_b,comdat
.Lfunc_end87:
	.size	_ZN9rocsparseL30csrmvn_lrb_short_rows_2_kernelIliaaiiEEvbT_PT0_S3_jNS_24const_host_device_scalarIT4_EEPKS1_PKS2_PKT1_PKT2_S6_PT3_21rocsparse_index_base_b, .Lfunc_end87-_ZN9rocsparseL30csrmvn_lrb_short_rows_2_kernelIliaaiiEEvbT_PT0_S3_jNS_24const_host_device_scalarIT4_EEPKS1_PKS2_PKT1_PKT2_S6_PT3_21rocsparse_index_base_b
                                        ; -- End function
	.section	.AMDGPU.csdata,"",@progbits
; Kernel info:
; codeLenInByte = 1588
; NumSgprs: 30
; NumVgprs: 10
; NumAgprs: 0
; TotalNumVgprs: 10
; ScratchSize: 0
; MemoryBound: 0
; FloatMode: 240
; IeeeMode: 1
; LDSByteSize: 4096 bytes/workgroup (compile time only)
; SGPRBlocks: 3
; VGPRBlocks: 1
; NumSGPRsForWavesPerEU: 30
; NumVGPRsForWavesPerEU: 10
; AccumOffset: 12
; Occupancy: 8
; WaveLimiterHint : 1
; COMPUTE_PGM_RSRC2:SCRATCH_EN: 0
; COMPUTE_PGM_RSRC2:USER_SGPR: 6
; COMPUTE_PGM_RSRC2:TRAP_HANDLER: 0
; COMPUTE_PGM_RSRC2:TGID_X_EN: 1
; COMPUTE_PGM_RSRC2:TGID_Y_EN: 0
; COMPUTE_PGM_RSRC2:TGID_Z_EN: 0
; COMPUTE_PGM_RSRC2:TIDIG_COMP_CNT: 0
; COMPUTE_PGM_RSRC3_GFX90A:ACCUM_OFFSET: 2
; COMPUTE_PGM_RSRC3_GFX90A:TG_SPLIT: 0
	.section	.text._ZN9rocsparseL41csrmvn_lrb_medium_rows_warp_reduce_kernelILj256ELj32EliaaiiEEvbT1_lPT2_S3_jNS_24const_host_device_scalarIT6_EEPKS1_PKS2_PKT3_PKT4_S6_PT5_21rocsparse_index_base_b,"axG",@progbits,_ZN9rocsparseL41csrmvn_lrb_medium_rows_warp_reduce_kernelILj256ELj32EliaaiiEEvbT1_lPT2_S3_jNS_24const_host_device_scalarIT6_EEPKS1_PKS2_PKT3_PKT4_S6_PT5_21rocsparse_index_base_b,comdat
	.globl	_ZN9rocsparseL41csrmvn_lrb_medium_rows_warp_reduce_kernelILj256ELj32EliaaiiEEvbT1_lPT2_S3_jNS_24const_host_device_scalarIT6_EEPKS1_PKS2_PKT3_PKT4_S6_PT5_21rocsparse_index_base_b ; -- Begin function _ZN9rocsparseL41csrmvn_lrb_medium_rows_warp_reduce_kernelILj256ELj32EliaaiiEEvbT1_lPT2_S3_jNS_24const_host_device_scalarIT6_EEPKS1_PKS2_PKT3_PKT4_S6_PT5_21rocsparse_index_base_b
	.p2align	8
	.type	_ZN9rocsparseL41csrmvn_lrb_medium_rows_warp_reduce_kernelILj256ELj32EliaaiiEEvbT1_lPT2_S3_jNS_24const_host_device_scalarIT6_EEPKS1_PKS2_PKT3_PKT4_S6_PT5_21rocsparse_index_base_b,@function
_ZN9rocsparseL41csrmvn_lrb_medium_rows_warp_reduce_kernelILj256ELj32EliaaiiEEvbT1_lPT2_S3_jNS_24const_host_device_scalarIT6_EEPKS1_PKS2_PKT3_PKT4_S6_PT5_21rocsparse_index_base_b: ; @_ZN9rocsparseL41csrmvn_lrb_medium_rows_warp_reduce_kernelILj256ELj32EliaaiiEEvbT1_lPT2_S3_jNS_24const_host_device_scalarIT6_EEPKS1_PKS2_PKT3_PKT4_S6_PT5_21rocsparse_index_base_b
; %bb.0:
	s_load_dwordx2 s[2:3], s[4:5], 0x68
	s_load_dwordx2 s[10:11], s[4:5], 0x30
	s_mov_b64 s[12:13], -1
                                        ; implicit-def: $sgpr18
	s_waitcnt lgkmcnt(0)
	s_bitcmp1_b32 s3, 0
	s_cselect_b64 s[0:1], -1, 0
	s_xor_b64 s[8:9], s[0:1], -1
	s_and_b64 vcc, exec, s[8:9]
	s_cbranch_vccnz .LBB88_4
; %bb.1:
	s_load_dwordx2 s[0:1], s[4:5], 0x58
	s_andn2_b64 vcc, exec, s[12:13]
	s_cbranch_vccz .LBB88_5
.LBB88_2:
	s_and_b64 vcc, exec, s[8:9]
	s_cbranch_vccz .LBB88_6
.LBB88_3:
	s_waitcnt lgkmcnt(0)
	s_load_dword s3, s[0:1], 0x0
	s_cbranch_execz .LBB88_7
	s_branch .LBB88_8
.LBB88_4:
	s_load_dword s18, s[10:11], 0x0
	s_load_dwordx2 s[0:1], s[4:5], 0x58
	s_cbranch_execnz .LBB88_2
.LBB88_5:
	s_waitcnt lgkmcnt(0)
	s_mov_b32 s18, s10
	s_and_b64 vcc, exec, s[8:9]
	s_cbranch_vccnz .LBB88_3
.LBB88_6:
                                        ; implicit-def: $sgpr3
.LBB88_7:
	s_waitcnt lgkmcnt(0)
	s_mov_b32 s3, s0
.LBB88_8:
	s_waitcnt lgkmcnt(0)
	s_cmp_lg_u32 s18, 0
	s_cselect_b64 s[0:1], -1, 0
	s_cmp_lg_u32 s3, 1
	s_cselect_b64 s[8:9], -1, 0
	s_or_b64 s[0:1], s[0:1], s[8:9]
	s_andn2_b64 vcc, exec, s[0:1]
	s_cbranch_vccnz .LBB88_24
; %bb.9:
	s_load_dwordx2 s[0:1], s[4:5], 0x10
	v_lshrrev_b32_e32 v1, 5, v0
	v_lshl_or_b32 v2, s6, 3, v1
	v_ashrrev_i32_e32 v3, 31, v2
	s_waitcnt lgkmcnt(0)
	v_cmp_gt_i64_e32 vcc, s[0:1], v[2:3]
	s_and_saveexec_b64 s[0:1], vcc
	s_cbranch_execz .LBB88_24
; %bb.10:
	s_load_dword s0, s[4:5], 0x28
	s_load_dwordx4 s[8:11], s[4:5], 0x18
	s_mov_b32 s1, 0
	v_and_b32_e32 v0, 31, v0
	v_mov_b32_e32 v10, 0
	s_waitcnt lgkmcnt(0)
	s_lshl_b64 s[6:7], s[0:1], 2
	s_add_u32 s6, s10, s6
	s_addc_u32 s7, s11, s7
	s_load_dword s0, s[6:7], 0x0
	v_mov_b32_e32 v1, s9
	s_load_dwordx2 s[6:7], s[4:5], 0x38
	s_waitcnt lgkmcnt(0)
	v_add_u32_e32 v2, s0, v2
	v_ashrrev_i32_e32 v3, 31, v2
	v_lshlrev_b64 v[2:3], 2, v[2:3]
	v_add_co_u32_e32 v2, vcc, s8, v2
	v_addc_co_u32_e32 v3, vcc, v1, v3, vcc
	global_load_dword v6, v[2:3], off
	v_mov_b32_e32 v1, s7
	s_waitcnt vmcnt(0)
	v_ashrrev_i32_e32 v7, 31, v6
	v_lshlrev_b64 v[2:3], 3, v[6:7]
	v_add_co_u32_e32 v2, vcc, s6, v2
	v_addc_co_u32_e32 v3, vcc, v1, v3, vcc
	global_load_dwordx4 v[2:5], v[2:3], off
	v_subrev_co_u32_e32 v1, vcc, s2, v0
	v_subb_co_u32_e64 v9, s[6:7], 0, 0, vcc
	s_waitcnt vmcnt(0)
	v_subrev_co_u32_e32 v4, vcc, s2, v4
	v_subbrev_co_u32_e32 v5, vcc, 0, v5, vcc
	v_add_co_u32_e32 v8, vcc, v2, v1
	v_addc_co_u32_e32 v9, vcc, v3, v9, vcc
	v_cmp_lt_i64_e32 vcc, v[8:9], v[4:5]
	s_and_saveexec_b64 s[6:7], vcc
	s_cbranch_execz .LBB88_20
; %bb.11:
	v_add_co_u32_e32 v1, vcc, v2, v0
	v_addc_co_u32_e32 v10, vcc, 0, v3, vcc
	v_mov_b32_e32 v11, s1
	v_subrev_co_u32_e32 v1, vcc, s2, v1
	v_subb_co_u32_e32 v10, vcc, v10, v11, vcc
	v_add_co_u32_e32 v14, vcc, 32, v1
	v_addc_co_u32_e32 v15, vcc, 0, v10, vcc
	v_cmp_gt_i64_e32 vcc, v[14:15], v[4:5]
	v_cndmask_b32_e32 v10, v4, v14, vcc
	v_cndmask_b32_e32 v1, v5, v15, vcc
	v_add_co_u32_e32 v10, vcc, s2, v10
	v_addc_co_u32_e32 v1, vcc, v1, v11, vcc
	v_not_b32_e32 v2, v2
	s_load_dwordx4 s[8:11], s[4:5], 0x40
	s_load_dwordx2 s[12:13], s[4:5], 0x50
	v_not_b32_e32 v3, v3
	v_add_co_u32_e32 v2, vcc, v10, v2
	v_addc_co_u32_e32 v1, vcc, v1, v3, vcc
	v_sub_co_u32_e32 v2, vcc, v2, v0
	v_subbrev_co_u32_e32 v3, vcc, 0, v1, vcc
	v_cmp_lt_u64_e32 vcc, 31, v[2:3]
	s_mov_b64 s[16:17], -1
	v_mov_b32_e32 v10, 0
	s_and_saveexec_b64 s[14:15], vcc
	s_cbranch_execz .LBB88_15
; %bb.12:
	v_lshrrev_b64 v[2:3], 5, v[2:3]
	v_add_co_u32_e32 v2, vcc, 1, v2
	v_addc_co_u32_e32 v3, vcc, 0, v3, vcc
	s_waitcnt lgkmcnt(0)
	v_mov_b32_e32 v1, s11
	v_add_co_u32_e32 v10, vcc, s10, v14
	v_addc_co_u32_e32 v11, vcc, v1, v15, vcc
	v_lshlrev_b64 v[14:15], 2, v[8:9]
	v_mov_b32_e32 v1, s9
	v_add_co_u32_e32 v14, vcc, s8, v14
	v_addc_co_u32_e32 v1, vcc, v15, v1, vcc
	s_movk_i32 s0, 0x80
	v_and_b32_e32 v12, -2, v2
	v_mov_b32_e32 v13, v3
	v_add_co_u32_e32 v16, vcc, s0, v14
	s_mov_b32 s19, s18
	s_mov_b32 s20, s2
	v_addc_co_u32_e32 v17, vcc, 0, v1, vcc
	s_mov_b64 s[16:17], 0
	v_mov_b32_e32 v14, 0
	v_mov_b32_e32 v1, s13
	v_pk_mov_b32 v[20:21], v[12:13], v[12:13] op_sel:[0,1]
	v_mov_b32_e32 v18, 0
.LBB88_13:                              ; =>This Inner Loop Header: Depth=1
	global_load_dword v15, v[16:17], off offset:-128
	global_load_dword v19, v[16:17], off
	global_load_sbyte v26, v[10:11], off
	global_load_sbyte v27, v[10:11], off offset:-32
	s_waitcnt vmcnt(3)
	v_subrev_u32_e32 v15, s2, v15
	s_waitcnt vmcnt(2)
	v_subrev_u32_e32 v19, s20, v19
	v_ashrrev_i32_e32 v23, 31, v19
	v_add_co_u32_e32 v22, vcc, s12, v19
	v_ashrrev_i32_e32 v25, 31, v15
	v_add_co_u32_e64 v24, s[0:1], s12, v15
	v_addc_co_u32_e32 v23, vcc, v1, v23, vcc
	v_addc_co_u32_e64 v25, s[0:1], v1, v25, s[0:1]
	global_load_sbyte v15, v[22:23], off
	global_load_sbyte v28, v[24:25], off
	v_add_co_u32_e32 v20, vcc, -2, v20
	v_addc_co_u32_e32 v21, vcc, -1, v21, vcc
	v_add_co_u32_e32 v10, vcc, 64, v10
	v_addc_co_u32_e32 v11, vcc, 0, v11, vcc
	v_add_co_u32_e32 v16, vcc, 0x100, v16
	v_addc_co_u32_e32 v17, vcc, 0, v17, vcc
	v_cmp_eq_u64_e32 vcc, 0, v[20:21]
	s_waitcnt vmcnt(2)
	v_mul_lo_u32 v22, s18, v27
	v_mul_lo_u32 v19, s19, v26
	s_or_b64 s[16:17], vcc, s[16:17]
	s_waitcnt vmcnt(1)
	v_mad_u64_u32 v[18:19], s[0:1], v19, v15, v[18:19]
	s_waitcnt vmcnt(0)
	v_mad_u64_u32 v[14:15], s[0:1], v22, v28, v[14:15]
	s_andn2_b64 exec, exec, s[16:17]
	s_cbranch_execnz .LBB88_13
; %bb.14:
	s_or_b64 exec, exec, s[16:17]
	v_lshlrev_b64 v[10:11], 5, v[12:13]
	v_add_co_u32_e32 v8, vcc, v8, v10
	v_addc_co_u32_e32 v9, vcc, v9, v11, vcc
	v_mov_b32_e32 v1, v18
	v_cmp_ne_u64_e32 vcc, v[2:3], v[12:13]
	v_add_u32_e32 v10, v14, v1
	s_orn2_b64 s[16:17], vcc, exec
.LBB88_15:
	s_or_b64 exec, exec, s[14:15]
	s_and_saveexec_b64 s[0:1], s[16:17]
	s_cbranch_execz .LBB88_19
; %bb.16:
	v_lshlrev_b64 v[2:3], 2, v[8:9]
	s_waitcnt lgkmcnt(0)
	v_mov_b32_e32 v1, s9
	v_add_co_u32_e32 v2, vcc, s8, v2
	v_addc_co_u32_e32 v3, vcc, v1, v3, vcc
	s_mov_b64 s[8:9], 0
	v_mov_b32_e32 v1, s11
	v_mov_b32_e32 v12, s13
.LBB88_17:                              ; =>This Inner Loop Header: Depth=1
	global_load_dword v11, v[2:3], off
	v_add_co_u32_e32 v14, vcc, s10, v8
	v_addc_co_u32_e32 v15, vcc, v1, v9, vcc
	global_load_sbyte v13, v[14:15], off
	s_waitcnt vmcnt(1)
	v_subrev_u32_e32 v11, s2, v11
	v_ashrrev_i32_e32 v15, 31, v11
	v_add_co_u32_e32 v14, vcc, s12, v11
	v_addc_co_u32_e32 v15, vcc, v12, v15, vcc
	global_load_sbyte v11, v[14:15], off
	v_add_co_u32_e32 v8, vcc, 32, v8
	v_addc_co_u32_e32 v9, vcc, 0, v9, vcc
	v_add_co_u32_e32 v2, vcc, 0x80, v2
	v_addc_co_u32_e32 v3, vcc, 0, v3, vcc
	v_cmp_ge_i64_e32 vcc, v[8:9], v[4:5]
	s_waitcnt vmcnt(1)
	v_mul_lo_u32 v13, s18, v13
	s_or_b64 s[8:9], vcc, s[8:9]
	s_waitcnt vmcnt(0)
	v_mad_u64_u32 v[10:11], s[14:15], v13, v11, v[10:11]
	s_andn2_b64 exec, exec, s[8:9]
	s_cbranch_execnz .LBB88_17
; %bb.18:
	s_or_b64 exec, exec, s[8:9]
.LBB88_19:
	s_or_b64 exec, exec, s[0:1]
.LBB88_20:
	s_or_b64 exec, exec, s[6:7]
	v_mov_b32_dpp v1, v10 row_shr:1 row_mask:0xf bank_mask:0xf
	v_add_u32_e32 v1, v1, v10
	v_cmp_eq_u32_e32 vcc, 31, v0
	s_nop 0
	v_mov_b32_dpp v2, v1 row_shr:2 row_mask:0xf bank_mask:0xf
	v_add_u32_e32 v1, v1, v2
	s_nop 1
	v_mov_b32_dpp v2, v1 row_shr:4 row_mask:0xf bank_mask:0xe
	v_add_u32_e32 v1, v1, v2
	;; [unrolled: 3-line block ×3, first 2 shown]
	s_nop 1
	v_mov_b32_dpp v2, v1 row_bcast:15 row_mask:0xa bank_mask:0xf
	s_and_b64 exec, exec, vcc
	s_cbranch_execz .LBB88_24
; %bb.21:
	s_load_dwordx2 s[0:1], s[4:5], 0x60
	v_add_u32_e32 v0, v1, v2
	s_cmp_eq_u32 s3, 0
	v_lshlrev_b64 v[2:3], 2, v[6:7]
	s_cbranch_scc1 .LBB88_23
; %bb.22:
	s_waitcnt lgkmcnt(0)
	v_mov_b32_e32 v1, s1
	v_add_co_u32_e32 v4, vcc, s0, v2
	v_addc_co_u32_e32 v5, vcc, v1, v3, vcc
	global_load_dword v1, v[4:5], off
	s_waitcnt vmcnt(0)
	v_mad_u64_u32 v[0:1], s[2:3], v1, s3, v[0:1]
.LBB88_23:
	s_waitcnt lgkmcnt(0)
	v_mov_b32_e32 v1, s1
	v_add_co_u32_e32 v2, vcc, s0, v2
	v_addc_co_u32_e32 v3, vcc, v1, v3, vcc
	global_store_dword v[2:3], v0, off
.LBB88_24:
	s_endpgm
	.section	.rodata,"a",@progbits
	.p2align	6, 0x0
	.amdhsa_kernel _ZN9rocsparseL41csrmvn_lrb_medium_rows_warp_reduce_kernelILj256ELj32EliaaiiEEvbT1_lPT2_S3_jNS_24const_host_device_scalarIT6_EEPKS1_PKS2_PKT3_PKT4_S6_PT5_21rocsparse_index_base_b
		.amdhsa_group_segment_fixed_size 0
		.amdhsa_private_segment_fixed_size 0
		.amdhsa_kernarg_size 112
		.amdhsa_user_sgpr_count 6
		.amdhsa_user_sgpr_private_segment_buffer 1
		.amdhsa_user_sgpr_dispatch_ptr 0
		.amdhsa_user_sgpr_queue_ptr 0
		.amdhsa_user_sgpr_kernarg_segment_ptr 1
		.amdhsa_user_sgpr_dispatch_id 0
		.amdhsa_user_sgpr_flat_scratch_init 0
		.amdhsa_user_sgpr_kernarg_preload_length 0
		.amdhsa_user_sgpr_kernarg_preload_offset 0
		.amdhsa_user_sgpr_private_segment_size 0
		.amdhsa_uses_dynamic_stack 0
		.amdhsa_system_sgpr_private_segment_wavefront_offset 0
		.amdhsa_system_sgpr_workgroup_id_x 1
		.amdhsa_system_sgpr_workgroup_id_y 0
		.amdhsa_system_sgpr_workgroup_id_z 0
		.amdhsa_system_sgpr_workgroup_info 0
		.amdhsa_system_vgpr_workitem_id 0
		.amdhsa_next_free_vgpr 29
		.amdhsa_next_free_sgpr 21
		.amdhsa_accum_offset 32
		.amdhsa_reserve_vcc 1
		.amdhsa_reserve_flat_scratch 0
		.amdhsa_float_round_mode_32 0
		.amdhsa_float_round_mode_16_64 0
		.amdhsa_float_denorm_mode_32 3
		.amdhsa_float_denorm_mode_16_64 3
		.amdhsa_dx10_clamp 1
		.amdhsa_ieee_mode 1
		.amdhsa_fp16_overflow 0
		.amdhsa_tg_split 0
		.amdhsa_exception_fp_ieee_invalid_op 0
		.amdhsa_exception_fp_denorm_src 0
		.amdhsa_exception_fp_ieee_div_zero 0
		.amdhsa_exception_fp_ieee_overflow 0
		.amdhsa_exception_fp_ieee_underflow 0
		.amdhsa_exception_fp_ieee_inexact 0
		.amdhsa_exception_int_div_zero 0
	.end_amdhsa_kernel
	.section	.text._ZN9rocsparseL41csrmvn_lrb_medium_rows_warp_reduce_kernelILj256ELj32EliaaiiEEvbT1_lPT2_S3_jNS_24const_host_device_scalarIT6_EEPKS1_PKS2_PKT3_PKT4_S6_PT5_21rocsparse_index_base_b,"axG",@progbits,_ZN9rocsparseL41csrmvn_lrb_medium_rows_warp_reduce_kernelILj256ELj32EliaaiiEEvbT1_lPT2_S3_jNS_24const_host_device_scalarIT6_EEPKS1_PKS2_PKT3_PKT4_S6_PT5_21rocsparse_index_base_b,comdat
.Lfunc_end88:
	.size	_ZN9rocsparseL41csrmvn_lrb_medium_rows_warp_reduce_kernelILj256ELj32EliaaiiEEvbT1_lPT2_S3_jNS_24const_host_device_scalarIT6_EEPKS1_PKS2_PKT3_PKT4_S6_PT5_21rocsparse_index_base_b, .Lfunc_end88-_ZN9rocsparseL41csrmvn_lrb_medium_rows_warp_reduce_kernelILj256ELj32EliaaiiEEvbT1_lPT2_S3_jNS_24const_host_device_scalarIT6_EEPKS1_PKS2_PKT3_PKT4_S6_PT5_21rocsparse_index_base_b
                                        ; -- End function
	.section	.AMDGPU.csdata,"",@progbits
; Kernel info:
; codeLenInByte = 1164
; NumSgprs: 25
; NumVgprs: 29
; NumAgprs: 0
; TotalNumVgprs: 29
; ScratchSize: 0
; MemoryBound: 0
; FloatMode: 240
; IeeeMode: 1
; LDSByteSize: 0 bytes/workgroup (compile time only)
; SGPRBlocks: 3
; VGPRBlocks: 3
; NumSGPRsForWavesPerEU: 25
; NumVGPRsForWavesPerEU: 29
; AccumOffset: 32
; Occupancy: 8
; WaveLimiterHint : 1
; COMPUTE_PGM_RSRC2:SCRATCH_EN: 0
; COMPUTE_PGM_RSRC2:USER_SGPR: 6
; COMPUTE_PGM_RSRC2:TRAP_HANDLER: 0
; COMPUTE_PGM_RSRC2:TGID_X_EN: 1
; COMPUTE_PGM_RSRC2:TGID_Y_EN: 0
; COMPUTE_PGM_RSRC2:TGID_Z_EN: 0
; COMPUTE_PGM_RSRC2:TIDIG_COMP_CNT: 0
; COMPUTE_PGM_RSRC3_GFX90A:ACCUM_OFFSET: 7
; COMPUTE_PGM_RSRC3_GFX90A:TG_SPLIT: 0
	.section	.text._ZN9rocsparseL41csrmvn_lrb_medium_rows_warp_reduce_kernelILj256ELj64EliaaiiEEvbT1_lPT2_S3_jNS_24const_host_device_scalarIT6_EEPKS1_PKS2_PKT3_PKT4_S6_PT5_21rocsparse_index_base_b,"axG",@progbits,_ZN9rocsparseL41csrmvn_lrb_medium_rows_warp_reduce_kernelILj256ELj64EliaaiiEEvbT1_lPT2_S3_jNS_24const_host_device_scalarIT6_EEPKS1_PKS2_PKT3_PKT4_S6_PT5_21rocsparse_index_base_b,comdat
	.globl	_ZN9rocsparseL41csrmvn_lrb_medium_rows_warp_reduce_kernelILj256ELj64EliaaiiEEvbT1_lPT2_S3_jNS_24const_host_device_scalarIT6_EEPKS1_PKS2_PKT3_PKT4_S6_PT5_21rocsparse_index_base_b ; -- Begin function _ZN9rocsparseL41csrmvn_lrb_medium_rows_warp_reduce_kernelILj256ELj64EliaaiiEEvbT1_lPT2_S3_jNS_24const_host_device_scalarIT6_EEPKS1_PKS2_PKT3_PKT4_S6_PT5_21rocsparse_index_base_b
	.p2align	8
	.type	_ZN9rocsparseL41csrmvn_lrb_medium_rows_warp_reduce_kernelILj256ELj64EliaaiiEEvbT1_lPT2_S3_jNS_24const_host_device_scalarIT6_EEPKS1_PKS2_PKT3_PKT4_S6_PT5_21rocsparse_index_base_b,@function
_ZN9rocsparseL41csrmvn_lrb_medium_rows_warp_reduce_kernelILj256ELj64EliaaiiEEvbT1_lPT2_S3_jNS_24const_host_device_scalarIT6_EEPKS1_PKS2_PKT3_PKT4_S6_PT5_21rocsparse_index_base_b: ; @_ZN9rocsparseL41csrmvn_lrb_medium_rows_warp_reduce_kernelILj256ELj64EliaaiiEEvbT1_lPT2_S3_jNS_24const_host_device_scalarIT6_EEPKS1_PKS2_PKT3_PKT4_S6_PT5_21rocsparse_index_base_b
; %bb.0:
	s_load_dwordx2 s[2:3], s[4:5], 0x68
	s_load_dwordx2 s[10:11], s[4:5], 0x30
	s_mov_b64 s[12:13], -1
                                        ; implicit-def: $sgpr18
	s_waitcnt lgkmcnt(0)
	s_bitcmp1_b32 s3, 0
	s_cselect_b64 s[0:1], -1, 0
	s_xor_b64 s[8:9], s[0:1], -1
	s_and_b64 vcc, exec, s[8:9]
	s_cbranch_vccnz .LBB89_4
; %bb.1:
	s_load_dwordx2 s[0:1], s[4:5], 0x58
	s_andn2_b64 vcc, exec, s[12:13]
	s_cbranch_vccz .LBB89_5
.LBB89_2:
	s_and_b64 vcc, exec, s[8:9]
	s_cbranch_vccz .LBB89_6
.LBB89_3:
	s_waitcnt lgkmcnt(0)
	s_load_dword s3, s[0:1], 0x0
	s_cbranch_execz .LBB89_7
	s_branch .LBB89_8
.LBB89_4:
	s_load_dword s18, s[10:11], 0x0
	s_load_dwordx2 s[0:1], s[4:5], 0x58
	s_cbranch_execnz .LBB89_2
.LBB89_5:
	s_waitcnt lgkmcnt(0)
	s_mov_b32 s18, s10
	s_and_b64 vcc, exec, s[8:9]
	s_cbranch_vccnz .LBB89_3
.LBB89_6:
                                        ; implicit-def: $sgpr3
.LBB89_7:
	s_waitcnt lgkmcnt(0)
	s_mov_b32 s3, s0
.LBB89_8:
	s_waitcnt lgkmcnt(0)
	s_cmp_lg_u32 s18, 0
	s_cselect_b64 s[0:1], -1, 0
	s_cmp_lg_u32 s3, 1
	s_cselect_b64 s[8:9], -1, 0
	s_or_b64 s[0:1], s[0:1], s[8:9]
	s_andn2_b64 vcc, exec, s[0:1]
	s_cbranch_vccnz .LBB89_24
; %bb.9:
	s_load_dwordx2 s[0:1], s[4:5], 0x10
	v_lshrrev_b32_e32 v1, 6, v0
	v_lshl_or_b32 v2, s6, 2, v1
	v_ashrrev_i32_e32 v3, 31, v2
	s_waitcnt lgkmcnt(0)
	v_cmp_gt_i64_e32 vcc, s[0:1], v[2:3]
	s_and_saveexec_b64 s[0:1], vcc
	s_cbranch_execz .LBB89_24
; %bb.10:
	s_load_dword s0, s[4:5], 0x28
	s_load_dwordx4 s[8:11], s[4:5], 0x18
	s_mov_b32 s1, 0
	v_and_b32_e32 v0, 63, v0
	v_mov_b32_e32 v10, 0
	s_waitcnt lgkmcnt(0)
	s_lshl_b64 s[6:7], s[0:1], 2
	s_add_u32 s6, s10, s6
	s_addc_u32 s7, s11, s7
	s_load_dword s0, s[6:7], 0x0
	v_mov_b32_e32 v1, s9
	s_load_dwordx2 s[6:7], s[4:5], 0x38
	s_waitcnt lgkmcnt(0)
	v_add_u32_e32 v2, s0, v2
	v_ashrrev_i32_e32 v3, 31, v2
	v_lshlrev_b64 v[2:3], 2, v[2:3]
	v_add_co_u32_e32 v2, vcc, s8, v2
	v_addc_co_u32_e32 v3, vcc, v1, v3, vcc
	global_load_dword v6, v[2:3], off
	v_mov_b32_e32 v1, s7
	s_waitcnt vmcnt(0)
	v_ashrrev_i32_e32 v7, 31, v6
	v_lshlrev_b64 v[2:3], 3, v[6:7]
	v_add_co_u32_e32 v2, vcc, s6, v2
	v_addc_co_u32_e32 v3, vcc, v1, v3, vcc
	global_load_dwordx4 v[2:5], v[2:3], off
	v_subrev_co_u32_e32 v1, vcc, s2, v0
	v_subb_co_u32_e64 v9, s[6:7], 0, 0, vcc
	s_waitcnt vmcnt(0)
	v_subrev_co_u32_e32 v4, vcc, s2, v4
	v_subbrev_co_u32_e32 v5, vcc, 0, v5, vcc
	v_add_co_u32_e32 v8, vcc, v2, v1
	v_addc_co_u32_e32 v9, vcc, v3, v9, vcc
	v_cmp_lt_i64_e32 vcc, v[8:9], v[4:5]
	s_and_saveexec_b64 s[6:7], vcc
	s_cbranch_execz .LBB89_20
; %bb.11:
	v_add_co_u32_e32 v1, vcc, v2, v0
	v_addc_co_u32_e32 v10, vcc, 0, v3, vcc
	v_mov_b32_e32 v11, s1
	v_subrev_co_u32_e32 v1, vcc, s2, v1
	v_subb_co_u32_e32 v10, vcc, v10, v11, vcc
	v_add_co_u32_e32 v14, vcc, 64, v1
	v_addc_co_u32_e32 v15, vcc, 0, v10, vcc
	v_cmp_gt_i64_e32 vcc, v[14:15], v[4:5]
	v_cndmask_b32_e32 v10, v4, v14, vcc
	v_cndmask_b32_e32 v1, v5, v15, vcc
	v_add_co_u32_e32 v10, vcc, s2, v10
	v_addc_co_u32_e32 v1, vcc, v1, v11, vcc
	v_not_b32_e32 v2, v2
	s_load_dwordx4 s[8:11], s[4:5], 0x40
	s_load_dwordx2 s[12:13], s[4:5], 0x50
	v_not_b32_e32 v3, v3
	v_add_co_u32_e32 v2, vcc, v10, v2
	v_addc_co_u32_e32 v1, vcc, v1, v3, vcc
	v_sub_co_u32_e32 v2, vcc, v2, v0
	v_subbrev_co_u32_e32 v3, vcc, 0, v1, vcc
	v_cmp_lt_u64_e32 vcc, 63, v[2:3]
	s_mov_b64 s[16:17], -1
	v_mov_b32_e32 v10, 0
	s_and_saveexec_b64 s[14:15], vcc
	s_cbranch_execz .LBB89_15
; %bb.12:
	v_lshrrev_b64 v[2:3], 6, v[2:3]
	v_add_co_u32_e32 v2, vcc, 1, v2
	v_addc_co_u32_e32 v3, vcc, 0, v3, vcc
	s_waitcnt lgkmcnt(0)
	v_mov_b32_e32 v1, s11
	v_add_co_u32_e32 v10, vcc, s10, v14
	v_addc_co_u32_e32 v11, vcc, v1, v15, vcc
	v_lshlrev_b64 v[14:15], 2, v[8:9]
	v_mov_b32_e32 v1, s9
	v_add_co_u32_e32 v14, vcc, s8, v14
	v_addc_co_u32_e32 v1, vcc, v15, v1, vcc
	s_movk_i32 s0, 0x100
	v_and_b32_e32 v12, -2, v2
	v_mov_b32_e32 v13, v3
	v_add_co_u32_e32 v16, vcc, s0, v14
	s_mov_b32 s19, s18
	s_mov_b32 s20, s2
	v_addc_co_u32_e32 v17, vcc, 0, v1, vcc
	s_mov_b64 s[16:17], 0
	v_mov_b32_e32 v14, 0
	v_mov_b32_e32 v1, s13
	v_pk_mov_b32 v[20:21], v[12:13], v[12:13] op_sel:[0,1]
	v_mov_b32_e32 v18, 0
.LBB89_13:                              ; =>This Inner Loop Header: Depth=1
	global_load_dword v15, v[16:17], off offset:-256
	global_load_dword v19, v[16:17], off
	global_load_sbyte v26, v[10:11], off
	global_load_sbyte v27, v[10:11], off offset:-64
	s_waitcnt vmcnt(3)
	v_subrev_u32_e32 v15, s2, v15
	s_waitcnt vmcnt(2)
	v_subrev_u32_e32 v19, s20, v19
	v_ashrrev_i32_e32 v23, 31, v19
	v_add_co_u32_e32 v22, vcc, s12, v19
	v_ashrrev_i32_e32 v25, 31, v15
	v_add_co_u32_e64 v24, s[0:1], s12, v15
	v_addc_co_u32_e32 v23, vcc, v1, v23, vcc
	v_addc_co_u32_e64 v25, s[0:1], v1, v25, s[0:1]
	global_load_sbyte v15, v[22:23], off
	global_load_sbyte v28, v[24:25], off
	v_add_co_u32_e32 v20, vcc, -2, v20
	v_addc_co_u32_e32 v21, vcc, -1, v21, vcc
	v_add_co_u32_e32 v10, vcc, 0x80, v10
	v_addc_co_u32_e32 v11, vcc, 0, v11, vcc
	v_add_co_u32_e32 v16, vcc, 0x200, v16
	v_cmp_eq_u64_e64 s[0:1], 0, v[20:21]
	s_waitcnt vmcnt(2)
	v_mul_lo_u32 v22, s18, v27
	v_mul_lo_u32 v19, s19, v26
	v_addc_co_u32_e32 v17, vcc, 0, v17, vcc
	s_or_b64 s[16:17], s[0:1], s[16:17]
	s_waitcnt vmcnt(1)
	v_mad_u64_u32 v[18:19], s[0:1], v19, v15, v[18:19]
	s_waitcnt vmcnt(0)
	v_mad_u64_u32 v[14:15], s[0:1], v22, v28, v[14:15]
	s_andn2_b64 exec, exec, s[16:17]
	s_cbranch_execnz .LBB89_13
; %bb.14:
	s_or_b64 exec, exec, s[16:17]
	v_lshlrev_b64 v[10:11], 6, v[12:13]
	v_add_co_u32_e32 v8, vcc, v8, v10
	v_addc_co_u32_e32 v9, vcc, v9, v11, vcc
	v_mov_b32_e32 v1, v18
	v_cmp_ne_u64_e32 vcc, v[2:3], v[12:13]
	v_add_u32_e32 v10, v14, v1
	s_orn2_b64 s[16:17], vcc, exec
.LBB89_15:
	s_or_b64 exec, exec, s[14:15]
	s_and_saveexec_b64 s[0:1], s[16:17]
	s_cbranch_execz .LBB89_19
; %bb.16:
	v_lshlrev_b64 v[2:3], 2, v[8:9]
	s_waitcnt lgkmcnt(0)
	v_mov_b32_e32 v1, s9
	v_add_co_u32_e32 v2, vcc, s8, v2
	v_addc_co_u32_e32 v3, vcc, v1, v3, vcc
	s_mov_b64 s[8:9], 0
	v_mov_b32_e32 v1, s11
	v_mov_b32_e32 v12, s13
.LBB89_17:                              ; =>This Inner Loop Header: Depth=1
	global_load_dword v11, v[2:3], off
	v_add_co_u32_e32 v14, vcc, s10, v8
	v_addc_co_u32_e32 v15, vcc, v1, v9, vcc
	global_load_sbyte v13, v[14:15], off
	s_waitcnt vmcnt(1)
	v_subrev_u32_e32 v11, s2, v11
	v_ashrrev_i32_e32 v15, 31, v11
	v_add_co_u32_e32 v14, vcc, s12, v11
	v_addc_co_u32_e32 v15, vcc, v12, v15, vcc
	global_load_sbyte v11, v[14:15], off
	v_add_co_u32_e32 v8, vcc, 64, v8
	v_addc_co_u32_e32 v9, vcc, 0, v9, vcc
	v_add_co_u32_e32 v2, vcc, 0x100, v2
	v_addc_co_u32_e32 v3, vcc, 0, v3, vcc
	v_cmp_ge_i64_e32 vcc, v[8:9], v[4:5]
	s_waitcnt vmcnt(1)
	v_mul_lo_u32 v13, s18, v13
	s_or_b64 s[8:9], vcc, s[8:9]
	s_waitcnt vmcnt(0)
	v_mad_u64_u32 v[10:11], s[14:15], v13, v11, v[10:11]
	s_andn2_b64 exec, exec, s[8:9]
	s_cbranch_execnz .LBB89_17
; %bb.18:
	s_or_b64 exec, exec, s[8:9]
.LBB89_19:
	s_or_b64 exec, exec, s[0:1]
.LBB89_20:
	s_or_b64 exec, exec, s[6:7]
	v_mov_b32_dpp v1, v10 row_shr:1 row_mask:0xf bank_mask:0xf
	v_add_u32_e32 v1, v1, v10
	v_cmp_eq_u32_e32 vcc, 63, v0
	s_nop 0
	v_mov_b32_dpp v2, v1 row_shr:2 row_mask:0xf bank_mask:0xf
	v_add_u32_e32 v1, v1, v2
	s_nop 1
	v_mov_b32_dpp v2, v1 row_shr:4 row_mask:0xf bank_mask:0xe
	v_add_u32_e32 v1, v1, v2
	;; [unrolled: 3-line block ×3, first 2 shown]
	s_nop 1
	v_mov_b32_dpp v2, v1 row_bcast:15 row_mask:0xa bank_mask:0xf
	v_add_u32_e32 v1, v1, v2
	s_nop 1
	v_mov_b32_dpp v2, v1 row_bcast:31 row_mask:0xc bank_mask:0xf
	s_and_b64 exec, exec, vcc
	s_cbranch_execz .LBB89_24
; %bb.21:
	s_load_dwordx2 s[0:1], s[4:5], 0x60
	v_add_u32_e32 v0, v1, v2
	s_cmp_eq_u32 s3, 0
	v_lshlrev_b64 v[2:3], 2, v[6:7]
	s_cbranch_scc1 .LBB89_23
; %bb.22:
	s_waitcnt lgkmcnt(0)
	v_mov_b32_e32 v1, s1
	v_add_co_u32_e32 v4, vcc, s0, v2
	v_addc_co_u32_e32 v5, vcc, v1, v3, vcc
	global_load_dword v1, v[4:5], off
	s_waitcnt vmcnt(0)
	v_mad_u64_u32 v[0:1], s[2:3], v1, s3, v[0:1]
.LBB89_23:
	s_waitcnt lgkmcnt(0)
	v_mov_b32_e32 v1, s1
	v_add_co_u32_e32 v2, vcc, s0, v2
	v_addc_co_u32_e32 v3, vcc, v1, v3, vcc
	global_store_dword v[2:3], v0, off
.LBB89_24:
	s_endpgm
	.section	.rodata,"a",@progbits
	.p2align	6, 0x0
	.amdhsa_kernel _ZN9rocsparseL41csrmvn_lrb_medium_rows_warp_reduce_kernelILj256ELj64EliaaiiEEvbT1_lPT2_S3_jNS_24const_host_device_scalarIT6_EEPKS1_PKS2_PKT3_PKT4_S6_PT5_21rocsparse_index_base_b
		.amdhsa_group_segment_fixed_size 0
		.amdhsa_private_segment_fixed_size 0
		.amdhsa_kernarg_size 112
		.amdhsa_user_sgpr_count 6
		.amdhsa_user_sgpr_private_segment_buffer 1
		.amdhsa_user_sgpr_dispatch_ptr 0
		.amdhsa_user_sgpr_queue_ptr 0
		.amdhsa_user_sgpr_kernarg_segment_ptr 1
		.amdhsa_user_sgpr_dispatch_id 0
		.amdhsa_user_sgpr_flat_scratch_init 0
		.amdhsa_user_sgpr_kernarg_preload_length 0
		.amdhsa_user_sgpr_kernarg_preload_offset 0
		.amdhsa_user_sgpr_private_segment_size 0
		.amdhsa_uses_dynamic_stack 0
		.amdhsa_system_sgpr_private_segment_wavefront_offset 0
		.amdhsa_system_sgpr_workgroup_id_x 1
		.amdhsa_system_sgpr_workgroup_id_y 0
		.amdhsa_system_sgpr_workgroup_id_z 0
		.amdhsa_system_sgpr_workgroup_info 0
		.amdhsa_system_vgpr_workitem_id 0
		.amdhsa_next_free_vgpr 29
		.amdhsa_next_free_sgpr 21
		.amdhsa_accum_offset 32
		.amdhsa_reserve_vcc 1
		.amdhsa_reserve_flat_scratch 0
		.amdhsa_float_round_mode_32 0
		.amdhsa_float_round_mode_16_64 0
		.amdhsa_float_denorm_mode_32 3
		.amdhsa_float_denorm_mode_16_64 3
		.amdhsa_dx10_clamp 1
		.amdhsa_ieee_mode 1
		.amdhsa_fp16_overflow 0
		.amdhsa_tg_split 0
		.amdhsa_exception_fp_ieee_invalid_op 0
		.amdhsa_exception_fp_denorm_src 0
		.amdhsa_exception_fp_ieee_div_zero 0
		.amdhsa_exception_fp_ieee_overflow 0
		.amdhsa_exception_fp_ieee_underflow 0
		.amdhsa_exception_fp_ieee_inexact 0
		.amdhsa_exception_int_div_zero 0
	.end_amdhsa_kernel
	.section	.text._ZN9rocsparseL41csrmvn_lrb_medium_rows_warp_reduce_kernelILj256ELj64EliaaiiEEvbT1_lPT2_S3_jNS_24const_host_device_scalarIT6_EEPKS1_PKS2_PKT3_PKT4_S6_PT5_21rocsparse_index_base_b,"axG",@progbits,_ZN9rocsparseL41csrmvn_lrb_medium_rows_warp_reduce_kernelILj256ELj64EliaaiiEEvbT1_lPT2_S3_jNS_24const_host_device_scalarIT6_EEPKS1_PKS2_PKT3_PKT4_S6_PT5_21rocsparse_index_base_b,comdat
.Lfunc_end89:
	.size	_ZN9rocsparseL41csrmvn_lrb_medium_rows_warp_reduce_kernelILj256ELj64EliaaiiEEvbT1_lPT2_S3_jNS_24const_host_device_scalarIT6_EEPKS1_PKS2_PKT3_PKT4_S6_PT5_21rocsparse_index_base_b, .Lfunc_end89-_ZN9rocsparseL41csrmvn_lrb_medium_rows_warp_reduce_kernelILj256ELj64EliaaiiEEvbT1_lPT2_S3_jNS_24const_host_device_scalarIT6_EEPKS1_PKS2_PKT3_PKT4_S6_PT5_21rocsparse_index_base_b
                                        ; -- End function
	.section	.AMDGPU.csdata,"",@progbits
; Kernel info:
; codeLenInByte = 1188
; NumSgprs: 25
; NumVgprs: 29
; NumAgprs: 0
; TotalNumVgprs: 29
; ScratchSize: 0
; MemoryBound: 0
; FloatMode: 240
; IeeeMode: 1
; LDSByteSize: 0 bytes/workgroup (compile time only)
; SGPRBlocks: 3
; VGPRBlocks: 3
; NumSGPRsForWavesPerEU: 25
; NumVGPRsForWavesPerEU: 29
; AccumOffset: 32
; Occupancy: 8
; WaveLimiterHint : 1
; COMPUTE_PGM_RSRC2:SCRATCH_EN: 0
; COMPUTE_PGM_RSRC2:USER_SGPR: 6
; COMPUTE_PGM_RSRC2:TRAP_HANDLER: 0
; COMPUTE_PGM_RSRC2:TGID_X_EN: 1
; COMPUTE_PGM_RSRC2:TGID_Y_EN: 0
; COMPUTE_PGM_RSRC2:TGID_Z_EN: 0
; COMPUTE_PGM_RSRC2:TIDIG_COMP_CNT: 0
; COMPUTE_PGM_RSRC3_GFX90A:ACCUM_OFFSET: 7
; COMPUTE_PGM_RSRC3_GFX90A:TG_SPLIT: 0
	.section	.text._ZN9rocsparseL29csrmvn_lrb_medium_rows_kernelILj256EliaaiiEEvbT0_PT1_S3_jNS_24const_host_device_scalarIT5_EEPKS1_PKS2_PKT2_PKT3_S6_PT4_21rocsparse_index_base_b,"axG",@progbits,_ZN9rocsparseL29csrmvn_lrb_medium_rows_kernelILj256EliaaiiEEvbT0_PT1_S3_jNS_24const_host_device_scalarIT5_EEPKS1_PKS2_PKT2_PKT3_S6_PT4_21rocsparse_index_base_b,comdat
	.globl	_ZN9rocsparseL29csrmvn_lrb_medium_rows_kernelILj256EliaaiiEEvbT0_PT1_S3_jNS_24const_host_device_scalarIT5_EEPKS1_PKS2_PKT2_PKT3_S6_PT4_21rocsparse_index_base_b ; -- Begin function _ZN9rocsparseL29csrmvn_lrb_medium_rows_kernelILj256EliaaiiEEvbT0_PT1_S3_jNS_24const_host_device_scalarIT5_EEPKS1_PKS2_PKT2_PKT3_S6_PT4_21rocsparse_index_base_b
	.p2align	8
	.type	_ZN9rocsparseL29csrmvn_lrb_medium_rows_kernelILj256EliaaiiEEvbT0_PT1_S3_jNS_24const_host_device_scalarIT5_EEPKS1_PKS2_PKT2_PKT3_S6_PT4_21rocsparse_index_base_b,@function
_ZN9rocsparseL29csrmvn_lrb_medium_rows_kernelILj256EliaaiiEEvbT0_PT1_S3_jNS_24const_host_device_scalarIT5_EEPKS1_PKS2_PKT2_PKT3_S6_PT4_21rocsparse_index_base_b: ; @_ZN9rocsparseL29csrmvn_lrb_medium_rows_kernelILj256EliaaiiEEvbT0_PT1_S3_jNS_24const_host_device_scalarIT5_EEPKS1_PKS2_PKT2_PKT3_S6_PT4_21rocsparse_index_base_b
; %bb.0:
	s_load_dwordx2 s[12:13], s[4:5], 0x60
	s_load_dwordx2 s[8:9], s[4:5], 0x28
	s_mov_b64 s[10:11], -1
                                        ; implicit-def: $sgpr22
	s_waitcnt lgkmcnt(0)
	s_bitcmp1_b32 s13, 0
	s_cselect_b64 s[0:1], -1, 0
	s_xor_b64 s[2:3], s[0:1], -1
	s_and_b64 vcc, exec, s[2:3]
	s_cbranch_vccnz .LBB90_4
; %bb.1:
	s_load_dwordx2 s[0:1], s[4:5], 0x50
	s_andn2_b64 vcc, exec, s[10:11]
	s_cbranch_vccz .LBB90_5
.LBB90_2:
	s_and_b64 vcc, exec, s[2:3]
	s_cbranch_vccz .LBB90_6
.LBB90_3:
	s_waitcnt lgkmcnt(0)
	s_load_dword s13, s[0:1], 0x0
	s_cbranch_execz .LBB90_7
	s_branch .LBB90_8
.LBB90_4:
	s_load_dword s22, s[8:9], 0x0
	s_load_dwordx2 s[0:1], s[4:5], 0x50
	s_cbranch_execnz .LBB90_2
.LBB90_5:
	s_waitcnt lgkmcnt(0)
	s_mov_b32 s22, s8
	s_and_b64 vcc, exec, s[2:3]
	s_cbranch_vccnz .LBB90_3
.LBB90_6:
                                        ; implicit-def: $sgpr13
.LBB90_7:
	s_waitcnt lgkmcnt(0)
	s_mov_b32 s13, s0
.LBB90_8:
	s_waitcnt lgkmcnt(0)
	s_cmp_lg_u32 s22, 0
	s_cselect_b64 s[0:1], -1, 0
	s_cmp_lg_u32 s13, 1
	s_cselect_b64 s[2:3], -1, 0
	s_or_b64 s[0:1], s[0:1], s[2:3]
	s_andn2_b64 vcc, exec, s[0:1]
	s_mov_b32 s18, 0
	s_cbranch_vccnz .LBB90_39
; %bb.9:
	s_load_dword s8, s[4:5], 0x20
	s_load_dwordx4 s[0:3], s[4:5], 0x10
	s_mov_b32 s9, s18
	v_subrev_co_u32_e32 v1, vcc, s12, v0
	s_waitcnt lgkmcnt(0)
	s_lshl_b64 s[8:9], s[8:9], 2
	s_add_u32 s2, s2, s8
	s_addc_u32 s3, s3, s9
	s_load_dword s2, s[2:3], 0x0
	v_subb_co_u32_e64 v3, s[8:9], 0, 0, vcc
	v_mov_b32_e32 v4, 0
	s_waitcnt lgkmcnt(0)
	s_add_i32 s2, s2, s6
	s_ashr_i32 s3, s2, 31
	s_lshl_b64 s[2:3], s[2:3], 2
	s_add_u32 s0, s0, s2
	s_addc_u32 s1, s1, s3
	s_load_dword s6, s[0:1], 0x0
	s_load_dwordx2 s[2:3], s[4:5], 0x30
	s_waitcnt lgkmcnt(0)
	s_ashr_i32 s7, s6, 31
	s_lshl_b64 s[0:1], s[6:7], 3
	s_add_u32 s0, s2, s0
	s_addc_u32 s1, s3, s1
	s_load_dwordx4 s[0:3], s[0:1], 0x0
	s_waitcnt lgkmcnt(0)
	s_sub_u32 s14, s2, s12
	v_mov_b32_e32 v5, s1
	v_add_co_u32_e32 v2, vcc, s0, v1
	s_subb_u32 s15, s3, 0
	v_addc_co_u32_e32 v3, vcc, v5, v3, vcc
	v_cmp_gt_i64_e32 vcc, s[14:15], v[2:3]
	s_and_saveexec_b64 s[2:3], vcc
	s_cbranch_execz .LBB90_19
; %bb.10:
	v_mov_b32_e32 v1, s1
	v_add_co_u32_e32 v4, vcc, s0, v0
	v_addc_co_u32_e32 v1, vcc, 0, v1, vcc
	v_mov_b32_e32 v5, s18
	v_subrev_co_u32_e32 v4, vcc, s12, v4
	v_subb_co_u32_e32 v1, vcc, v1, v5, vcc
	s_movk_i32 s18, 0x100
	v_add_co_u32_e32 v10, vcc, s18, v4
	v_addc_co_u32_e32 v11, vcc, 0, v1, vcc
	s_not_b64 s[0:1], s[0:1]
	v_cmp_lt_i64_e32 vcc, s[14:15], v[10:11]
	v_mov_b32_e32 v4, s14
	s_add_u32 s0, s0, s12
	v_mov_b32_e32 v1, s15
	v_cndmask_b32_e32 v4, v4, v10, vcc
	s_addc_u32 s1, s1, 0
	s_load_dwordx4 s[8:11], s[4:5], 0x38
	s_load_dwordx2 s[16:17], s[4:5], 0x48
	v_cndmask_b32_e32 v1, v1, v11, vcc
	v_mov_b32_e32 v5, s1
	v_add_co_u32_e32 v4, vcc, s0, v4
	v_addc_co_u32_e32 v1, vcc, v5, v1, vcc
	v_sub_co_u32_e32 v6, vcc, v4, v0
	v_subbrev_co_u32_e32 v7, vcc, 0, v1, vcc
	s_mov_b64 s[0:1], 0xff
	v_cmp_lt_u64_e32 vcc, s[0:1], v[6:7]
	s_mov_b64 s[20:21], -1
	v_mov_b32_e32 v4, 0
	s_and_saveexec_b64 s[18:19], vcc
	s_cbranch_execz .LBB90_14
; %bb.11:
	v_lshrrev_b64 v[4:5], 8, v[6:7]
	v_add_co_u32_e32 v6, vcc, 1, v4
	v_addc_co_u32_e32 v7, vcc, 0, v5, vcc
	s_waitcnt lgkmcnt(0)
	v_mov_b32_e32 v1, s11
	v_add_co_u32_e32 v4, vcc, s10, v10
	v_addc_co_u32_e32 v5, vcc, v1, v11, vcc
	v_lshlrev_b64 v[10:11], 2, v[2:3]
	v_mov_b32_e32 v1, s9
	v_add_co_u32_e32 v10, vcc, s8, v10
	v_addc_co_u32_e32 v1, vcc, v11, v1, vcc
	s_movk_i32 s0, 0x400
	v_and_b32_e32 v8, -2, v6
	v_mov_b32_e32 v9, v7
	v_add_co_u32_e32 v12, vcc, s0, v10
	s_mov_b32 s23, s22
	s_mov_b32 s24, s12
	v_addc_co_u32_e32 v13, vcc, 0, v1, vcc
	s_mov_b64 s[20:21], 0
	v_mov_b32_e32 v10, 0
	v_mov_b32_e32 v1, s17
	v_pk_mov_b32 v[16:17], v[8:9], v[8:9] op_sel:[0,1]
	v_mov_b32_e32 v14, 0
.LBB90_12:                              ; =>This Inner Loop Header: Depth=1
	global_load_dword v11, v[12:13], off offset:-1024
	global_load_dword v15, v[12:13], off
	global_load_sbyte v22, v[4:5], off
	global_load_sbyte v23, v[4:5], off offset:-256
	s_waitcnt vmcnt(3)
	v_subrev_u32_e32 v11, s12, v11
	s_waitcnt vmcnt(2)
	v_subrev_u32_e32 v15, s24, v15
	v_ashrrev_i32_e32 v19, 31, v15
	v_add_co_u32_e32 v18, vcc, s16, v15
	v_ashrrev_i32_e32 v21, 31, v11
	v_add_co_u32_e64 v20, s[0:1], s16, v11
	v_addc_co_u32_e32 v19, vcc, v1, v19, vcc
	v_addc_co_u32_e64 v21, s[0:1], v1, v21, s[0:1]
	global_load_sbyte v11, v[18:19], off
	global_load_sbyte v24, v[20:21], off
	v_add_co_u32_e32 v16, vcc, -2, v16
	v_addc_co_u32_e32 v17, vcc, -1, v17, vcc
	v_add_co_u32_e32 v4, vcc, 0x200, v4
	v_addc_co_u32_e32 v5, vcc, 0, v5, vcc
	v_add_co_u32_e32 v12, vcc, 0x800, v12
	v_cmp_eq_u64_e64 s[0:1], 0, v[16:17]
	s_waitcnt vmcnt(2)
	v_mul_lo_u32 v18, s22, v23
	v_mul_lo_u32 v15, s23, v22
	v_addc_co_u32_e32 v13, vcc, 0, v13, vcc
	s_or_b64 s[20:21], s[0:1], s[20:21]
	s_waitcnt vmcnt(1)
	v_mad_u64_u32 v[14:15], s[0:1], v15, v11, v[14:15]
	s_waitcnt vmcnt(0)
	v_mad_u64_u32 v[10:11], s[0:1], v18, v24, v[10:11]
	s_andn2_b64 exec, exec, s[20:21]
	s_cbranch_execnz .LBB90_12
; %bb.13:
	s_or_b64 exec, exec, s[20:21]
	v_lshlrev_b64 v[4:5], 8, v[8:9]
	v_add_co_u32_e32 v2, vcc, v2, v4
	v_addc_co_u32_e32 v3, vcc, v3, v5, vcc
	v_mov_b32_e32 v1, v14
	v_cmp_ne_u64_e32 vcc, v[6:7], v[8:9]
	v_add_u32_e32 v4, v10, v1
	s_orn2_b64 s[20:21], vcc, exec
.LBB90_14:
	s_or_b64 exec, exec, s[18:19]
	s_and_saveexec_b64 s[0:1], s[20:21]
	s_cbranch_execz .LBB90_18
; %bb.15:
	v_lshlrev_b64 v[6:7], 2, v[2:3]
	s_waitcnt lgkmcnt(0)
	v_mov_b32_e32 v1, s9
	v_add_co_u32_e32 v6, vcc, s8, v6
	v_addc_co_u32_e32 v7, vcc, v1, v7, vcc
	s_mov_b64 s[8:9], 0
	v_mov_b32_e32 v1, s11
	v_mov_b32_e32 v8, s17
.LBB90_16:                              ; =>This Inner Loop Header: Depth=1
	global_load_dword v5, v[6:7], off
	v_add_co_u32_e32 v10, vcc, s10, v2
	v_addc_co_u32_e32 v11, vcc, v1, v3, vcc
	global_load_sbyte v9, v[10:11], off
	s_waitcnt vmcnt(1)
	v_subrev_u32_e32 v5, s12, v5
	v_ashrrev_i32_e32 v11, 31, v5
	v_add_co_u32_e32 v10, vcc, s16, v5
	v_addc_co_u32_e32 v11, vcc, v8, v11, vcc
	global_load_sbyte v5, v[10:11], off
	v_add_co_u32_e32 v2, vcc, 0x100, v2
	v_addc_co_u32_e32 v3, vcc, 0, v3, vcc
	v_add_co_u32_e32 v6, vcc, 0x400, v6
	v_addc_co_u32_e32 v7, vcc, 0, v7, vcc
	v_cmp_le_i64_e32 vcc, s[14:15], v[2:3]
	s_waitcnt vmcnt(1)
	v_mul_lo_u32 v9, s22, v9
	s_or_b64 s[8:9], vcc, s[8:9]
	s_waitcnt vmcnt(0)
	v_mad_u64_u32 v[4:5], s[18:19], v9, v5, v[4:5]
	s_andn2_b64 exec, exec, s[8:9]
	s_cbranch_execnz .LBB90_16
; %bb.17:
	s_or_b64 exec, exec, s[8:9]
.LBB90_18:
	s_or_b64 exec, exec, s[0:1]
.LBB90_19:
	s_or_b64 exec, exec, s[2:3]
	s_movk_i32 s0, 0x80
	v_lshlrev_b32_e32 v1, 2, v0
	v_cmp_gt_u32_e32 vcc, s0, v0
	ds_write_b32 v1, v4
	s_waitcnt lgkmcnt(0)
	s_barrier
	s_and_saveexec_b64 s[0:1], vcc
	s_cbranch_execz .LBB90_21
; %bb.20:
	ds_read2st64_b32 v[2:3], v1 offset1:2
	s_waitcnt lgkmcnt(0)
	v_add_u32_e32 v2, v3, v2
	ds_write_b32 v1, v2
.LBB90_21:
	s_or_b64 exec, exec, s[0:1]
	v_cmp_gt_u32_e32 vcc, 64, v0
	s_waitcnt lgkmcnt(0)
	s_barrier
	s_and_saveexec_b64 s[0:1], vcc
	s_cbranch_execz .LBB90_23
; %bb.22:
	ds_read2st64_b32 v[2:3], v1 offset1:1
	s_waitcnt lgkmcnt(0)
	v_add_u32_e32 v2, v3, v2
	ds_write_b32 v1, v2
.LBB90_23:
	s_or_b64 exec, exec, s[0:1]
	v_cmp_gt_u32_e32 vcc, 32, v0
	s_waitcnt lgkmcnt(0)
	s_barrier
	s_and_saveexec_b64 s[0:1], vcc
	s_cbranch_execz .LBB90_25
; %bb.24:
	ds_read2_b32 v[2:3], v1 offset1:32
	s_waitcnt lgkmcnt(0)
	v_add_u32_e32 v2, v3, v2
	ds_write_b32 v1, v2
.LBB90_25:
	s_or_b64 exec, exec, s[0:1]
	v_cmp_gt_u32_e32 vcc, 16, v0
	s_waitcnt lgkmcnt(0)
	s_barrier
	s_and_saveexec_b64 s[0:1], vcc
	s_cbranch_execz .LBB90_27
; %bb.26:
	ds_read2_b32 v[2:3], v1 offset1:16
	s_waitcnt lgkmcnt(0)
	v_add_u32_e32 v2, v3, v2
	ds_write_b32 v1, v2
.LBB90_27:
	;; [unrolled: 12-line block ×5, first 2 shown]
	s_or_b64 exec, exec, s[0:1]
	v_cmp_eq_u32_e32 vcc, 0, v0
	s_waitcnt lgkmcnt(0)
	s_barrier
	s_and_saveexec_b64 s[0:1], vcc
	s_cbranch_execz .LBB90_35
; %bb.34:
	v_mov_b32_e32 v2, 0
	ds_read_b64 v[0:1], v2
	s_waitcnt lgkmcnt(0)
	v_add_u32_e32 v0, v1, v0
	ds_write_b32 v2, v0
.LBB90_35:
	s_or_b64 exec, exec, s[0:1]
	s_waitcnt lgkmcnt(0)
	s_barrier
	s_and_saveexec_b64 s[0:1], vcc
	s_cbranch_execz .LBB90_39
; %bb.36:
	v_mov_b32_e32 v0, 0
	s_load_dwordx2 s[0:1], s[4:5], 0x58
	ds_read_b32 v1, v0
	s_cmp_eq_u32 s13, 0
	s_cbranch_scc1 .LBB90_38
; %bb.37:
	s_lshl_b64 s[2:3], s[6:7], 2
	s_waitcnt lgkmcnt(0)
	s_add_u32 s2, s0, s2
	s_addc_u32 s3, s1, s3
	s_load_dword s2, s[2:3], 0x0
	s_waitcnt lgkmcnt(0)
	s_mul_i32 s2, s2, s13
	v_add_u32_e32 v1, s2, v1
.LBB90_38:
	s_lshl_b64 s[2:3], s[6:7], 2
	s_waitcnt lgkmcnt(0)
	s_add_u32 s0, s0, s2
	s_addc_u32 s1, s1, s3
	global_store_dword v0, v1, s[0:1]
.LBB90_39:
	s_endpgm
	.section	.rodata,"a",@progbits
	.p2align	6, 0x0
	.amdhsa_kernel _ZN9rocsparseL29csrmvn_lrb_medium_rows_kernelILj256EliaaiiEEvbT0_PT1_S3_jNS_24const_host_device_scalarIT5_EEPKS1_PKS2_PKT2_PKT3_S6_PT4_21rocsparse_index_base_b
		.amdhsa_group_segment_fixed_size 1024
		.amdhsa_private_segment_fixed_size 0
		.amdhsa_kernarg_size 104
		.amdhsa_user_sgpr_count 6
		.amdhsa_user_sgpr_private_segment_buffer 1
		.amdhsa_user_sgpr_dispatch_ptr 0
		.amdhsa_user_sgpr_queue_ptr 0
		.amdhsa_user_sgpr_kernarg_segment_ptr 1
		.amdhsa_user_sgpr_dispatch_id 0
		.amdhsa_user_sgpr_flat_scratch_init 0
		.amdhsa_user_sgpr_kernarg_preload_length 0
		.amdhsa_user_sgpr_kernarg_preload_offset 0
		.amdhsa_user_sgpr_private_segment_size 0
		.amdhsa_uses_dynamic_stack 0
		.amdhsa_system_sgpr_private_segment_wavefront_offset 0
		.amdhsa_system_sgpr_workgroup_id_x 1
		.amdhsa_system_sgpr_workgroup_id_y 0
		.amdhsa_system_sgpr_workgroup_id_z 0
		.amdhsa_system_sgpr_workgroup_info 0
		.amdhsa_system_vgpr_workitem_id 0
		.amdhsa_next_free_vgpr 25
		.amdhsa_next_free_sgpr 25
		.amdhsa_accum_offset 28
		.amdhsa_reserve_vcc 1
		.amdhsa_reserve_flat_scratch 0
		.amdhsa_float_round_mode_32 0
		.amdhsa_float_round_mode_16_64 0
		.amdhsa_float_denorm_mode_32 3
		.amdhsa_float_denorm_mode_16_64 3
		.amdhsa_dx10_clamp 1
		.amdhsa_ieee_mode 1
		.amdhsa_fp16_overflow 0
		.amdhsa_tg_split 0
		.amdhsa_exception_fp_ieee_invalid_op 0
		.amdhsa_exception_fp_denorm_src 0
		.amdhsa_exception_fp_ieee_div_zero 0
		.amdhsa_exception_fp_ieee_overflow 0
		.amdhsa_exception_fp_ieee_underflow 0
		.amdhsa_exception_fp_ieee_inexact 0
		.amdhsa_exception_int_div_zero 0
	.end_amdhsa_kernel
	.section	.text._ZN9rocsparseL29csrmvn_lrb_medium_rows_kernelILj256EliaaiiEEvbT0_PT1_S3_jNS_24const_host_device_scalarIT5_EEPKS1_PKS2_PKT2_PKT3_S6_PT4_21rocsparse_index_base_b,"axG",@progbits,_ZN9rocsparseL29csrmvn_lrb_medium_rows_kernelILj256EliaaiiEEvbT0_PT1_S3_jNS_24const_host_device_scalarIT5_EEPKS1_PKS2_PKT2_PKT3_S6_PT4_21rocsparse_index_base_b,comdat
.Lfunc_end90:
	.size	_ZN9rocsparseL29csrmvn_lrb_medium_rows_kernelILj256EliaaiiEEvbT0_PT1_S3_jNS_24const_host_device_scalarIT5_EEPKS1_PKS2_PKT2_PKT3_S6_PT4_21rocsparse_index_base_b, .Lfunc_end90-_ZN9rocsparseL29csrmvn_lrb_medium_rows_kernelILj256EliaaiiEEvbT0_PT1_S3_jNS_24const_host_device_scalarIT5_EEPKS1_PKS2_PKT2_PKT3_S6_PT4_21rocsparse_index_base_b
                                        ; -- End function
	.section	.AMDGPU.csdata,"",@progbits
; Kernel info:
; codeLenInByte = 1484
; NumSgprs: 29
; NumVgprs: 25
; NumAgprs: 0
; TotalNumVgprs: 25
; ScratchSize: 0
; MemoryBound: 0
; FloatMode: 240
; IeeeMode: 1
; LDSByteSize: 1024 bytes/workgroup (compile time only)
; SGPRBlocks: 3
; VGPRBlocks: 3
; NumSGPRsForWavesPerEU: 29
; NumVGPRsForWavesPerEU: 25
; AccumOffset: 28
; Occupancy: 8
; WaveLimiterHint : 1
; COMPUTE_PGM_RSRC2:SCRATCH_EN: 0
; COMPUTE_PGM_RSRC2:USER_SGPR: 6
; COMPUTE_PGM_RSRC2:TRAP_HANDLER: 0
; COMPUTE_PGM_RSRC2:TGID_X_EN: 1
; COMPUTE_PGM_RSRC2:TGID_Y_EN: 0
; COMPUTE_PGM_RSRC2:TGID_Z_EN: 0
; COMPUTE_PGM_RSRC2:TIDIG_COMP_CNT: 0
; COMPUTE_PGM_RSRC3_GFX90A:ACCUM_OFFSET: 6
; COMPUTE_PGM_RSRC3_GFX90A:TG_SPLIT: 0
	.section	.text._ZN9rocsparseL27csrmvn_lrb_long_rows_kernelIliaaiiEEvbT_PjPT0_S4_jNS_24const_host_device_scalarIT4_EEPKS1_PKS3_PKT1_PKT2_S7_PT3_21rocsparse_index_base_b,"axG",@progbits,_ZN9rocsparseL27csrmvn_lrb_long_rows_kernelIliaaiiEEvbT_PjPT0_S4_jNS_24const_host_device_scalarIT4_EEPKS1_PKS3_PKT1_PKT2_S7_PT3_21rocsparse_index_base_b,comdat
	.globl	_ZN9rocsparseL27csrmvn_lrb_long_rows_kernelIliaaiiEEvbT_PjPT0_S4_jNS_24const_host_device_scalarIT4_EEPKS1_PKS3_PKT1_PKT2_S7_PT3_21rocsparse_index_base_b ; -- Begin function _ZN9rocsparseL27csrmvn_lrb_long_rows_kernelIliaaiiEEvbT_PjPT0_S4_jNS_24const_host_device_scalarIT4_EEPKS1_PKS3_PKT1_PKT2_S7_PT3_21rocsparse_index_base_b
	.p2align	8
	.type	_ZN9rocsparseL27csrmvn_lrb_long_rows_kernelIliaaiiEEvbT_PjPT0_S4_jNS_24const_host_device_scalarIT4_EEPKS1_PKS3_PKT1_PKT2_S7_PT3_21rocsparse_index_base_b,@function
_ZN9rocsparseL27csrmvn_lrb_long_rows_kernelIliaaiiEEvbT_PjPT0_S4_jNS_24const_host_device_scalarIT4_EEPKS1_PKS3_PKT1_PKT2_S7_PT3_21rocsparse_index_base_b: ; @_ZN9rocsparseL27csrmvn_lrb_long_rows_kernelIliaaiiEEvbT_PjPT0_S4_jNS_24const_host_device_scalarIT4_EEPKS1_PKS3_PKT1_PKT2_S7_PT3_21rocsparse_index_base_b
; %bb.0:
	s_load_dwordx2 s[20:21], s[4:5], 0x68
	s_load_dwordx2 s[8:9], s[4:5], 0x30
	s_mov_b64 s[10:11], -1
                                        ; implicit-def: $sgpr29
	s_waitcnt lgkmcnt(0)
	s_bitcmp1_b32 s21, 0
	s_cselect_b64 s[0:1], -1, 0
	s_xor_b64 s[2:3], s[0:1], -1
	s_and_b64 vcc, exec, s[2:3]
	s_cbranch_vccnz .LBB91_4
; %bb.1:
	s_load_dwordx2 s[0:1], s[4:5], 0x58
	s_andn2_b64 vcc, exec, s[10:11]
	s_cbranch_vccz .LBB91_5
.LBB91_2:
	s_and_b64 vcc, exec, s[2:3]
	s_cbranch_vccz .LBB91_6
.LBB91_3:
	s_waitcnt lgkmcnt(0)
	s_load_dword s19, s[0:1], 0x0
	s_cbranch_execz .LBB91_7
	s_branch .LBB91_8
.LBB91_4:
	s_load_dword s29, s[8:9], 0x0
	s_load_dwordx2 s[0:1], s[4:5], 0x58
	s_cbranch_execnz .LBB91_2
.LBB91_5:
	s_waitcnt lgkmcnt(0)
	s_mov_b32 s29, s8
	s_and_b64 vcc, exec, s[2:3]
	s_cbranch_vccnz .LBB91_3
.LBB91_6:
                                        ; implicit-def: $sgpr19
.LBB91_7:
	s_waitcnt lgkmcnt(0)
	s_mov_b32 s19, s0
.LBB91_8:
	s_waitcnt lgkmcnt(0)
	s_cmp_lg_u32 s29, 0
	s_cselect_b64 s[0:1], -1, 0
	s_cmp_lg_u32 s19, 1
	s_cselect_b64 s[2:3], -1, 0
	s_or_b64 s[0:1], s[0:1], s[2:3]
	s_andn2_b64 vcc, exec, s[0:1]
	s_mov_b32 s1, 0
	s_cbranch_vccnz .LBB91_48
; %bb.9:
	s_load_dword s0, s[4:5], 0x28
	s_load_dwordx2 s[2:3], s[4:5], 0x20
	v_mov_b32_e32 v2, 0
	s_waitcnt lgkmcnt(0)
	s_lshl_b64 s[8:9], s[0:1], 2
	s_add_u32 s2, s2, s8
	s_addc_u32 s3, s3, s9
	s_lshl_b32 s0, -1, s0
	s_not_b32 s0, s0
	s_mul_hi_u32 s0, s0, 0x2aaaaaab
	s_lshr_b32 s0, s0, 7
	s_add_i32 s1, s0, 1
	v_cvt_f32_u32_e32 v1, s1
	s_load_dwordx4 s[8:11], s[4:5], 0x10
	s_load_dword s7, s[2:3], 0x0
	s_not_b32 s0, s0
	v_rcp_iflag_f32_e32 v1, v1
	v_mul_f32_e32 v1, 0x4f7ffffe, v1
	v_cvt_u32_f32_e32 v1, v1
	v_readfirstlane_b32 s2, v1
	s_mul_i32 s0, s0, s2
	s_mul_hi_u32 s0, s2, s0
	s_add_i32 s2, s2, s0
	s_mul_hi_u32 s0, s6, s2
	s_mul_i32 s2, s0, s1
	s_sub_i32 s2, s6, s2
	s_add_i32 s3, s0, 1
	s_sub_i32 s12, s2, s1
	s_cmp_ge_u32 s2, s1
	s_cselect_b32 s0, s3, s0
	s_cselect_b32 s2, s12, s2
	s_add_i32 s3, s0, 1
	s_cmp_ge_u32 s2, s1
	s_cselect_b32 s0, s3, s0
	s_mul_i32 s18, s0, s1
	s_waitcnt lgkmcnt(0)
	s_add_i32 s0, s0, s7
	s_ashr_i32 s1, s0, 31
	s_sub_i32 s28, s6, s18
	s_lshl_b64 s[0:1], s[0:1], 2
	s_add_u32 s0, s10, s0
	s_addc_u32 s1, s11, s1
	s_load_dword s16, s[0:1], 0x0
	s_load_dwordx2 s[2:3], s[4:5], 0x38
	s_load_dwordx2 s[10:11], s[4:5], 0x60
	v_or_b32_e32 v1, s28, v0
	v_cmp_eq_u32_e32 vcc, 0, v1
	s_waitcnt lgkmcnt(0)
	s_ashr_i32 s17, s16, 31
	s_lshl_b64 s[0:1], s[16:17], 3
	s_add_u32 s0, s2, s0
	s_addc_u32 s1, s3, s1
	s_ashr_i32 s7, s6, 31
	s_lshl_b64 s[6:7], s[6:7], 2
	s_add_u32 s6, s8, s6
	s_addc_u32 s7, s9, s7
	s_load_dwordx4 s[0:3], s[0:1], 0x0
	s_nop 0
	s_load_dword s21, s[6:7], 0x0
	s_and_saveexec_b64 s[12:13], vcc
	s_cbranch_execz .LBB91_13
; %bb.10:
	s_lshl_b64 s[22:23], s[16:17], 2
	s_add_u32 s22, s10, s22
	s_addc_u32 s23, s11, s23
	s_load_dword s24, s[22:23], 0x0
	s_mov_b64 s[14:15], exec
	v_mbcnt_lo_u32_b32 v1, s14, 0
	s_add_i32 s19, s19, -1
	v_mbcnt_hi_u32_b32 v1, s15, v1
	s_waitcnt lgkmcnt(0)
	s_mul_i32 s24, s24, s19
	v_cmp_eq_u32_e32 vcc, 0, v1
	s_waitcnt vmcnt(0) expcnt(0) lgkmcnt(0)
	s_and_saveexec_b64 s[22:23], vcc
	s_cbranch_execz .LBB91_12
; %bb.11:
	s_ashr_i32 s19, s18, 31
	s_lshl_b64 s[26:27], s[18:19], 2
	s_add_u32 s26, s8, s26
	s_addc_u32 s27, s9, s27
	s_bcnt1_i32_b64 s14, s[14:15]
	s_and_b32 s14, s14, 1
	v_mov_b32_e32 v1, 0
	v_mov_b32_e32 v2, s14
	global_atomic_xor v1, v2, s[26:27]
.LBB91_12:
	s_or_b64 exec, exec, s[22:23]
	v_mov_b32_e32 v2, s24
.LBB91_13:
	s_or_b64 exec, exec, s[12:13]
	s_mul_i32 s12, s28, 3
	s_mov_b32 s13, 0
	s_lshl_b64 s[26:27], s[12:13], 8
	s_waitcnt lgkmcnt(0)
	s_sub_u32 s12, s0, s20
	s_mov_b32 s19, s13
	s_subb_u32 s13, s1, 0
	s_add_u32 s22, s12, s26
	s_addc_u32 s23, s13, s27
	s_sub_u32 s2, s2, s20
	s_subb_u32 s3, s3, 0
	s_add_u32 s12, s22, 0x300
	s_addc_u32 s13, s23, 0
	v_pk_mov_b32 v[4:5], s[2:3], s[2:3] op_sel:[0,1]
	v_cmp_lt_i64_e32 vcc, s[12:13], v[4:5]
	s_and_b64 s[14:15], vcc, exec
	v_mov_b32_e32 v1, s23
	v_add_co_u32_e32 v4, vcc, s22, v0
	s_cselect_b32 s3, s13, s3
	s_cselect_b32 s2, s12, s2
	v_addc_co_u32_e32 v5, vcc, 0, v1, vcc
	v_cmp_gt_i64_e32 vcc, s[2:3], v[4:5]
	s_and_saveexec_b64 s[22:23], vcc
	s_cbranch_execz .LBB91_23
; %bb.14:
	s_load_dwordx2 s[24:25], s[4:5], 0x50
	s_load_dwordx4 s[12:15], s[4:5], 0x40
	s_add_u32 s4, s0, s26
	s_addc_u32 s5, s1, s27
	v_mov_b32_e32 v1, s5
	v_add_co_u32_e32 v3, vcc, s4, v0
	v_addc_co_u32_e32 v1, vcc, 0, v1, vcc
	v_mov_b32_e32 v6, s19
	v_subrev_co_u32_e32 v3, vcc, s20, v3
	v_subb_co_u32_e32 v1, vcc, v1, v6, vcc
	s_movk_i32 s4, 0x100
	v_add_co_u32_e32 v10, vcc, s4, v3
	v_addc_co_u32_e32 v11, vcc, 0, v1, vcc
	s_not_b64 s[0:1], s[0:1]
	v_cmp_gt_i64_e32 vcc, s[2:3], v[10:11]
	v_mov_b32_e32 v3, s2
	s_add_u32 s0, s0, s20
	v_mov_b32_e32 v1, s3
	v_cndmask_b32_e32 v3, v10, v3, vcc
	s_addc_u32 s1, s1, 0
	v_cndmask_b32_e32 v1, v11, v1, vcc
	v_mov_b32_e32 v6, s1
	v_add_co_u32_e32 v3, vcc, s0, v3
	v_addc_co_u32_e32 v1, vcc, v6, v1, vcc
	v_mov_b32_e32 v6, s27
	v_add_co_u32_e32 v7, vcc, s26, v0
	v_addc_co_u32_e32 v8, vcc, 0, v6, vcc
	v_sub_co_u32_e32 v6, vcc, v3, v7
	v_subb_co_u32_e32 v7, vcc, v1, v8, vcc
	s_mov_b64 s[0:1], 0xff
	v_cmp_lt_u64_e32 vcc, s[0:1], v[6:7]
	s_mov_b64 s[26:27], -1
	s_and_saveexec_b64 s[4:5], vcc
	s_cbranch_execz .LBB91_18
; %bb.15:
	v_lshrrev_b64 v[6:7], 8, v[6:7]
	v_add_co_u32_e32 v6, vcc, 1, v6
	v_addc_co_u32_e32 v7, vcc, 0, v7, vcc
	s_waitcnt lgkmcnt(0)
	v_mov_b32_e32 v1, s15
	v_add_co_u32_e32 v10, vcc, s14, v10
	v_addc_co_u32_e32 v11, vcc, v1, v11, vcc
	v_lshlrev_b64 v[12:13], 2, v[4:5]
	v_mov_b32_e32 v1, s13
	v_add_co_u32_e32 v3, vcc, s12, v12
	v_addc_co_u32_e32 v1, vcc, v13, v1, vcc
	s_movk_i32 s0, 0x400
	v_and_b32_e32 v8, -2, v6
	v_mov_b32_e32 v9, v7
	v_add_co_u32_e32 v12, vcc, s0, v3
	s_mov_b32 s19, s29
	s_mov_b32 s30, s20
	v_addc_co_u32_e32 v13, vcc, 0, v1, vcc
	s_mov_b64 s[26:27], 0
	v_mov_b32_e32 v14, 0
	v_mov_b32_e32 v1, s25
	v_pk_mov_b32 v[16:17], v[8:9], v[8:9] op_sel:[0,1]
.LBB91_16:                              ; =>This Inner Loop Header: Depth=1
	global_load_dword v3, v[12:13], off offset:-1024
	global_load_dword v15, v[12:13], off
	global_load_sbyte v22, v[10:11], off
	global_load_sbyte v23, v[10:11], off offset:-256
	s_waitcnt vmcnt(3)
	v_subrev_u32_e32 v3, s20, v3
	s_waitcnt vmcnt(2)
	v_subrev_u32_e32 v15, s30, v15
	v_ashrrev_i32_e32 v19, 31, v15
	v_add_co_u32_e32 v18, vcc, s24, v15
	v_ashrrev_i32_e32 v21, 31, v3
	v_add_co_u32_e64 v20, s[0:1], s24, v3
	v_addc_co_u32_e32 v19, vcc, v1, v19, vcc
	v_addc_co_u32_e64 v21, s[0:1], v1, v21, s[0:1]
	global_load_sbyte v3, v[18:19], off
	global_load_sbyte v24, v[20:21], off
	v_add_co_u32_e32 v16, vcc, -2, v16
	v_addc_co_u32_e32 v17, vcc, -1, v17, vcc
	v_add_co_u32_e32 v10, vcc, 0x200, v10
	v_addc_co_u32_e32 v11, vcc, 0, v11, vcc
	v_add_co_u32_e32 v12, vcc, 0x800, v12
	v_cmp_eq_u64_e64 s[0:1], 0, v[16:17]
	s_waitcnt vmcnt(2)
	v_mul_lo_u32 v18, s29, v23
	v_mul_lo_u32 v15, s19, v22
	v_addc_co_u32_e32 v13, vcc, 0, v13, vcc
	s_or_b64 s[26:27], s[0:1], s[26:27]
	s_waitcnt vmcnt(1)
	v_mad_u64_u32 v[14:15], s[0:1], v15, v3, v[14:15]
	s_waitcnt vmcnt(0)
	v_mad_u64_u32 v[2:3], s[0:1], v18, v24, v[2:3]
	s_andn2_b64 exec, exec, s[26:27]
	s_cbranch_execnz .LBB91_16
; %bb.17:
	s_or_b64 exec, exec, s[26:27]
	v_lshlrev_b64 v[10:11], 8, v[8:9]
	v_add_co_u32_e32 v4, vcc, v4, v10
	v_addc_co_u32_e32 v5, vcc, v5, v11, vcc
	v_mov_b32_e32 v1, v14
	v_cmp_ne_u64_e32 vcc, v[6:7], v[8:9]
	v_add_u32_e32 v2, v2, v1
	s_orn2_b64 s[26:27], vcc, exec
.LBB91_18:
	s_or_b64 exec, exec, s[4:5]
	s_and_saveexec_b64 s[0:1], s[26:27]
	s_cbranch_execz .LBB91_22
; %bb.19:
	v_lshlrev_b64 v[6:7], 2, v[4:5]
	s_waitcnt lgkmcnt(0)
	v_mov_b32_e32 v1, s13
	v_add_co_u32_e32 v6, vcc, s12, v6
	v_addc_co_u32_e32 v7, vcc, v1, v7, vcc
	s_mov_b64 s[4:5], 0
	v_mov_b32_e32 v1, s15
	v_mov_b32_e32 v8, s25
.LBB91_20:                              ; =>This Inner Loop Header: Depth=1
	global_load_dword v3, v[6:7], off
	v_add_co_u32_e32 v10, vcc, s14, v4
	v_addc_co_u32_e32 v11, vcc, v1, v5, vcc
	global_load_sbyte v9, v[10:11], off
	s_waitcnt vmcnt(1)
	v_subrev_u32_e32 v3, s20, v3
	v_ashrrev_i32_e32 v11, 31, v3
	v_add_co_u32_e32 v10, vcc, s24, v3
	v_addc_co_u32_e32 v11, vcc, v8, v11, vcc
	global_load_sbyte v3, v[10:11], off
	v_add_co_u32_e32 v4, vcc, 0x100, v4
	v_addc_co_u32_e32 v5, vcc, 0, v5, vcc
	v_add_co_u32_e32 v6, vcc, 0x400, v6
	v_addc_co_u32_e32 v7, vcc, 0, v7, vcc
	v_cmp_le_i64_e32 vcc, s[2:3], v[4:5]
	s_waitcnt vmcnt(1)
	v_mul_lo_u32 v9, s29, v9
	s_or_b64 s[4:5], vcc, s[4:5]
	s_waitcnt vmcnt(0)
	v_mad_u64_u32 v[2:3], s[12:13], v9, v3, v[2:3]
	s_andn2_b64 exec, exec, s[4:5]
	s_cbranch_execnz .LBB91_20
; %bb.21:
	s_or_b64 exec, exec, s[4:5]
.LBB91_22:
	s_or_b64 exec, exec, s[0:1]
.LBB91_23:
	s_or_b64 exec, exec, s[22:23]
	s_movk_i32 s0, 0x80
	v_lshlrev_b32_e32 v1, 2, v0
	v_cmp_gt_u32_e32 vcc, s0, v0
	ds_write_b32 v1, v2
	s_waitcnt lgkmcnt(0)
	s_barrier
	s_and_saveexec_b64 s[0:1], vcc
	s_cbranch_execz .LBB91_25
; %bb.24:
	ds_read2st64_b32 v[2:3], v1 offset1:2
	s_waitcnt lgkmcnt(0)
	v_add_u32_e32 v2, v3, v2
	ds_write_b32 v1, v2
.LBB91_25:
	s_or_b64 exec, exec, s[0:1]
	v_cmp_gt_u32_e32 vcc, 64, v0
	s_waitcnt lgkmcnt(0)
	s_barrier
	s_and_saveexec_b64 s[0:1], vcc
	s_cbranch_execz .LBB91_27
; %bb.26:
	ds_read2st64_b32 v[2:3], v1 offset1:1
	s_waitcnt lgkmcnt(0)
	v_add_u32_e32 v2, v3, v2
	ds_write_b32 v1, v2
.LBB91_27:
	s_or_b64 exec, exec, s[0:1]
	v_cmp_gt_u32_e32 vcc, 32, v0
	s_waitcnt lgkmcnt(0)
	s_barrier
	s_and_saveexec_b64 s[0:1], vcc
	s_cbranch_execz .LBB91_29
; %bb.28:
	ds_read2_b32 v[2:3], v1 offset1:32
	s_waitcnt lgkmcnt(0)
	v_add_u32_e32 v2, v3, v2
	ds_write_b32 v1, v2
.LBB91_29:
	s_or_b64 exec, exec, s[0:1]
	v_cmp_gt_u32_e32 vcc, 16, v0
	s_waitcnt lgkmcnt(0)
	s_barrier
	s_and_saveexec_b64 s[0:1], vcc
	s_cbranch_execz .LBB91_31
; %bb.30:
	ds_read2_b32 v[2:3], v1 offset1:16
	s_waitcnt lgkmcnt(0)
	v_add_u32_e32 v2, v3, v2
	ds_write_b32 v1, v2
.LBB91_31:
	s_or_b64 exec, exec, s[0:1]
	v_cmp_gt_u32_e32 vcc, 8, v0
	s_waitcnt lgkmcnt(0)
	s_barrier
	s_and_saveexec_b64 s[0:1], vcc
	s_cbranch_execz .LBB91_33
; %bb.32:
	ds_read2_b32 v[2:3], v1 offset1:8
	s_waitcnt lgkmcnt(0)
	v_add_u32_e32 v2, v3, v2
	ds_write_b32 v1, v2
.LBB91_33:
	s_or_b64 exec, exec, s[0:1]
	v_cmp_gt_u32_e32 vcc, 4, v0
	s_waitcnt lgkmcnt(0)
	s_barrier
	s_and_saveexec_b64 s[0:1], vcc
	s_cbranch_execz .LBB91_35
; %bb.34:
	ds_read2_b32 v[2:3], v1 offset1:4
	s_waitcnt lgkmcnt(0)
	v_add_u32_e32 v2, v3, v2
	ds_write_b32 v1, v2
.LBB91_35:
	s_or_b64 exec, exec, s[0:1]
	v_cmp_gt_u32_e32 vcc, 2, v0
	s_waitcnt lgkmcnt(0)
	s_barrier
	s_and_saveexec_b64 s[0:1], vcc
	s_cbranch_execz .LBB91_37
; %bb.36:
	ds_read2_b32 v[2:3], v1 offset1:2
	s_waitcnt lgkmcnt(0)
	v_add_u32_e32 v2, v3, v2
	ds_write_b32 v1, v2
.LBB91_37:
	s_or_b64 exec, exec, s[0:1]
	v_cmp_eq_u32_e32 vcc, 0, v0
	s_waitcnt lgkmcnt(0)
	s_barrier
	s_and_saveexec_b64 s[0:1], vcc
	s_cbranch_execz .LBB91_39
; %bb.38:
	v_mov_b32_e32 v2, 0
	ds_read_b64 v[0:1], v2
	s_waitcnt lgkmcnt(0)
	v_add_u32_e32 v0, v1, v0
	ds_write_b32 v2, v0
.LBB91_39:
	s_or_b64 exec, exec, s[0:1]
	s_waitcnt lgkmcnt(0)
	s_barrier
	s_and_saveexec_b64 s[0:1], vcc
	s_cbranch_execz .LBB91_48
; %bb.40:
	s_cmp_eq_u32 s28, 0
	s_cbranch_scc1 .LBB91_46
; %bb.41:
	s_ashr_i32 s19, s18, 31
	s_lshl_b64 s[0:1], s[18:19], 2
	s_add_u32 s0, s8, s0
	s_addc_u32 s1, s9, s1
	v_mov_b32_e32 v0, 0
	s_branch .LBB91_43
.LBB91_42:                              ;   in Loop: Header=BB91_43 Depth=1
	s_or_b64 exec, exec, s[2:3]
	s_waitcnt vmcnt(0)
	v_readfirstlane_b32 s2, v1
	s_cmp_eq_u32 s2, s21
	s_cbranch_scc0 .LBB91_45
.LBB91_43:                              ; =>This Inner Loop Header: Depth=1
	v_mbcnt_lo_u32_b32 v1, exec_lo, 0
	v_mbcnt_hi_u32_b32 v1, exec_hi, v1
	v_cmp_eq_u32_e32 vcc, 0, v1
                                        ; implicit-def: $vgpr1
	s_and_saveexec_b64 s[2:3], vcc
	s_cbranch_execz .LBB91_42
; %bb.44:                               ;   in Loop: Header=BB91_43 Depth=1
	global_load_dword v1, v0, s[0:1] glc
	s_branch .LBB91_42
.LBB91_45:
	v_mov_b32_e32 v0, 0
	global_load_dword v1, v0, s[6:7]
	s_waitcnt vmcnt(0)
	v_xor_b32_e32 v1, 1, v1
	global_store_dword v0, v1, s[6:7]
.LBB91_46:
	s_mov_b64 s[0:1], exec
	v_mbcnt_lo_u32_b32 v0, s0, 0
	v_mbcnt_hi_u32_b32 v0, s1, v0
	v_cmp_eq_u32_e32 vcc, 0, v0
	s_and_b64 s[2:3], exec, vcc
	s_mov_b64 exec, s[2:3]
	s_cbranch_execz .LBB91_48
; %bb.47:
	v_mov_b32_e32 v0, 0
	ds_read_b32 v1, v0
	s_lshl_b64 s[2:3], s[16:17], 2
	s_add_u32 s2, s10, s2
	s_addc_u32 s3, s11, s3
	s_bcnt1_i32_b64 s0, s[0:1]
	s_waitcnt lgkmcnt(0)
	v_mul_lo_u32 v1, v1, s0
	global_atomic_add v0, v1, s[2:3]
.LBB91_48:
	s_endpgm
	.section	.rodata,"a",@progbits
	.p2align	6, 0x0
	.amdhsa_kernel _ZN9rocsparseL27csrmvn_lrb_long_rows_kernelIliaaiiEEvbT_PjPT0_S4_jNS_24const_host_device_scalarIT4_EEPKS1_PKS3_PKT1_PKT2_S7_PT3_21rocsparse_index_base_b
		.amdhsa_group_segment_fixed_size 1024
		.amdhsa_private_segment_fixed_size 0
		.amdhsa_kernarg_size 112
		.amdhsa_user_sgpr_count 6
		.amdhsa_user_sgpr_private_segment_buffer 1
		.amdhsa_user_sgpr_dispatch_ptr 0
		.amdhsa_user_sgpr_queue_ptr 0
		.amdhsa_user_sgpr_kernarg_segment_ptr 1
		.amdhsa_user_sgpr_dispatch_id 0
		.amdhsa_user_sgpr_flat_scratch_init 0
		.amdhsa_user_sgpr_kernarg_preload_length 0
		.amdhsa_user_sgpr_kernarg_preload_offset 0
		.amdhsa_user_sgpr_private_segment_size 0
		.amdhsa_uses_dynamic_stack 0
		.amdhsa_system_sgpr_private_segment_wavefront_offset 0
		.amdhsa_system_sgpr_workgroup_id_x 1
		.amdhsa_system_sgpr_workgroup_id_y 0
		.amdhsa_system_sgpr_workgroup_id_z 0
		.amdhsa_system_sgpr_workgroup_info 0
		.amdhsa_system_vgpr_workitem_id 0
		.amdhsa_next_free_vgpr 25
		.amdhsa_next_free_sgpr 31
		.amdhsa_accum_offset 28
		.amdhsa_reserve_vcc 1
		.amdhsa_reserve_flat_scratch 0
		.amdhsa_float_round_mode_32 0
		.amdhsa_float_round_mode_16_64 0
		.amdhsa_float_denorm_mode_32 3
		.amdhsa_float_denorm_mode_16_64 3
		.amdhsa_dx10_clamp 1
		.amdhsa_ieee_mode 1
		.amdhsa_fp16_overflow 0
		.amdhsa_tg_split 0
		.amdhsa_exception_fp_ieee_invalid_op 0
		.amdhsa_exception_fp_denorm_src 0
		.amdhsa_exception_fp_ieee_div_zero 0
		.amdhsa_exception_fp_ieee_overflow 0
		.amdhsa_exception_fp_ieee_underflow 0
		.amdhsa_exception_fp_ieee_inexact 0
		.amdhsa_exception_int_div_zero 0
	.end_amdhsa_kernel
	.section	.text._ZN9rocsparseL27csrmvn_lrb_long_rows_kernelIliaaiiEEvbT_PjPT0_S4_jNS_24const_host_device_scalarIT4_EEPKS1_PKS3_PKT1_PKT2_S7_PT3_21rocsparse_index_base_b,"axG",@progbits,_ZN9rocsparseL27csrmvn_lrb_long_rows_kernelIliaaiiEEvbT_PjPT0_S4_jNS_24const_host_device_scalarIT4_EEPKS1_PKS3_PKT1_PKT2_S7_PT3_21rocsparse_index_base_b,comdat
.Lfunc_end91:
	.size	_ZN9rocsparseL27csrmvn_lrb_long_rows_kernelIliaaiiEEvbT_PjPT0_S4_jNS_24const_host_device_scalarIT4_EEPKS1_PKS3_PKT1_PKT2_S7_PT3_21rocsparse_index_base_b, .Lfunc_end91-_ZN9rocsparseL27csrmvn_lrb_long_rows_kernelIliaaiiEEvbT_PjPT0_S4_jNS_24const_host_device_scalarIT4_EEPKS1_PKS3_PKT1_PKT2_S7_PT3_21rocsparse_index_base_b
                                        ; -- End function
	.section	.AMDGPU.csdata,"",@progbits
; Kernel info:
; codeLenInByte = 1960
; NumSgprs: 35
; NumVgprs: 25
; NumAgprs: 0
; TotalNumVgprs: 25
; ScratchSize: 0
; MemoryBound: 0
; FloatMode: 240
; IeeeMode: 1
; LDSByteSize: 1024 bytes/workgroup (compile time only)
; SGPRBlocks: 4
; VGPRBlocks: 3
; NumSGPRsForWavesPerEU: 35
; NumVGPRsForWavesPerEU: 25
; AccumOffset: 28
; Occupancy: 8
; WaveLimiterHint : 1
; COMPUTE_PGM_RSRC2:SCRATCH_EN: 0
; COMPUTE_PGM_RSRC2:USER_SGPR: 6
; COMPUTE_PGM_RSRC2:TRAP_HANDLER: 0
; COMPUTE_PGM_RSRC2:TGID_X_EN: 1
; COMPUTE_PGM_RSRC2:TGID_Y_EN: 0
; COMPUTE_PGM_RSRC2:TGID_Z_EN: 0
; COMPUTE_PGM_RSRC2:TIDIG_COMP_CNT: 0
; COMPUTE_PGM_RSRC3_GFX90A:ACCUM_OFFSET: 6
; COMPUTE_PGM_RSRC3_GFX90A:TG_SPLIT: 0
	.section	.text._ZN9rocsparseL28csrmvn_lrb_short_rows_kernelIllaaiiEEvbT_PT0_S3_jNS_24const_host_device_scalarIT4_EEPKS1_PKS2_PKT1_PKT2_S6_PT3_21rocsparse_index_base_b,"axG",@progbits,_ZN9rocsparseL28csrmvn_lrb_short_rows_kernelIllaaiiEEvbT_PT0_S3_jNS_24const_host_device_scalarIT4_EEPKS1_PKS2_PKT1_PKT2_S6_PT3_21rocsparse_index_base_b,comdat
	.globl	_ZN9rocsparseL28csrmvn_lrb_short_rows_kernelIllaaiiEEvbT_PT0_S3_jNS_24const_host_device_scalarIT4_EEPKS1_PKS2_PKT1_PKT2_S6_PT3_21rocsparse_index_base_b ; -- Begin function _ZN9rocsparseL28csrmvn_lrb_short_rows_kernelIllaaiiEEvbT_PT0_S3_jNS_24const_host_device_scalarIT4_EEPKS1_PKS2_PKT1_PKT2_S6_PT3_21rocsparse_index_base_b
	.p2align	8
	.type	_ZN9rocsparseL28csrmvn_lrb_short_rows_kernelIllaaiiEEvbT_PT0_S3_jNS_24const_host_device_scalarIT4_EEPKS1_PKS2_PKT1_PKT2_S6_PT3_21rocsparse_index_base_b,@function
_ZN9rocsparseL28csrmvn_lrb_short_rows_kernelIllaaiiEEvbT_PT0_S3_jNS_24const_host_device_scalarIT4_EEPKS1_PKS2_PKT1_PKT2_S6_PT3_21rocsparse_index_base_b: ; @_ZN9rocsparseL28csrmvn_lrb_short_rows_kernelIllaaiiEEvbT_PT0_S3_jNS_24const_host_device_scalarIT4_EEPKS1_PKS2_PKT1_PKT2_S6_PT3_21rocsparse_index_base_b
; %bb.0:
	s_load_dwordx2 s[16:17], s[4:5], 0x60
	s_load_dwordx2 s[8:9], s[4:5], 0x28
	s_mov_b64 s[10:11], -1
                                        ; implicit-def: $sgpr7
	s_waitcnt lgkmcnt(0)
	s_bitcmp1_b32 s17, 0
	s_cselect_b64 s[0:1], -1, 0
	s_xor_b64 s[2:3], s[0:1], -1
	s_and_b64 vcc, exec, s[2:3]
	s_cbranch_vccnz .LBB92_4
; %bb.1:
	s_load_dwordx2 s[0:1], s[4:5], 0x50
	s_andn2_b64 vcc, exec, s[10:11]
	s_cbranch_vccz .LBB92_5
.LBB92_2:
	s_and_b64 vcc, exec, s[2:3]
	s_cbranch_vccz .LBB92_6
.LBB92_3:
	s_waitcnt lgkmcnt(0)
	s_load_dword s17, s[0:1], 0x0
	s_cbranch_execz .LBB92_7
	s_branch .LBB92_8
.LBB92_4:
	s_load_dword s7, s[8:9], 0x0
	s_load_dwordx2 s[0:1], s[4:5], 0x50
	s_cbranch_execnz .LBB92_2
.LBB92_5:
	s_waitcnt lgkmcnt(0)
	s_mov_b32 s7, s8
	s_and_b64 vcc, exec, s[2:3]
	s_cbranch_vccnz .LBB92_3
.LBB92_6:
                                        ; implicit-def: $sgpr17
.LBB92_7:
	s_waitcnt lgkmcnt(0)
	s_mov_b32 s17, s0
.LBB92_8:
	s_waitcnt lgkmcnt(0)
	s_cmp_lg_u32 s7, 0
	s_cselect_b64 s[0:1], -1, 0
	s_cmp_lg_u32 s17, 1
	s_cselect_b64 s[2:3], -1, 0
	s_or_b64 s[0:1], s[0:1], s[2:3]
	s_andn2_b64 vcc, exec, s[0:1]
	s_mov_b32 s19, 0
	s_cbranch_vccnz .LBB92_22
; %bb.9:
	s_load_dword s18, s[4:5], 0x20
	s_load_dwordx4 s[0:3], s[4:5], 0x10
	s_mov_b32 s9, s19
	s_waitcnt lgkmcnt(0)
	s_lshl_b64 s[10:11], s[18:19], 3
	s_add_u32 s10, s2, s10
	s_addc_u32 s11, s3, s11
	s_add_i32 s8, s18, 1
	s_lshl_b64 s[8:9], s[8:9], 3
	s_add_u32 s8, s2, s8
	s_addc_u32 s9, s3, s9
	s_load_dwordx2 s[2:3], s[10:11], 0x0
	s_load_dword s12, s[8:9], 0x0
	s_lshl_b32 s6, s6, 8
	s_add_i32 s9, s6, 0x100
	s_waitcnt lgkmcnt(0)
	s_sub_i32 s8, s12, s2
	s_min_u32 s19, s8, s9
	s_cmp_gt_u32 s18, 23
	s_cbranch_scc1 .LBB92_16
; %bb.10:
	s_load_dwordx8 s[8:15], s[4:5], 0x30
	s_lshl_b32 s24, 0x100, s18
	s_lshl_b64 s[20:21], s[2:3], 3
	s_add_u32 s25, s0, s20
	s_mov_b32 s27, 0
	v_mov_b32_e32 v9, 0
	s_addc_u32 s26, s1, s21
	v_bfe_u32 v6, v0, 0, s18
	v_mov_b32_e32 v7, v9
	v_lshl_add_u32 v1, v0, 2, 0
	s_mov_b32 s28, s27
	s_branch .LBB92_13
.LBB92_11:                              ;   in Loop: Header=BB92_13 Depth=1
	s_or_b64 exec, exec, s[22:23]
	ds_write_b32 v1, v4
.LBB92_12:                              ;   in Loop: Header=BB92_13 Depth=1
	s_or_b64 exec, exec, s[20:21]
	s_addk_i32 s28, 0x100
	s_cmp_ge_u32 s28, s24
	v_add_u32_e32 v1, 0x400, v1
	s_cbranch_scc1 .LBB92_16
.LBB92_13:                              ; =>This Inner Loop Header: Depth=1
	v_add_u32_e32 v2, s28, v0
	v_lshrrev_b32_e32 v2, s18, v2
	v_add_u32_e32 v8, s6, v2
	v_cmp_gt_u32_e32 vcc, s19, v8
	s_and_saveexec_b64 s[20:21], vcc
	s_cbranch_execz .LBB92_12
; %bb.14:                               ;   in Loop: Header=BB92_13 Depth=1
	v_lshlrev_b64 v[2:3], 3, v[8:9]
	v_mov_b32_e32 v4, s26
	v_add_co_u32_e32 v2, vcc, s25, v2
	v_addc_co_u32_e32 v3, vcc, v4, v3, vcc
	global_load_dwordx2 v[2:3], v[2:3], off
	s_waitcnt lgkmcnt(0)
	v_mov_b32_e32 v4, s9
	s_waitcnt vmcnt(0)
	v_lshlrev_b64 v[2:3], 3, v[2:3]
	v_add_co_u32_e32 v2, vcc, s8, v2
	v_addc_co_u32_e32 v3, vcc, v4, v3, vcc
	global_load_dwordx4 v[2:5], v[2:3], off
	s_waitcnt vmcnt(0)
	v_sub_co_u32_e32 v4, vcc, v4, v2
	v_subb_co_u32_e32 v5, vcc, v5, v3, vcc
	v_cmp_gt_i64_e32 vcc, v[4:5], v[6:7]
	v_mov_b32_e32 v4, 0
	s_and_saveexec_b64 s[22:23], vcc
	s_cbranch_execz .LBB92_11
; %bb.15:                               ;   in Loop: Header=BB92_13 Depth=1
	v_mov_b32_e32 v8, s27
	v_subrev_co_u32_e32 v2, vcc, s16, v2
	v_subb_co_u32_e32 v3, vcc, v3, v8, vcc
	v_add_co_u32_e32 v2, vcc, v2, v6
	v_addc_co_u32_e32 v3, vcc, 0, v3, vcc
	v_lshlrev_b64 v[4:5], 3, v[2:3]
	v_mov_b32_e32 v10, s11
	v_add_co_u32_e32 v4, vcc, s10, v4
	v_addc_co_u32_e32 v5, vcc, v10, v5, vcc
	global_load_dwordx2 v[4:5], v[4:5], off
	v_mov_b32_e32 v10, s13
	v_add_co_u32_e32 v2, vcc, s12, v2
	v_addc_co_u32_e32 v3, vcc, v10, v3, vcc
	global_load_sbyte v10, v[2:3], off
	v_mov_b32_e32 v11, s15
	s_waitcnt vmcnt(1)
	v_subrev_co_u32_e32 v2, vcc, s16, v4
	v_subb_co_u32_e32 v3, vcc, v5, v8, vcc
	v_add_co_u32_e32 v2, vcc, s14, v2
	v_addc_co_u32_e32 v3, vcc, v11, v3, vcc
	global_load_sbyte v2, v[2:3], off
	s_waitcnt vmcnt(1)
	v_mul_lo_u32 v3, s7, v10
	s_waitcnt vmcnt(0)
	v_mul_lo_u32 v4, v3, v2
	s_branch .LBB92_11
.LBB92_16:
	s_sub_i32 s7, s19, s6
	v_cmp_gt_u32_e32 vcc, s7, v0
	s_waitcnt lgkmcnt(0)
	s_barrier
	s_and_saveexec_b64 s[8:9], vcc
	s_cbranch_execz .LBB92_22
; %bb.17:
	s_lshl_b64 s[2:3], s[2:3], 3
	s_mov_b32 s7, 0
	s_add_u32 s2, s0, s2
	s_addc_u32 s3, s1, s3
	s_lshl_b64 s[0:1], s[6:7], 3
	s_add_u32 s0, s2, s0
	s_addc_u32 s1, s3, s1
	v_lshlrev_b32_e32 v1, 3, v0
	global_load_dwordx2 v[2:3], v1, s[0:1]
	s_load_dwordx2 s[0:1], s[4:5], 0x58
	v_lshlrev_b32_e32 v0, s18, v0
	v_lshl_add_u32 v1, v0, 2, 0
	s_mov_b32 s2, 1
	v_mov_b32_e32 v0, 0
.LBB92_18:                              ; =>This Inner Loop Header: Depth=1
	ds_read_b32 v4, v1
	s_lshr_b32 s3, s2, s18
	s_add_i32 s2, s2, 1
	v_add_u32_e32 v1, 4, v1
	s_cmp_lg_u32 s3, 0
	s_waitcnt lgkmcnt(0)
	v_add_u32_e32 v0, v4, v0
	s_cbranch_scc0 .LBB92_18
; %bb.19:
	s_cmp_lg_u32 s17, 0
	s_waitcnt vmcnt(0)
	v_lshlrev_b64 v[2:3], 2, v[2:3]
	s_cbranch_scc0 .LBB92_21
; %bb.20:
	v_mov_b32_e32 v1, s1
	v_add_co_u32_e32 v4, vcc, s0, v2
	v_addc_co_u32_e32 v5, vcc, v1, v3, vcc
	global_load_dword v1, v[4:5], off
	s_waitcnt vmcnt(0)
	v_mad_u64_u32 v[0:1], s[2:3], v1, s17, v[0:1]
.LBB92_21:
	v_mov_b32_e32 v1, s1
	v_add_co_u32_e32 v2, vcc, s0, v2
	v_addc_co_u32_e32 v3, vcc, v1, v3, vcc
	global_store_dword v[2:3], v0, off
.LBB92_22:
	s_endpgm
	.section	.rodata,"a",@progbits
	.p2align	6, 0x0
	.amdhsa_kernel _ZN9rocsparseL28csrmvn_lrb_short_rows_kernelIllaaiiEEvbT_PT0_S3_jNS_24const_host_device_scalarIT4_EEPKS1_PKS2_PKT1_PKT2_S6_PT3_21rocsparse_index_base_b
		.amdhsa_group_segment_fixed_size 0
		.amdhsa_private_segment_fixed_size 0
		.amdhsa_kernarg_size 104
		.amdhsa_user_sgpr_count 6
		.amdhsa_user_sgpr_private_segment_buffer 1
		.amdhsa_user_sgpr_dispatch_ptr 0
		.amdhsa_user_sgpr_queue_ptr 0
		.amdhsa_user_sgpr_kernarg_segment_ptr 1
		.amdhsa_user_sgpr_dispatch_id 0
		.amdhsa_user_sgpr_flat_scratch_init 0
		.amdhsa_user_sgpr_kernarg_preload_length 0
		.amdhsa_user_sgpr_kernarg_preload_offset 0
		.amdhsa_user_sgpr_private_segment_size 0
		.amdhsa_uses_dynamic_stack 0
		.amdhsa_system_sgpr_private_segment_wavefront_offset 0
		.amdhsa_system_sgpr_workgroup_id_x 1
		.amdhsa_system_sgpr_workgroup_id_y 0
		.amdhsa_system_sgpr_workgroup_id_z 0
		.amdhsa_system_sgpr_workgroup_info 0
		.amdhsa_system_vgpr_workitem_id 0
		.amdhsa_next_free_vgpr 12
		.amdhsa_next_free_sgpr 29
		.amdhsa_accum_offset 12
		.amdhsa_reserve_vcc 1
		.amdhsa_reserve_flat_scratch 0
		.amdhsa_float_round_mode_32 0
		.amdhsa_float_round_mode_16_64 0
		.amdhsa_float_denorm_mode_32 3
		.amdhsa_float_denorm_mode_16_64 3
		.amdhsa_dx10_clamp 1
		.amdhsa_ieee_mode 1
		.amdhsa_fp16_overflow 0
		.amdhsa_tg_split 0
		.amdhsa_exception_fp_ieee_invalid_op 0
		.amdhsa_exception_fp_denorm_src 0
		.amdhsa_exception_fp_ieee_div_zero 0
		.amdhsa_exception_fp_ieee_overflow 0
		.amdhsa_exception_fp_ieee_underflow 0
		.amdhsa_exception_fp_ieee_inexact 0
		.amdhsa_exception_int_div_zero 0
	.end_amdhsa_kernel
	.section	.text._ZN9rocsparseL28csrmvn_lrb_short_rows_kernelIllaaiiEEvbT_PT0_S3_jNS_24const_host_device_scalarIT4_EEPKS1_PKS2_PKT1_PKT2_S6_PT3_21rocsparse_index_base_b,"axG",@progbits,_ZN9rocsparseL28csrmvn_lrb_short_rows_kernelIllaaiiEEvbT_PT0_S3_jNS_24const_host_device_scalarIT4_EEPKS1_PKS2_PKT1_PKT2_S6_PT3_21rocsparse_index_base_b,comdat
.Lfunc_end92:
	.size	_ZN9rocsparseL28csrmvn_lrb_short_rows_kernelIllaaiiEEvbT_PT0_S3_jNS_24const_host_device_scalarIT4_EEPKS1_PKS2_PKT1_PKT2_S6_PT3_21rocsparse_index_base_b, .Lfunc_end92-_ZN9rocsparseL28csrmvn_lrb_short_rows_kernelIllaaiiEEvbT_PT0_S3_jNS_24const_host_device_scalarIT4_EEPKS1_PKS2_PKT1_PKT2_S6_PT3_21rocsparse_index_base_b
                                        ; -- End function
	.section	.AMDGPU.csdata,"",@progbits
; Kernel info:
; codeLenInByte = 816
; NumSgprs: 33
; NumVgprs: 12
; NumAgprs: 0
; TotalNumVgprs: 12
; ScratchSize: 0
; MemoryBound: 0
; FloatMode: 240
; IeeeMode: 1
; LDSByteSize: 0 bytes/workgroup (compile time only)
; SGPRBlocks: 4
; VGPRBlocks: 1
; NumSGPRsForWavesPerEU: 33
; NumVGPRsForWavesPerEU: 12
; AccumOffset: 12
; Occupancy: 8
; WaveLimiterHint : 1
; COMPUTE_PGM_RSRC2:SCRATCH_EN: 0
; COMPUTE_PGM_RSRC2:USER_SGPR: 6
; COMPUTE_PGM_RSRC2:TRAP_HANDLER: 0
; COMPUTE_PGM_RSRC2:TGID_X_EN: 1
; COMPUTE_PGM_RSRC2:TGID_Y_EN: 0
; COMPUTE_PGM_RSRC2:TGID_Z_EN: 0
; COMPUTE_PGM_RSRC2:TIDIG_COMP_CNT: 0
; COMPUTE_PGM_RSRC3_GFX90A:ACCUM_OFFSET: 2
; COMPUTE_PGM_RSRC3_GFX90A:TG_SPLIT: 0
	.section	.text._ZN9rocsparseL30csrmvn_lrb_short_rows_2_kernelIllaaiiEEvbT_PT0_S3_jNS_24const_host_device_scalarIT4_EEPKS1_PKS2_PKT1_PKT2_S6_PT3_21rocsparse_index_base_b,"axG",@progbits,_ZN9rocsparseL30csrmvn_lrb_short_rows_2_kernelIllaaiiEEvbT_PT0_S3_jNS_24const_host_device_scalarIT4_EEPKS1_PKS2_PKT1_PKT2_S6_PT3_21rocsparse_index_base_b,comdat
	.globl	_ZN9rocsparseL30csrmvn_lrb_short_rows_2_kernelIllaaiiEEvbT_PT0_S3_jNS_24const_host_device_scalarIT4_EEPKS1_PKS2_PKT1_PKT2_S6_PT3_21rocsparse_index_base_b ; -- Begin function _ZN9rocsparseL30csrmvn_lrb_short_rows_2_kernelIllaaiiEEvbT_PT0_S3_jNS_24const_host_device_scalarIT4_EEPKS1_PKS2_PKT1_PKT2_S6_PT3_21rocsparse_index_base_b
	.p2align	8
	.type	_ZN9rocsparseL30csrmvn_lrb_short_rows_2_kernelIllaaiiEEvbT_PT0_S3_jNS_24const_host_device_scalarIT4_EEPKS1_PKS2_PKT1_PKT2_S6_PT3_21rocsparse_index_base_b,@function
_ZN9rocsparseL30csrmvn_lrb_short_rows_2_kernelIllaaiiEEvbT_PT0_S3_jNS_24const_host_device_scalarIT4_EEPKS1_PKS2_PKT1_PKT2_S6_PT3_21rocsparse_index_base_b: ; @_ZN9rocsparseL30csrmvn_lrb_short_rows_2_kernelIllaaiiEEvbT_PT0_S3_jNS_24const_host_device_scalarIT4_EEPKS1_PKS2_PKT1_PKT2_S6_PT3_21rocsparse_index_base_b
; %bb.0:
	s_load_dwordx2 s[16:17], s[4:5], 0x60
	s_load_dwordx2 s[8:9], s[4:5], 0x28
	s_mov_b64 s[10:11], -1
                                        ; implicit-def: $sgpr20
	s_waitcnt lgkmcnt(0)
	s_bitcmp1_b32 s17, 0
	s_cselect_b64 s[0:1], -1, 0
	s_xor_b64 s[2:3], s[0:1], -1
	s_and_b64 vcc, exec, s[2:3]
	s_cbranch_vccnz .LBB93_4
; %bb.1:
	s_load_dwordx2 s[0:1], s[4:5], 0x50
	s_andn2_b64 vcc, exec, s[10:11]
	s_cbranch_vccz .LBB93_5
.LBB93_2:
	s_and_b64 vcc, exec, s[2:3]
	s_cbranch_vccz .LBB93_6
.LBB93_3:
	s_waitcnt lgkmcnt(0)
	s_load_dword s17, s[0:1], 0x0
	s_cbranch_execz .LBB93_7
	s_branch .LBB93_8
.LBB93_4:
	s_load_dword s20, s[8:9], 0x0
	s_load_dwordx2 s[0:1], s[4:5], 0x50
	s_cbranch_execnz .LBB93_2
.LBB93_5:
	s_waitcnt lgkmcnt(0)
	s_mov_b32 s20, s8
	s_and_b64 vcc, exec, s[2:3]
	s_cbranch_vccnz .LBB93_3
.LBB93_6:
                                        ; implicit-def: $sgpr17
.LBB93_7:
	s_waitcnt lgkmcnt(0)
	s_mov_b32 s17, s0
.LBB93_8:
	s_waitcnt lgkmcnt(0)
	s_cmp_lg_u32 s20, 0
	s_cselect_b64 s[0:1], -1, 0
	s_cmp_lg_u32 s17, 1
	s_cselect_b64 s[2:3], -1, 0
	s_or_b64 s[0:1], s[0:1], s[2:3]
	s_andn2_b64 vcc, exec, s[0:1]
	s_mov_b32 s1, 0
	s_cbranch_vccnz .LBB93_34
; %bb.9:
	s_load_dword s0, s[4:5], 0x20
	s_load_dwordx4 s[24:27], s[4:5], 0x10
	s_mov_b32 s3, s1
	v_mov_b32_e32 v7, 0
	s_waitcnt lgkmcnt(0)
	s_lshl_b64 s[8:9], s[0:1], 3
	s_add_u32 s18, s26, s8
	s_addc_u32 s19, s27, s9
	s_add_i32 s2, s0, 1
	s_lshl_b64 s[2:3], s[2:3], 3
	s_add_u32 s22, s26, s2
	s_addc_u32 s23, s27, s3
	s_load_dwordx2 s[26:27], s[18:19], 0x0
	s_load_dword s7, s[22:23], 0x0
	s_load_dwordx2 s[2:3], s[4:5], 0x58
	s_load_dwordx8 s[8:15], s[4:5], 0x30
	s_lshr_b32 s1, 0x400, s0
	s_mul_i32 s4, s1, s6
	s_waitcnt lgkmcnt(0)
	s_sub_i32 s5, s7, s26
	s_add_i32 s6, s4, s1
	s_min_u32 s5, s5, s6
	s_lshl_b64 s[6:7], s[26:27], 3
	v_lshrrev_b32_e32 v1, s0, v0
	s_add_u32 s21, s24, s6
	v_add_u32_e32 v2, s4, v1
	s_addc_u32 s22, s25, s7
	v_bfe_u32 v6, v0, 0, s0
	v_cmp_gt_u32_e32 vcc, s5, v2
	s_and_saveexec_b64 s[6:7], vcc
	s_cbranch_execz .LBB93_13
; %bb.10:
	v_mov_b32_e32 v3, v7
	v_lshlrev_b64 v[2:3], 3, v[2:3]
	v_mov_b32_e32 v1, s22
	v_add_co_u32_e32 v2, vcc, s21, v2
	v_addc_co_u32_e32 v3, vcc, v1, v3, vcc
	global_load_dwordx2 v[2:3], v[2:3], off
	v_mov_b32_e32 v1, s9
	s_waitcnt vmcnt(0)
	v_lshlrev_b64 v[2:3], 3, v[2:3]
	v_add_co_u32_e32 v2, vcc, s8, v2
	v_addc_co_u32_e32 v3, vcc, v1, v3, vcc
	global_load_dwordx4 v[2:5], v[2:3], off
	v_mov_b32_e32 v1, v7
	s_waitcnt vmcnt(0)
	v_sub_co_u32_e32 v4, vcc, v4, v2
	v_subb_co_u32_e32 v5, vcc, v5, v3, vcc
	v_cmp_gt_i64_e32 vcc, v[4:5], v[6:7]
	s_and_saveexec_b64 s[18:19], vcc
	s_cbranch_execz .LBB93_12
; %bb.11:
	v_subrev_co_u32_e32 v1, vcc, s16, v2
	v_subbrev_co_u32_e32 v3, vcc, 0, v3, vcc
	v_add_co_u32_e32 v2, vcc, v1, v6
	v_addc_co_u32_e32 v3, vcc, 0, v3, vcc
	v_lshlrev_b64 v[4:5], 3, v[2:3]
	v_mov_b32_e32 v1, s11
	v_add_co_u32_e32 v4, vcc, s10, v4
	v_addc_co_u32_e32 v5, vcc, v1, v5, vcc
	global_load_dwordx2 v[4:5], v[4:5], off
	v_mov_b32_e32 v1, s13
	v_add_co_u32_e32 v2, vcc, s12, v2
	v_addc_co_u32_e32 v3, vcc, v1, v3, vcc
	global_load_sbyte v1, v[2:3], off
	v_mov_b32_e32 v8, s15
	s_waitcnt vmcnt(1)
	v_subrev_co_u32_e32 v2, vcc, s16, v4
	v_subbrev_co_u32_e32 v3, vcc, 0, v5, vcc
	v_add_co_u32_e32 v2, vcc, s14, v2
	v_addc_co_u32_e32 v3, vcc, v8, v3, vcc
	global_load_sbyte v2, v[2:3], off
	s_waitcnt vmcnt(1)
	v_mul_lo_u32 v1, s20, v1
	s_waitcnt vmcnt(0)
	v_mul_lo_u32 v1, v1, v2
.LBB93_12:
	s_or_b64 exec, exec, s[18:19]
	v_lshlrev_b32_e32 v2, 2, v0
	ds_write_b32 v2, v1
.LBB93_13:
	s_or_b64 exec, exec, s[6:7]
	v_or_b32_e32 v1, 0x100, v0
	v_lshrrev_b32_e32 v1, s0, v1
	v_add_u32_e32 v8, s4, v1
	v_cmp_gt_u32_e32 vcc, s5, v8
	s_and_saveexec_b64 s[6:7], vcc
	s_cbranch_execz .LBB93_17
; %bb.14:
	v_mov_b32_e32 v9, 0
	v_lshlrev_b64 v[2:3], 3, v[8:9]
	v_mov_b32_e32 v1, s22
	v_add_co_u32_e32 v2, vcc, s21, v2
	v_addc_co_u32_e32 v3, vcc, v1, v3, vcc
	global_load_dwordx2 v[2:3], v[2:3], off
	v_mov_b32_e32 v1, s9
	s_waitcnt vmcnt(0)
	v_lshlrev_b64 v[2:3], 3, v[2:3]
	v_add_co_u32_e32 v2, vcc, s8, v2
	v_addc_co_u32_e32 v3, vcc, v1, v3, vcc
	global_load_dwordx4 v[2:5], v[2:3], off
	s_waitcnt vmcnt(0)
	v_sub_co_u32_e32 v4, vcc, v4, v2
	v_subb_co_u32_e32 v5, vcc, v5, v3, vcc
	v_cmp_gt_i64_e32 vcc, v[4:5], v[6:7]
	s_and_saveexec_b64 s[18:19], vcc
	s_cbranch_execz .LBB93_16
; %bb.15:
	v_subrev_co_u32_e32 v1, vcc, s16, v2
	v_subbrev_co_u32_e32 v3, vcc, 0, v3, vcc
	v_add_co_u32_e32 v2, vcc, v1, v6
	v_addc_co_u32_e32 v3, vcc, 0, v3, vcc
	v_lshlrev_b64 v[4:5], 3, v[2:3]
	v_mov_b32_e32 v1, s11
	v_add_co_u32_e32 v4, vcc, s10, v4
	v_addc_co_u32_e32 v5, vcc, v1, v5, vcc
	global_load_dwordx2 v[4:5], v[4:5], off
	v_mov_b32_e32 v1, s13
	v_add_co_u32_e32 v2, vcc, s12, v2
	v_addc_co_u32_e32 v3, vcc, v1, v3, vcc
	global_load_sbyte v1, v[2:3], off
	v_mov_b32_e32 v8, s15
	s_waitcnt vmcnt(1)
	v_subrev_co_u32_e32 v2, vcc, s16, v4
	v_subbrev_co_u32_e32 v3, vcc, 0, v5, vcc
	v_add_co_u32_e32 v2, vcc, s14, v2
	v_addc_co_u32_e32 v3, vcc, v8, v3, vcc
	global_load_sbyte v2, v[2:3], off
	s_waitcnt vmcnt(1)
	v_mul_lo_u32 v1, s20, v1
	s_waitcnt vmcnt(0)
	v_mul_lo_u32 v9, v1, v2
.LBB93_16:
	s_or_b64 exec, exec, s[18:19]
	v_lshlrev_b32_e32 v1, 2, v0
	ds_write_b32 v1, v9 offset:1024
.LBB93_17:
	s_or_b64 exec, exec, s[6:7]
	v_or_b32_e32 v1, 0x200, v0
	v_lshrrev_b32_e32 v1, s0, v1
	v_add_u32_e32 v8, s4, v1
	v_cmp_gt_u32_e32 vcc, s5, v8
	s_and_saveexec_b64 s[6:7], vcc
	s_cbranch_execz .LBB93_21
; %bb.18:
	v_mov_b32_e32 v9, 0
	v_lshlrev_b64 v[2:3], 3, v[8:9]
	v_mov_b32_e32 v1, s22
	v_add_co_u32_e32 v2, vcc, s21, v2
	v_addc_co_u32_e32 v3, vcc, v1, v3, vcc
	global_load_dwordx2 v[2:3], v[2:3], off
	v_mov_b32_e32 v1, s9
	s_waitcnt vmcnt(0)
	v_lshlrev_b64 v[2:3], 3, v[2:3]
	v_add_co_u32_e32 v2, vcc, s8, v2
	v_addc_co_u32_e32 v3, vcc, v1, v3, vcc
	global_load_dwordx4 v[2:5], v[2:3], off
	s_waitcnt vmcnt(0)
	v_sub_co_u32_e32 v4, vcc, v4, v2
	v_subb_co_u32_e32 v5, vcc, v5, v3, vcc
	v_cmp_gt_i64_e32 vcc, v[4:5], v[6:7]
	s_and_saveexec_b64 s[18:19], vcc
	s_cbranch_execz .LBB93_20
; %bb.19:
	v_subrev_co_u32_e32 v1, vcc, s16, v2
	v_subbrev_co_u32_e32 v3, vcc, 0, v3, vcc
	v_add_co_u32_e32 v2, vcc, v1, v6
	v_addc_co_u32_e32 v3, vcc, 0, v3, vcc
	v_lshlrev_b64 v[4:5], 3, v[2:3]
	v_mov_b32_e32 v1, s11
	v_add_co_u32_e32 v4, vcc, s10, v4
	v_addc_co_u32_e32 v5, vcc, v1, v5, vcc
	global_load_dwordx2 v[4:5], v[4:5], off
	v_mov_b32_e32 v1, s13
	v_add_co_u32_e32 v2, vcc, s12, v2
	v_addc_co_u32_e32 v3, vcc, v1, v3, vcc
	global_load_sbyte v1, v[2:3], off
	v_mov_b32_e32 v8, s15
	s_waitcnt vmcnt(1)
	v_subrev_co_u32_e32 v2, vcc, s16, v4
	v_subbrev_co_u32_e32 v3, vcc, 0, v5, vcc
	v_add_co_u32_e32 v2, vcc, s14, v2
	v_addc_co_u32_e32 v3, vcc, v8, v3, vcc
	global_load_sbyte v2, v[2:3], off
	s_waitcnt vmcnt(1)
	v_mul_lo_u32 v1, s20, v1
	s_waitcnt vmcnt(0)
	v_mul_lo_u32 v9, v1, v2
.LBB93_20:
	s_or_b64 exec, exec, s[18:19]
	v_lshlrev_b32_e32 v1, 2, v0
	ds_write_b32 v1, v9 offset:2048
.LBB93_21:
	s_or_b64 exec, exec, s[6:7]
	v_or_b32_e32 v1, 0x300, v0
	v_lshrrev_b32_e32 v1, s0, v1
	v_add_u32_e32 v8, s4, v1
	v_cmp_gt_u32_e32 vcc, s5, v8
	s_and_saveexec_b64 s[6:7], vcc
	s_cbranch_execz .LBB93_25
; %bb.22:
	v_mov_b32_e32 v9, 0
	v_lshlrev_b64 v[2:3], 3, v[8:9]
	v_mov_b32_e32 v1, s22
	v_add_co_u32_e32 v2, vcc, s21, v2
	v_addc_co_u32_e32 v3, vcc, v1, v3, vcc
	global_load_dwordx2 v[2:3], v[2:3], off
	v_mov_b32_e32 v1, s9
	s_waitcnt vmcnt(0)
	v_lshlrev_b64 v[2:3], 3, v[2:3]
	v_add_co_u32_e32 v2, vcc, s8, v2
	v_addc_co_u32_e32 v3, vcc, v1, v3, vcc
	global_load_dwordx4 v[2:5], v[2:3], off
	s_waitcnt vmcnt(0)
	v_sub_co_u32_e32 v4, vcc, v4, v2
	v_subb_co_u32_e32 v5, vcc, v5, v3, vcc
	v_cmp_gt_i64_e32 vcc, v[4:5], v[6:7]
	s_and_saveexec_b64 s[8:9], vcc
	s_cbranch_execz .LBB93_24
; %bb.23:
	v_subrev_co_u32_e32 v1, vcc, s16, v2
	v_subbrev_co_u32_e32 v3, vcc, 0, v3, vcc
	v_add_co_u32_e32 v2, vcc, v1, v6
	v_addc_co_u32_e32 v3, vcc, 0, v3, vcc
	v_lshlrev_b64 v[4:5], 3, v[2:3]
	v_mov_b32_e32 v1, s11
	v_add_co_u32_e32 v4, vcc, s10, v4
	v_addc_co_u32_e32 v5, vcc, v1, v5, vcc
	global_load_dwordx2 v[4:5], v[4:5], off
	v_mov_b32_e32 v1, s13
	v_add_co_u32_e32 v2, vcc, s12, v2
	v_addc_co_u32_e32 v3, vcc, v1, v3, vcc
	global_load_sbyte v1, v[2:3], off
	v_mov_b32_e32 v6, s15
	s_waitcnt vmcnt(1)
	v_subrev_co_u32_e32 v2, vcc, s16, v4
	v_subbrev_co_u32_e32 v3, vcc, 0, v5, vcc
	v_add_co_u32_e32 v2, vcc, s14, v2
	v_addc_co_u32_e32 v3, vcc, v6, v3, vcc
	global_load_sbyte v2, v[2:3], off
	s_waitcnt vmcnt(1)
	v_mul_lo_u32 v1, s20, v1
	s_waitcnt vmcnt(0)
	v_mul_lo_u32 v9, v1, v2
.LBB93_24:
	s_or_b64 exec, exec, s[8:9]
	v_lshlrev_b32_e32 v1, 2, v0
	ds_write_b32 v1, v9 offset:3072
.LBB93_25:
	s_or_b64 exec, exec, s[6:7]
	s_cmp_lt_u32 s0, 11
	s_waitcnt lgkmcnt(0)
	s_barrier
	s_cbranch_scc0 .LBB93_34
; %bb.26:
	s_sub_i32 s10, s5, s4
	s_mov_b32 s5, 0
	s_lshl_b64 s[6:7], s[4:5], 3
	s_add_u32 s4, s21, s6
	s_addc_u32 s11, s22, s7
	s_cmp_lg_u32 s17, 0
	s_cselect_b64 s[6:7], -1, 0
	v_mov_b32_e32 v3, 0
	s_branch .LBB93_29
.LBB93_27:                              ;   in Loop: Header=BB93_29 Depth=1
	v_mov_b32_e32 v1, s3
	v_add_co_u32_e32 v6, vcc, s2, v6
	v_addc_co_u32_e32 v7, vcc, v1, v7, vcc
	global_store_dword v[6:7], v4, off
.LBB93_28:                              ;   in Loop: Header=BB93_29 Depth=1
	s_or_b64 exec, exec, s[8:9]
	s_addk_i32 s5, 0x100
	s_cmp_lt_u32 s5, s1
	s_cbranch_scc0 .LBB93_34
.LBB93_29:                              ; =>This Loop Header: Depth=1
                                        ;     Child Loop BB93_31 Depth 2
	v_add_u32_e32 v2, s5, v0
	v_cmp_gt_u32_e32 vcc, s10, v2
	s_and_saveexec_b64 s[8:9], vcc
	s_cbranch_execz .LBB93_28
; %bb.30:                               ;   in Loop: Header=BB93_29 Depth=1
	v_lshlrev_b64 v[4:5], 3, v[2:3]
	v_mov_b32_e32 v1, s11
	v_add_co_u32_e32 v4, vcc, s4, v4
	v_addc_co_u32_e32 v5, vcc, v1, v5, vcc
	global_load_dwordx2 v[6:7], v[4:5], off
	v_lshlrev_b32_e32 v1, s0, v2
	v_lshlrev_b32_e32 v1, 2, v1
	s_mov_b32 s12, 1
	v_mov_b32_e32 v4, 0
.LBB93_31:                              ;   Parent Loop BB93_29 Depth=1
                                        ; =>  This Inner Loop Header: Depth=2
	ds_read_b32 v2, v1
	s_lshr_b32 s13, s12, s0
	s_add_i32 s12, s12, 1
	v_add_u32_e32 v1, 4, v1
	s_cmp_lg_u32 s13, 0
	s_waitcnt lgkmcnt(0)
	v_add_u32_e32 v4, v2, v4
	s_cbranch_scc0 .LBB93_31
; %bb.32:                               ;   in Loop: Header=BB93_29 Depth=1
	s_and_b64 vcc, exec, s[6:7]
	s_waitcnt vmcnt(0)
	v_lshlrev_b64 v[6:7], 2, v[6:7]
	s_cbranch_vccz .LBB93_27
; %bb.33:                               ;   in Loop: Header=BB93_29 Depth=1
	v_mov_b32_e32 v1, s3
	v_add_co_u32_e32 v8, vcc, s2, v6
	v_addc_co_u32_e32 v9, vcc, v1, v7, vcc
	global_load_dword v1, v[8:9], off
	s_waitcnt vmcnt(0)
	v_mad_u64_u32 v[4:5], s[12:13], v1, s17, v[4:5]
	s_branch .LBB93_27
.LBB93_34:
	s_endpgm
	.section	.rodata,"a",@progbits
	.p2align	6, 0x0
	.amdhsa_kernel _ZN9rocsparseL30csrmvn_lrb_short_rows_2_kernelIllaaiiEEvbT_PT0_S3_jNS_24const_host_device_scalarIT4_EEPKS1_PKS2_PKT1_PKT2_S6_PT3_21rocsparse_index_base_b
		.amdhsa_group_segment_fixed_size 4096
		.amdhsa_private_segment_fixed_size 0
		.amdhsa_kernarg_size 104
		.amdhsa_user_sgpr_count 6
		.amdhsa_user_sgpr_private_segment_buffer 1
		.amdhsa_user_sgpr_dispatch_ptr 0
		.amdhsa_user_sgpr_queue_ptr 0
		.amdhsa_user_sgpr_kernarg_segment_ptr 1
		.amdhsa_user_sgpr_dispatch_id 0
		.amdhsa_user_sgpr_flat_scratch_init 0
		.amdhsa_user_sgpr_kernarg_preload_length 0
		.amdhsa_user_sgpr_kernarg_preload_offset 0
		.amdhsa_user_sgpr_private_segment_size 0
		.amdhsa_uses_dynamic_stack 0
		.amdhsa_system_sgpr_private_segment_wavefront_offset 0
		.amdhsa_system_sgpr_workgroup_id_x 1
		.amdhsa_system_sgpr_workgroup_id_y 0
		.amdhsa_system_sgpr_workgroup_id_z 0
		.amdhsa_system_sgpr_workgroup_info 0
		.amdhsa_system_vgpr_workitem_id 0
		.amdhsa_next_free_vgpr 10
		.amdhsa_next_free_sgpr 28
		.amdhsa_accum_offset 12
		.amdhsa_reserve_vcc 1
		.amdhsa_reserve_flat_scratch 0
		.amdhsa_float_round_mode_32 0
		.amdhsa_float_round_mode_16_64 0
		.amdhsa_float_denorm_mode_32 3
		.amdhsa_float_denorm_mode_16_64 3
		.amdhsa_dx10_clamp 1
		.amdhsa_ieee_mode 1
		.amdhsa_fp16_overflow 0
		.amdhsa_tg_split 0
		.amdhsa_exception_fp_ieee_invalid_op 0
		.amdhsa_exception_fp_denorm_src 0
		.amdhsa_exception_fp_ieee_div_zero 0
		.amdhsa_exception_fp_ieee_overflow 0
		.amdhsa_exception_fp_ieee_underflow 0
		.amdhsa_exception_fp_ieee_inexact 0
		.amdhsa_exception_int_div_zero 0
	.end_amdhsa_kernel
	.section	.text._ZN9rocsparseL30csrmvn_lrb_short_rows_2_kernelIllaaiiEEvbT_PT0_S3_jNS_24const_host_device_scalarIT4_EEPKS1_PKS2_PKT1_PKT2_S6_PT3_21rocsparse_index_base_b,"axG",@progbits,_ZN9rocsparseL30csrmvn_lrb_short_rows_2_kernelIllaaiiEEvbT_PT0_S3_jNS_24const_host_device_scalarIT4_EEPKS1_PKS2_PKT1_PKT2_S6_PT3_21rocsparse_index_base_b,comdat
.Lfunc_end93:
	.size	_ZN9rocsparseL30csrmvn_lrb_short_rows_2_kernelIllaaiiEEvbT_PT0_S3_jNS_24const_host_device_scalarIT4_EEPKS1_PKS2_PKT1_PKT2_S6_PT3_21rocsparse_index_base_b, .Lfunc_end93-_ZN9rocsparseL30csrmvn_lrb_short_rows_2_kernelIllaaiiEEvbT_PT0_S3_jNS_24const_host_device_scalarIT4_EEPKS1_PKS2_PKT1_PKT2_S6_PT3_21rocsparse_index_base_b
                                        ; -- End function
	.section	.AMDGPU.csdata,"",@progbits
; Kernel info:
; codeLenInByte = 1568
; NumSgprs: 32
; NumVgprs: 10
; NumAgprs: 0
; TotalNumVgprs: 10
; ScratchSize: 0
; MemoryBound: 0
; FloatMode: 240
; IeeeMode: 1
; LDSByteSize: 4096 bytes/workgroup (compile time only)
; SGPRBlocks: 3
; VGPRBlocks: 1
; NumSGPRsForWavesPerEU: 32
; NumVGPRsForWavesPerEU: 10
; AccumOffset: 12
; Occupancy: 8
; WaveLimiterHint : 1
; COMPUTE_PGM_RSRC2:SCRATCH_EN: 0
; COMPUTE_PGM_RSRC2:USER_SGPR: 6
; COMPUTE_PGM_RSRC2:TRAP_HANDLER: 0
; COMPUTE_PGM_RSRC2:TGID_X_EN: 1
; COMPUTE_PGM_RSRC2:TGID_Y_EN: 0
; COMPUTE_PGM_RSRC2:TGID_Z_EN: 0
; COMPUTE_PGM_RSRC2:TIDIG_COMP_CNT: 0
; COMPUTE_PGM_RSRC3_GFX90A:ACCUM_OFFSET: 2
; COMPUTE_PGM_RSRC3_GFX90A:TG_SPLIT: 0
	.section	.text._ZN9rocsparseL41csrmvn_lrb_medium_rows_warp_reduce_kernelILj256ELj32EllaaiiEEvbT1_lPT2_S3_jNS_24const_host_device_scalarIT6_EEPKS1_PKS2_PKT3_PKT4_S6_PT5_21rocsparse_index_base_b,"axG",@progbits,_ZN9rocsparseL41csrmvn_lrb_medium_rows_warp_reduce_kernelILj256ELj32EllaaiiEEvbT1_lPT2_S3_jNS_24const_host_device_scalarIT6_EEPKS1_PKS2_PKT3_PKT4_S6_PT5_21rocsparse_index_base_b,comdat
	.globl	_ZN9rocsparseL41csrmvn_lrb_medium_rows_warp_reduce_kernelILj256ELj32EllaaiiEEvbT1_lPT2_S3_jNS_24const_host_device_scalarIT6_EEPKS1_PKS2_PKT3_PKT4_S6_PT5_21rocsparse_index_base_b ; -- Begin function _ZN9rocsparseL41csrmvn_lrb_medium_rows_warp_reduce_kernelILj256ELj32EllaaiiEEvbT1_lPT2_S3_jNS_24const_host_device_scalarIT6_EEPKS1_PKS2_PKT3_PKT4_S6_PT5_21rocsparse_index_base_b
	.p2align	8
	.type	_ZN9rocsparseL41csrmvn_lrb_medium_rows_warp_reduce_kernelILj256ELj32EllaaiiEEvbT1_lPT2_S3_jNS_24const_host_device_scalarIT6_EEPKS1_PKS2_PKT3_PKT4_S6_PT5_21rocsparse_index_base_b,@function
_ZN9rocsparseL41csrmvn_lrb_medium_rows_warp_reduce_kernelILj256ELj32EllaaiiEEvbT1_lPT2_S3_jNS_24const_host_device_scalarIT6_EEPKS1_PKS2_PKT3_PKT4_S6_PT5_21rocsparse_index_base_b: ; @_ZN9rocsparseL41csrmvn_lrb_medium_rows_warp_reduce_kernelILj256ELj32EllaaiiEEvbT1_lPT2_S3_jNS_24const_host_device_scalarIT6_EEPKS1_PKS2_PKT3_PKT4_S6_PT5_21rocsparse_index_base_b
; %bb.0:
	s_load_dwordx2 s[8:9], s[4:5], 0x68
	s_load_dwordx2 s[10:11], s[4:5], 0x30
	s_mov_b64 s[12:13], -1
                                        ; implicit-def: $sgpr14
	s_waitcnt lgkmcnt(0)
	s_bitcmp1_b32 s9, 0
	s_cselect_b64 s[0:1], -1, 0
	s_xor_b64 s[2:3], s[0:1], -1
	s_and_b64 vcc, exec, s[2:3]
	s_cbranch_vccnz .LBB94_4
; %bb.1:
	s_load_dwordx2 s[0:1], s[4:5], 0x58
	s_andn2_b64 vcc, exec, s[12:13]
	s_cbranch_vccz .LBB94_5
.LBB94_2:
	s_and_b64 vcc, exec, s[2:3]
	s_cbranch_vccz .LBB94_6
.LBB94_3:
	s_waitcnt lgkmcnt(0)
	s_load_dword s9, s[0:1], 0x0
	s_cbranch_execz .LBB94_7
	s_branch .LBB94_8
.LBB94_4:
	s_load_dword s14, s[10:11], 0x0
	s_load_dwordx2 s[0:1], s[4:5], 0x58
	s_cbranch_execnz .LBB94_2
.LBB94_5:
	s_waitcnt lgkmcnt(0)
	s_mov_b32 s14, s10
	s_and_b64 vcc, exec, s[2:3]
	s_cbranch_vccnz .LBB94_3
.LBB94_6:
                                        ; implicit-def: $sgpr9
.LBB94_7:
	s_waitcnt lgkmcnt(0)
	s_mov_b32 s9, s0
.LBB94_8:
	s_waitcnt lgkmcnt(0)
	s_cmp_lg_u32 s14, 0
	s_cselect_b64 s[0:1], -1, 0
	s_cmp_lg_u32 s9, 1
	s_cselect_b64 s[2:3], -1, 0
	s_or_b64 s[0:1], s[0:1], s[2:3]
	s_andn2_b64 vcc, exec, s[0:1]
	s_cbranch_vccnz .LBB94_18
; %bb.9:
	s_load_dwordx2 s[0:1], s[4:5], 0x10
	v_lshrrev_b32_e32 v1, 5, v0
	v_lshl_or_b32 v2, s6, 3, v1
	v_ashrrev_i32_e32 v3, 31, v2
	s_waitcnt lgkmcnt(0)
	v_cmp_gt_i64_e32 vcc, s[0:1], v[2:3]
	s_and_saveexec_b64 s[0:1], vcc
	s_cbranch_execz .LBB94_18
; %bb.10:
	s_load_dword s10, s[4:5], 0x28
	s_load_dwordx4 s[0:3], s[4:5], 0x18
	s_mov_b32 s11, 0
	v_lshlrev_b64 v[2:3], 3, v[2:3]
	v_and_b32_e32 v10, 31, v0
	s_waitcnt lgkmcnt(0)
	s_lshl_b64 s[6:7], s[10:11], 3
	s_add_u32 s2, s2, s6
	s_addc_u32 s3, s3, s7
	s_load_dwordx2 s[2:3], s[2:3], 0x0
	s_mov_b32 s15, s11
	s_load_dwordx2 s[6:7], s[4:5], 0x60
	s_waitcnt lgkmcnt(0)
	s_lshl_b64 s[2:3], s[2:3], 3
	s_add_u32 s0, s0, s2
	s_addc_u32 s1, s1, s3
	v_mov_b32_e32 v1, s1
	v_add_co_u32_e32 v2, vcc, s0, v2
	v_addc_co_u32_e32 v3, vcc, v1, v3, vcc
	global_load_dwordx2 v[2:3], v[2:3], off
	s_load_dwordx2 s[0:1], s[4:5], 0x38
	s_waitcnt lgkmcnt(0)
	v_mov_b32_e32 v1, s1
	s_waitcnt vmcnt(0)
	v_lshlrev_b64 v[4:5], 3, v[2:3]
	v_add_co_u32_e32 v4, vcc, s0, v4
	v_addc_co_u32_e32 v5, vcc, v1, v5, vcc
	global_load_dwordx4 v[4:7], v[4:5], off
	v_subrev_co_u32_e32 v8, vcc, s8, v10
	v_subb_co_u32_e64 v9, s[0:1], 0, 0, vcc
	s_waitcnt vmcnt(0)
	v_subrev_co_u32_e32 v0, vcc, s8, v6
	v_subbrev_co_u32_e32 v1, vcc, 0, v7, vcc
	v_add_co_u32_e32 v4, vcc, v4, v8
	v_addc_co_u32_e32 v5, vcc, v5, v9, vcc
	v_cmp_lt_i64_e32 vcc, v[4:5], v[0:1]
	v_mov_b32_e32 v6, 0
	s_and_saveexec_b64 s[10:11], vcc
	s_cbranch_execz .LBB94_14
; %bb.11:
	s_load_dwordx4 s[0:3], s[4:5], 0x40
	s_load_dwordx2 s[12:13], s[4:5], 0x50
	v_lshlrev_b64 v[6:7], 3, v[4:5]
	v_mov_b32_e32 v12, s15
	s_waitcnt lgkmcnt(0)
	v_mov_b32_e32 v9, s1
	v_add_co_u32_e32 v8, vcc, s0, v6
	v_addc_co_u32_e32 v9, vcc, v9, v7, vcc
	s_mov_b64 s[0:1], 0
	v_mov_b32_e32 v6, 0
	v_mov_b32_e32 v11, s3
	;; [unrolled: 1-line block ×3, first 2 shown]
.LBB94_12:                              ; =>This Inner Loop Header: Depth=1
	global_load_dwordx2 v[14:15], v[8:9], off
	v_add_co_u32_e32 v16, vcc, s2, v4
	v_addc_co_u32_e32 v17, vcc, v11, v5, vcc
	global_load_sbyte v7, v[16:17], off
	s_waitcnt vmcnt(1)
	v_subrev_co_u32_e32 v14, vcc, s8, v14
	v_subb_co_u32_e32 v15, vcc, v15, v12, vcc
	v_add_co_u32_e32 v14, vcc, s12, v14
	v_addc_co_u32_e32 v15, vcc, v13, v15, vcc
	global_load_sbyte v14, v[14:15], off
	v_add_co_u32_e32 v4, vcc, 32, v4
	v_addc_co_u32_e32 v5, vcc, 0, v5, vcc
	v_add_co_u32_e32 v8, vcc, 0x100, v8
	v_addc_co_u32_e32 v9, vcc, 0, v9, vcc
	v_cmp_ge_i64_e32 vcc, v[4:5], v[0:1]
	s_waitcnt vmcnt(1)
	v_mul_lo_u32 v7, s14, v7
	s_or_b64 s[0:1], vcc, s[0:1]
	s_waitcnt vmcnt(0)
	v_mad_u64_u32 v[6:7], s[4:5], v7, v14, v[6:7]
	s_andn2_b64 exec, exec, s[0:1]
	s_cbranch_execnz .LBB94_12
; %bb.13:
	s_or_b64 exec, exec, s[0:1]
.LBB94_14:
	s_or_b64 exec, exec, s[10:11]
	v_mov_b32_dpp v0, v6 row_shr:1 row_mask:0xf bank_mask:0xf
	v_add_u32_e32 v0, v0, v6
	v_cmp_eq_u32_e32 vcc, 31, v10
	s_nop 0
	v_mov_b32_dpp v1, v0 row_shr:2 row_mask:0xf bank_mask:0xf
	v_add_u32_e32 v0, v0, v1
	s_nop 1
	v_mov_b32_dpp v1, v0 row_shr:4 row_mask:0xf bank_mask:0xe
	v_add_u32_e32 v0, v0, v1
	;; [unrolled: 3-line block ×3, first 2 shown]
	s_nop 1
	v_mov_b32_dpp v1, v0 row_bcast:15 row_mask:0xa bank_mask:0xf
	s_and_b64 exec, exec, vcc
	s_cbranch_execz .LBB94_18
; %bb.15:
	v_add_u32_e32 v0, v0, v1
	s_cmp_eq_u32 s9, 0
	v_lshlrev_b64 v[2:3], 2, v[2:3]
	s_cbranch_scc1 .LBB94_17
; %bb.16:
	v_mov_b32_e32 v1, s7
	v_add_co_u32_e32 v4, vcc, s6, v2
	v_addc_co_u32_e32 v5, vcc, v1, v3, vcc
	global_load_dword v1, v[4:5], off
	s_waitcnt vmcnt(0)
	v_mad_u64_u32 v[0:1], s[0:1], v1, s9, v[0:1]
.LBB94_17:
	v_mov_b32_e32 v1, s7
	v_add_co_u32_e32 v2, vcc, s6, v2
	v_addc_co_u32_e32 v3, vcc, v1, v3, vcc
	global_store_dword v[2:3], v0, off
.LBB94_18:
	s_endpgm
	.section	.rodata,"a",@progbits
	.p2align	6, 0x0
	.amdhsa_kernel _ZN9rocsparseL41csrmvn_lrb_medium_rows_warp_reduce_kernelILj256ELj32EllaaiiEEvbT1_lPT2_S3_jNS_24const_host_device_scalarIT6_EEPKS1_PKS2_PKT3_PKT4_S6_PT5_21rocsparse_index_base_b
		.amdhsa_group_segment_fixed_size 0
		.amdhsa_private_segment_fixed_size 0
		.amdhsa_kernarg_size 112
		.amdhsa_user_sgpr_count 6
		.amdhsa_user_sgpr_private_segment_buffer 1
		.amdhsa_user_sgpr_dispatch_ptr 0
		.amdhsa_user_sgpr_queue_ptr 0
		.amdhsa_user_sgpr_kernarg_segment_ptr 1
		.amdhsa_user_sgpr_dispatch_id 0
		.amdhsa_user_sgpr_flat_scratch_init 0
		.amdhsa_user_sgpr_kernarg_preload_length 0
		.amdhsa_user_sgpr_kernarg_preload_offset 0
		.amdhsa_user_sgpr_private_segment_size 0
		.amdhsa_uses_dynamic_stack 0
		.amdhsa_system_sgpr_private_segment_wavefront_offset 0
		.amdhsa_system_sgpr_workgroup_id_x 1
		.amdhsa_system_sgpr_workgroup_id_y 0
		.amdhsa_system_sgpr_workgroup_id_z 0
		.amdhsa_system_sgpr_workgroup_info 0
		.amdhsa_system_vgpr_workitem_id 0
		.amdhsa_next_free_vgpr 18
		.amdhsa_next_free_sgpr 16
		.amdhsa_accum_offset 20
		.amdhsa_reserve_vcc 1
		.amdhsa_reserve_flat_scratch 0
		.amdhsa_float_round_mode_32 0
		.amdhsa_float_round_mode_16_64 0
		.amdhsa_float_denorm_mode_32 3
		.amdhsa_float_denorm_mode_16_64 3
		.amdhsa_dx10_clamp 1
		.amdhsa_ieee_mode 1
		.amdhsa_fp16_overflow 0
		.amdhsa_tg_split 0
		.amdhsa_exception_fp_ieee_invalid_op 0
		.amdhsa_exception_fp_denorm_src 0
		.amdhsa_exception_fp_ieee_div_zero 0
		.amdhsa_exception_fp_ieee_overflow 0
		.amdhsa_exception_fp_ieee_underflow 0
		.amdhsa_exception_fp_ieee_inexact 0
		.amdhsa_exception_int_div_zero 0
	.end_amdhsa_kernel
	.section	.text._ZN9rocsparseL41csrmvn_lrb_medium_rows_warp_reduce_kernelILj256ELj32EllaaiiEEvbT1_lPT2_S3_jNS_24const_host_device_scalarIT6_EEPKS1_PKS2_PKT3_PKT4_S6_PT5_21rocsparse_index_base_b,"axG",@progbits,_ZN9rocsparseL41csrmvn_lrb_medium_rows_warp_reduce_kernelILj256ELj32EllaaiiEEvbT1_lPT2_S3_jNS_24const_host_device_scalarIT6_EEPKS1_PKS2_PKT3_PKT4_S6_PT5_21rocsparse_index_base_b,comdat
.Lfunc_end94:
	.size	_ZN9rocsparseL41csrmvn_lrb_medium_rows_warp_reduce_kernelILj256ELj32EllaaiiEEvbT1_lPT2_S3_jNS_24const_host_device_scalarIT6_EEPKS1_PKS2_PKT3_PKT4_S6_PT5_21rocsparse_index_base_b, .Lfunc_end94-_ZN9rocsparseL41csrmvn_lrb_medium_rows_warp_reduce_kernelILj256ELj32EllaaiiEEvbT1_lPT2_S3_jNS_24const_host_device_scalarIT6_EEPKS1_PKS2_PKT3_PKT4_S6_PT5_21rocsparse_index_base_b
                                        ; -- End function
	.section	.AMDGPU.csdata,"",@progbits
; Kernel info:
; codeLenInByte = 740
; NumSgprs: 20
; NumVgprs: 18
; NumAgprs: 0
; TotalNumVgprs: 18
; ScratchSize: 0
; MemoryBound: 0
; FloatMode: 240
; IeeeMode: 1
; LDSByteSize: 0 bytes/workgroup (compile time only)
; SGPRBlocks: 2
; VGPRBlocks: 2
; NumSGPRsForWavesPerEU: 20
; NumVGPRsForWavesPerEU: 18
; AccumOffset: 20
; Occupancy: 8
; WaveLimiterHint : 1
; COMPUTE_PGM_RSRC2:SCRATCH_EN: 0
; COMPUTE_PGM_RSRC2:USER_SGPR: 6
; COMPUTE_PGM_RSRC2:TRAP_HANDLER: 0
; COMPUTE_PGM_RSRC2:TGID_X_EN: 1
; COMPUTE_PGM_RSRC2:TGID_Y_EN: 0
; COMPUTE_PGM_RSRC2:TGID_Z_EN: 0
; COMPUTE_PGM_RSRC2:TIDIG_COMP_CNT: 0
; COMPUTE_PGM_RSRC3_GFX90A:ACCUM_OFFSET: 4
; COMPUTE_PGM_RSRC3_GFX90A:TG_SPLIT: 0
	.section	.text._ZN9rocsparseL41csrmvn_lrb_medium_rows_warp_reduce_kernelILj256ELj64EllaaiiEEvbT1_lPT2_S3_jNS_24const_host_device_scalarIT6_EEPKS1_PKS2_PKT3_PKT4_S6_PT5_21rocsparse_index_base_b,"axG",@progbits,_ZN9rocsparseL41csrmvn_lrb_medium_rows_warp_reduce_kernelILj256ELj64EllaaiiEEvbT1_lPT2_S3_jNS_24const_host_device_scalarIT6_EEPKS1_PKS2_PKT3_PKT4_S6_PT5_21rocsparse_index_base_b,comdat
	.globl	_ZN9rocsparseL41csrmvn_lrb_medium_rows_warp_reduce_kernelILj256ELj64EllaaiiEEvbT1_lPT2_S3_jNS_24const_host_device_scalarIT6_EEPKS1_PKS2_PKT3_PKT4_S6_PT5_21rocsparse_index_base_b ; -- Begin function _ZN9rocsparseL41csrmvn_lrb_medium_rows_warp_reduce_kernelILj256ELj64EllaaiiEEvbT1_lPT2_S3_jNS_24const_host_device_scalarIT6_EEPKS1_PKS2_PKT3_PKT4_S6_PT5_21rocsparse_index_base_b
	.p2align	8
	.type	_ZN9rocsparseL41csrmvn_lrb_medium_rows_warp_reduce_kernelILj256ELj64EllaaiiEEvbT1_lPT2_S3_jNS_24const_host_device_scalarIT6_EEPKS1_PKS2_PKT3_PKT4_S6_PT5_21rocsparse_index_base_b,@function
_ZN9rocsparseL41csrmvn_lrb_medium_rows_warp_reduce_kernelILj256ELj64EllaaiiEEvbT1_lPT2_S3_jNS_24const_host_device_scalarIT6_EEPKS1_PKS2_PKT3_PKT4_S6_PT5_21rocsparse_index_base_b: ; @_ZN9rocsparseL41csrmvn_lrb_medium_rows_warp_reduce_kernelILj256ELj64EllaaiiEEvbT1_lPT2_S3_jNS_24const_host_device_scalarIT6_EEPKS1_PKS2_PKT3_PKT4_S6_PT5_21rocsparse_index_base_b
; %bb.0:
	s_load_dwordx2 s[8:9], s[4:5], 0x68
	s_load_dwordx2 s[10:11], s[4:5], 0x30
	s_mov_b64 s[12:13], -1
                                        ; implicit-def: $sgpr14
	s_waitcnt lgkmcnt(0)
	s_bitcmp1_b32 s9, 0
	s_cselect_b64 s[0:1], -1, 0
	s_xor_b64 s[2:3], s[0:1], -1
	s_and_b64 vcc, exec, s[2:3]
	s_cbranch_vccnz .LBB95_4
; %bb.1:
	s_load_dwordx2 s[0:1], s[4:5], 0x58
	s_andn2_b64 vcc, exec, s[12:13]
	s_cbranch_vccz .LBB95_5
.LBB95_2:
	s_and_b64 vcc, exec, s[2:3]
	s_cbranch_vccz .LBB95_6
.LBB95_3:
	s_waitcnt lgkmcnt(0)
	s_load_dword s9, s[0:1], 0x0
	s_cbranch_execz .LBB95_7
	s_branch .LBB95_8
.LBB95_4:
	s_load_dword s14, s[10:11], 0x0
	s_load_dwordx2 s[0:1], s[4:5], 0x58
	s_cbranch_execnz .LBB95_2
.LBB95_5:
	s_waitcnt lgkmcnt(0)
	s_mov_b32 s14, s10
	s_and_b64 vcc, exec, s[2:3]
	s_cbranch_vccnz .LBB95_3
.LBB95_6:
                                        ; implicit-def: $sgpr9
.LBB95_7:
	s_waitcnt lgkmcnt(0)
	s_mov_b32 s9, s0
.LBB95_8:
	s_waitcnt lgkmcnt(0)
	s_cmp_lg_u32 s14, 0
	s_cselect_b64 s[0:1], -1, 0
	s_cmp_lg_u32 s9, 1
	s_cselect_b64 s[2:3], -1, 0
	s_or_b64 s[0:1], s[0:1], s[2:3]
	s_andn2_b64 vcc, exec, s[0:1]
	s_cbranch_vccnz .LBB95_18
; %bb.9:
	s_load_dwordx2 s[0:1], s[4:5], 0x10
	v_lshrrev_b32_e32 v1, 6, v0
	v_lshl_or_b32 v2, s6, 2, v1
	v_ashrrev_i32_e32 v3, 31, v2
	s_waitcnt lgkmcnt(0)
	v_cmp_gt_i64_e32 vcc, s[0:1], v[2:3]
	s_and_saveexec_b64 s[0:1], vcc
	s_cbranch_execz .LBB95_18
; %bb.10:
	s_load_dword s10, s[4:5], 0x28
	s_load_dwordx4 s[0:3], s[4:5], 0x18
	s_mov_b32 s11, 0
	v_lshlrev_b64 v[2:3], 3, v[2:3]
	v_and_b32_e32 v10, 63, v0
	s_waitcnt lgkmcnt(0)
	s_lshl_b64 s[6:7], s[10:11], 3
	s_add_u32 s2, s2, s6
	s_addc_u32 s3, s3, s7
	s_load_dwordx2 s[2:3], s[2:3], 0x0
	s_mov_b32 s15, s11
	s_load_dwordx2 s[6:7], s[4:5], 0x60
	s_waitcnt lgkmcnt(0)
	s_lshl_b64 s[2:3], s[2:3], 3
	s_add_u32 s0, s0, s2
	s_addc_u32 s1, s1, s3
	v_mov_b32_e32 v1, s1
	v_add_co_u32_e32 v2, vcc, s0, v2
	v_addc_co_u32_e32 v3, vcc, v1, v3, vcc
	global_load_dwordx2 v[2:3], v[2:3], off
	s_load_dwordx2 s[0:1], s[4:5], 0x38
	s_waitcnt lgkmcnt(0)
	v_mov_b32_e32 v1, s1
	s_waitcnt vmcnt(0)
	v_lshlrev_b64 v[4:5], 3, v[2:3]
	v_add_co_u32_e32 v4, vcc, s0, v4
	v_addc_co_u32_e32 v5, vcc, v1, v5, vcc
	global_load_dwordx4 v[4:7], v[4:5], off
	v_subrev_co_u32_e32 v8, vcc, s8, v10
	v_subb_co_u32_e64 v9, s[0:1], 0, 0, vcc
	s_waitcnt vmcnt(0)
	v_subrev_co_u32_e32 v0, vcc, s8, v6
	v_subbrev_co_u32_e32 v1, vcc, 0, v7, vcc
	v_add_co_u32_e32 v4, vcc, v4, v8
	v_addc_co_u32_e32 v5, vcc, v5, v9, vcc
	v_cmp_lt_i64_e32 vcc, v[4:5], v[0:1]
	v_mov_b32_e32 v6, 0
	s_and_saveexec_b64 s[10:11], vcc
	s_cbranch_execz .LBB95_14
; %bb.11:
	s_load_dwordx4 s[0:3], s[4:5], 0x40
	s_load_dwordx2 s[12:13], s[4:5], 0x50
	v_lshlrev_b64 v[6:7], 3, v[4:5]
	v_mov_b32_e32 v12, s15
	s_waitcnt lgkmcnt(0)
	v_mov_b32_e32 v9, s1
	v_add_co_u32_e32 v8, vcc, s0, v6
	v_addc_co_u32_e32 v9, vcc, v9, v7, vcc
	s_mov_b64 s[0:1], 0
	v_mov_b32_e32 v6, 0
	v_mov_b32_e32 v11, s3
	v_mov_b32_e32 v13, s13
.LBB95_12:                              ; =>This Inner Loop Header: Depth=1
	global_load_dwordx2 v[14:15], v[8:9], off
	v_add_co_u32_e32 v16, vcc, s2, v4
	v_addc_co_u32_e32 v17, vcc, v11, v5, vcc
	global_load_sbyte v7, v[16:17], off
	s_waitcnt vmcnt(1)
	v_subrev_co_u32_e32 v14, vcc, s8, v14
	v_subb_co_u32_e32 v15, vcc, v15, v12, vcc
	v_add_co_u32_e32 v14, vcc, s12, v14
	v_addc_co_u32_e32 v15, vcc, v13, v15, vcc
	global_load_sbyte v14, v[14:15], off
	v_add_co_u32_e32 v4, vcc, 64, v4
	v_addc_co_u32_e32 v5, vcc, 0, v5, vcc
	v_add_co_u32_e32 v8, vcc, 0x200, v8
	v_addc_co_u32_e32 v9, vcc, 0, v9, vcc
	v_cmp_ge_i64_e32 vcc, v[4:5], v[0:1]
	s_waitcnt vmcnt(1)
	v_mul_lo_u32 v7, s14, v7
	s_or_b64 s[0:1], vcc, s[0:1]
	s_waitcnt vmcnt(0)
	v_mad_u64_u32 v[6:7], s[4:5], v7, v14, v[6:7]
	s_andn2_b64 exec, exec, s[0:1]
	s_cbranch_execnz .LBB95_12
; %bb.13:
	s_or_b64 exec, exec, s[0:1]
.LBB95_14:
	s_or_b64 exec, exec, s[10:11]
	v_mov_b32_dpp v0, v6 row_shr:1 row_mask:0xf bank_mask:0xf
	v_add_u32_e32 v0, v0, v6
	v_cmp_eq_u32_e32 vcc, 63, v10
	s_nop 0
	v_mov_b32_dpp v1, v0 row_shr:2 row_mask:0xf bank_mask:0xf
	v_add_u32_e32 v0, v0, v1
	s_nop 1
	v_mov_b32_dpp v1, v0 row_shr:4 row_mask:0xf bank_mask:0xe
	v_add_u32_e32 v0, v0, v1
	;; [unrolled: 3-line block ×3, first 2 shown]
	s_nop 1
	v_mov_b32_dpp v1, v0 row_bcast:15 row_mask:0xa bank_mask:0xf
	v_add_u32_e32 v0, v0, v1
	s_nop 1
	v_mov_b32_dpp v1, v0 row_bcast:31 row_mask:0xc bank_mask:0xf
	s_and_b64 exec, exec, vcc
	s_cbranch_execz .LBB95_18
; %bb.15:
	v_add_u32_e32 v0, v0, v1
	s_cmp_eq_u32 s9, 0
	v_lshlrev_b64 v[2:3], 2, v[2:3]
	s_cbranch_scc1 .LBB95_17
; %bb.16:
	v_mov_b32_e32 v1, s7
	v_add_co_u32_e32 v4, vcc, s6, v2
	v_addc_co_u32_e32 v5, vcc, v1, v3, vcc
	global_load_dword v1, v[4:5], off
	s_waitcnt vmcnt(0)
	v_mad_u64_u32 v[0:1], s[0:1], v1, s9, v[0:1]
.LBB95_17:
	v_mov_b32_e32 v1, s7
	v_add_co_u32_e32 v2, vcc, s6, v2
	v_addc_co_u32_e32 v3, vcc, v1, v3, vcc
	global_store_dword v[2:3], v0, off
.LBB95_18:
	s_endpgm
	.section	.rodata,"a",@progbits
	.p2align	6, 0x0
	.amdhsa_kernel _ZN9rocsparseL41csrmvn_lrb_medium_rows_warp_reduce_kernelILj256ELj64EllaaiiEEvbT1_lPT2_S3_jNS_24const_host_device_scalarIT6_EEPKS1_PKS2_PKT3_PKT4_S6_PT5_21rocsparse_index_base_b
		.amdhsa_group_segment_fixed_size 0
		.amdhsa_private_segment_fixed_size 0
		.amdhsa_kernarg_size 112
		.amdhsa_user_sgpr_count 6
		.amdhsa_user_sgpr_private_segment_buffer 1
		.amdhsa_user_sgpr_dispatch_ptr 0
		.amdhsa_user_sgpr_queue_ptr 0
		.amdhsa_user_sgpr_kernarg_segment_ptr 1
		.amdhsa_user_sgpr_dispatch_id 0
		.amdhsa_user_sgpr_flat_scratch_init 0
		.amdhsa_user_sgpr_kernarg_preload_length 0
		.amdhsa_user_sgpr_kernarg_preload_offset 0
		.amdhsa_user_sgpr_private_segment_size 0
		.amdhsa_uses_dynamic_stack 0
		.amdhsa_system_sgpr_private_segment_wavefront_offset 0
		.amdhsa_system_sgpr_workgroup_id_x 1
		.amdhsa_system_sgpr_workgroup_id_y 0
		.amdhsa_system_sgpr_workgroup_id_z 0
		.amdhsa_system_sgpr_workgroup_info 0
		.amdhsa_system_vgpr_workitem_id 0
		.amdhsa_next_free_vgpr 18
		.amdhsa_next_free_sgpr 16
		.amdhsa_accum_offset 20
		.amdhsa_reserve_vcc 1
		.amdhsa_reserve_flat_scratch 0
		.amdhsa_float_round_mode_32 0
		.amdhsa_float_round_mode_16_64 0
		.amdhsa_float_denorm_mode_32 3
		.amdhsa_float_denorm_mode_16_64 3
		.amdhsa_dx10_clamp 1
		.amdhsa_ieee_mode 1
		.amdhsa_fp16_overflow 0
		.amdhsa_tg_split 0
		.amdhsa_exception_fp_ieee_invalid_op 0
		.amdhsa_exception_fp_denorm_src 0
		.amdhsa_exception_fp_ieee_div_zero 0
		.amdhsa_exception_fp_ieee_overflow 0
		.amdhsa_exception_fp_ieee_underflow 0
		.amdhsa_exception_fp_ieee_inexact 0
		.amdhsa_exception_int_div_zero 0
	.end_amdhsa_kernel
	.section	.text._ZN9rocsparseL41csrmvn_lrb_medium_rows_warp_reduce_kernelILj256ELj64EllaaiiEEvbT1_lPT2_S3_jNS_24const_host_device_scalarIT6_EEPKS1_PKS2_PKT3_PKT4_S6_PT5_21rocsparse_index_base_b,"axG",@progbits,_ZN9rocsparseL41csrmvn_lrb_medium_rows_warp_reduce_kernelILj256ELj64EllaaiiEEvbT1_lPT2_S3_jNS_24const_host_device_scalarIT6_EEPKS1_PKS2_PKT3_PKT4_S6_PT5_21rocsparse_index_base_b,comdat
.Lfunc_end95:
	.size	_ZN9rocsparseL41csrmvn_lrb_medium_rows_warp_reduce_kernelILj256ELj64EllaaiiEEvbT1_lPT2_S3_jNS_24const_host_device_scalarIT6_EEPKS1_PKS2_PKT3_PKT4_S6_PT5_21rocsparse_index_base_b, .Lfunc_end95-_ZN9rocsparseL41csrmvn_lrb_medium_rows_warp_reduce_kernelILj256ELj64EllaaiiEEvbT1_lPT2_S3_jNS_24const_host_device_scalarIT6_EEPKS1_PKS2_PKT3_PKT4_S6_PT5_21rocsparse_index_base_b
                                        ; -- End function
	.section	.AMDGPU.csdata,"",@progbits
; Kernel info:
; codeLenInByte = 756
; NumSgprs: 20
; NumVgprs: 18
; NumAgprs: 0
; TotalNumVgprs: 18
; ScratchSize: 0
; MemoryBound: 0
; FloatMode: 240
; IeeeMode: 1
; LDSByteSize: 0 bytes/workgroup (compile time only)
; SGPRBlocks: 2
; VGPRBlocks: 2
; NumSGPRsForWavesPerEU: 20
; NumVGPRsForWavesPerEU: 18
; AccumOffset: 20
; Occupancy: 8
; WaveLimiterHint : 1
; COMPUTE_PGM_RSRC2:SCRATCH_EN: 0
; COMPUTE_PGM_RSRC2:USER_SGPR: 6
; COMPUTE_PGM_RSRC2:TRAP_HANDLER: 0
; COMPUTE_PGM_RSRC2:TGID_X_EN: 1
; COMPUTE_PGM_RSRC2:TGID_Y_EN: 0
; COMPUTE_PGM_RSRC2:TGID_Z_EN: 0
; COMPUTE_PGM_RSRC2:TIDIG_COMP_CNT: 0
; COMPUTE_PGM_RSRC3_GFX90A:ACCUM_OFFSET: 4
; COMPUTE_PGM_RSRC3_GFX90A:TG_SPLIT: 0
	.section	.text._ZN9rocsparseL29csrmvn_lrb_medium_rows_kernelILj256EllaaiiEEvbT0_PT1_S3_jNS_24const_host_device_scalarIT5_EEPKS1_PKS2_PKT2_PKT3_S6_PT4_21rocsparse_index_base_b,"axG",@progbits,_ZN9rocsparseL29csrmvn_lrb_medium_rows_kernelILj256EllaaiiEEvbT0_PT1_S3_jNS_24const_host_device_scalarIT5_EEPKS1_PKS2_PKT2_PKT3_S6_PT4_21rocsparse_index_base_b,comdat
	.globl	_ZN9rocsparseL29csrmvn_lrb_medium_rows_kernelILj256EllaaiiEEvbT0_PT1_S3_jNS_24const_host_device_scalarIT5_EEPKS1_PKS2_PKT2_PKT3_S6_PT4_21rocsparse_index_base_b ; -- Begin function _ZN9rocsparseL29csrmvn_lrb_medium_rows_kernelILj256EllaaiiEEvbT0_PT1_S3_jNS_24const_host_device_scalarIT5_EEPKS1_PKS2_PKT2_PKT3_S6_PT4_21rocsparse_index_base_b
	.p2align	8
	.type	_ZN9rocsparseL29csrmvn_lrb_medium_rows_kernelILj256EllaaiiEEvbT0_PT1_S3_jNS_24const_host_device_scalarIT5_EEPKS1_PKS2_PKT2_PKT3_S6_PT4_21rocsparse_index_base_b,@function
_ZN9rocsparseL29csrmvn_lrb_medium_rows_kernelILj256EllaaiiEEvbT0_PT1_S3_jNS_24const_host_device_scalarIT5_EEPKS1_PKS2_PKT2_PKT3_S6_PT4_21rocsparse_index_base_b: ; @_ZN9rocsparseL29csrmvn_lrb_medium_rows_kernelILj256EllaaiiEEvbT0_PT1_S3_jNS_24const_host_device_scalarIT5_EEPKS1_PKS2_PKT2_PKT3_S6_PT4_21rocsparse_index_base_b
; %bb.0:
	s_load_dwordx2 s[10:11], s[4:5], 0x60
	s_load_dwordx2 s[8:9], s[4:5], 0x28
	s_mov_b64 s[12:13], -1
                                        ; implicit-def: $sgpr18
	s_waitcnt lgkmcnt(0)
	s_bitcmp1_b32 s11, 0
	s_cselect_b64 s[0:1], -1, 0
	s_xor_b64 s[2:3], s[0:1], -1
	s_and_b64 vcc, exec, s[2:3]
	s_cbranch_vccnz .LBB96_4
; %bb.1:
	s_load_dwordx2 s[0:1], s[4:5], 0x50
	s_andn2_b64 vcc, exec, s[12:13]
	s_cbranch_vccz .LBB96_5
.LBB96_2:
	s_and_b64 vcc, exec, s[2:3]
	s_cbranch_vccz .LBB96_6
.LBB96_3:
	s_waitcnt lgkmcnt(0)
	s_load_dword s11, s[0:1], 0x0
	s_cbranch_execz .LBB96_7
	s_branch .LBB96_8
.LBB96_4:
	s_load_dword s18, s[8:9], 0x0
	s_load_dwordx2 s[0:1], s[4:5], 0x50
	s_cbranch_execnz .LBB96_2
.LBB96_5:
	s_waitcnt lgkmcnt(0)
	s_mov_b32 s18, s8
	s_and_b64 vcc, exec, s[2:3]
	s_cbranch_vccnz .LBB96_3
.LBB96_6:
                                        ; implicit-def: $sgpr11
.LBB96_7:
	s_waitcnt lgkmcnt(0)
	s_mov_b32 s11, s0
.LBB96_8:
	s_waitcnt lgkmcnt(0)
	s_cmp_lg_u32 s18, 0
	s_cselect_b64 s[0:1], -1, 0
	s_cmp_lg_u32 s11, 1
	s_cselect_b64 s[2:3], -1, 0
	s_or_b64 s[0:1], s[0:1], s[2:3]
	s_andn2_b64 vcc, exec, s[0:1]
	s_mov_b32 s19, 0
	s_cbranch_vccnz .LBB96_33
; %bb.9:
	s_load_dword s8, s[4:5], 0x20
	s_load_dwordx4 s[0:3], s[4:5], 0x10
	s_mov_b32 s9, s19
	v_subrev_co_u32_e32 v1, vcc, s10, v0
	s_waitcnt lgkmcnt(0)
	s_lshl_b64 s[8:9], s[8:9], 3
	s_add_u32 s2, s2, s8
	s_addc_u32 s3, s3, s9
	s_load_dwordx2 s[2:3], s[2:3], 0x0
	s_ashr_i32 s7, s6, 31
	v_subb_co_u32_e64 v3, s[12:13], 0, 0, vcc
	s_waitcnt lgkmcnt(0)
	s_lshl_b64 s[2:3], s[2:3], 3
	s_add_u32 s2, s0, s2
	s_addc_u32 s3, s1, s3
	s_lshl_b64 s[0:1], s[6:7], 3
	s_add_u32 s0, s2, s0
	s_addc_u32 s1, s3, s1
	s_load_dwordx2 s[8:9], s[0:1], 0x0
	s_load_dwordx2 s[2:3], s[4:5], 0x30
	;; [unrolled: 1-line block ×3, first 2 shown]
	s_waitcnt lgkmcnt(0)
	s_lshl_b64 s[0:1], s[8:9], 3
	s_add_u32 s0, s2, s0
	s_addc_u32 s1, s3, s1
	s_load_dwordx4 s[0:3], s[0:1], 0x0
	s_waitcnt lgkmcnt(0)
	s_sub_u32 s12, s2, s10
	v_mov_b32_e32 v4, s1
	v_add_co_u32_e32 v2, vcc, s0, v1
	s_subb_u32 s13, s3, 0
	v_addc_co_u32_e32 v3, vcc, v4, v3, vcc
	v_cmp_gt_i64_e32 vcc, s[12:13], v[2:3]
	v_mov_b32_e32 v4, 0
	s_and_saveexec_b64 s[14:15], vcc
	s_cbranch_execz .LBB96_13
; %bb.10:
	s_load_dwordx4 s[0:3], s[4:5], 0x38
	s_load_dwordx2 s[16:17], s[4:5], 0x48
	v_lshlrev_b64 v[4:5], 3, v[2:3]
	v_mov_b32_e32 v8, s19
	s_waitcnt lgkmcnt(0)
	v_mov_b32_e32 v1, s1
	v_add_co_u32_e32 v6, vcc, s0, v4
	v_addc_co_u32_e32 v7, vcc, v1, v5, vcc
	s_mov_b64 s[0:1], 0
	v_mov_b32_e32 v4, 0
	v_mov_b32_e32 v1, s3
	;; [unrolled: 1-line block ×3, first 2 shown]
.LBB96_11:                              ; =>This Inner Loop Header: Depth=1
	global_load_dwordx2 v[10:11], v[6:7], off
	v_add_co_u32_e32 v12, vcc, s2, v2
	v_addc_co_u32_e32 v13, vcc, v1, v3, vcc
	global_load_sbyte v5, v[12:13], off
	s_waitcnt vmcnt(1)
	v_subrev_co_u32_e32 v10, vcc, s10, v10
	v_subb_co_u32_e32 v11, vcc, v11, v8, vcc
	v_add_co_u32_e32 v10, vcc, s16, v10
	v_addc_co_u32_e32 v11, vcc, v9, v11, vcc
	global_load_sbyte v10, v[10:11], off
	v_add_co_u32_e32 v2, vcc, 0x100, v2
	v_addc_co_u32_e32 v3, vcc, 0, v3, vcc
	v_add_co_u32_e32 v6, vcc, 0x800, v6
	v_addc_co_u32_e32 v7, vcc, 0, v7, vcc
	v_cmp_le_i64_e32 vcc, s[12:13], v[2:3]
	s_waitcnt vmcnt(1)
	v_mul_lo_u32 v5, s18, v5
	s_or_b64 s[0:1], vcc, s[0:1]
	s_waitcnt vmcnt(0)
	v_mad_u64_u32 v[4:5], s[4:5], v5, v10, v[4:5]
	s_andn2_b64 exec, exec, s[0:1]
	s_cbranch_execnz .LBB96_11
; %bb.12:
	s_or_b64 exec, exec, s[0:1]
.LBB96_13:
	s_or_b64 exec, exec, s[14:15]
	s_movk_i32 s0, 0x80
	v_lshlrev_b32_e32 v1, 2, v0
	v_cmp_gt_u32_e32 vcc, s0, v0
	ds_write_b32 v1, v4
	s_waitcnt lgkmcnt(0)
	s_barrier
	s_and_saveexec_b64 s[0:1], vcc
	s_cbranch_execz .LBB96_15
; %bb.14:
	ds_read2st64_b32 v[2:3], v1 offset1:2
	s_waitcnt lgkmcnt(0)
	v_add_u32_e32 v2, v3, v2
	ds_write_b32 v1, v2
.LBB96_15:
	s_or_b64 exec, exec, s[0:1]
	v_cmp_gt_u32_e32 vcc, 64, v0
	s_waitcnt lgkmcnt(0)
	s_barrier
	s_and_saveexec_b64 s[0:1], vcc
	s_cbranch_execz .LBB96_17
; %bb.16:
	ds_read2st64_b32 v[2:3], v1 offset1:1
	s_waitcnt lgkmcnt(0)
	v_add_u32_e32 v2, v3, v2
	ds_write_b32 v1, v2
.LBB96_17:
	s_or_b64 exec, exec, s[0:1]
	v_cmp_gt_u32_e32 vcc, 32, v0
	s_waitcnt lgkmcnt(0)
	s_barrier
	s_and_saveexec_b64 s[0:1], vcc
	s_cbranch_execz .LBB96_19
; %bb.18:
	ds_read2_b32 v[2:3], v1 offset1:32
	s_waitcnt lgkmcnt(0)
	v_add_u32_e32 v2, v3, v2
	ds_write_b32 v1, v2
.LBB96_19:
	s_or_b64 exec, exec, s[0:1]
	v_cmp_gt_u32_e32 vcc, 16, v0
	s_waitcnt lgkmcnt(0)
	s_barrier
	s_and_saveexec_b64 s[0:1], vcc
	s_cbranch_execz .LBB96_21
; %bb.20:
	ds_read2_b32 v[2:3], v1 offset1:16
	s_waitcnt lgkmcnt(0)
	v_add_u32_e32 v2, v3, v2
	ds_write_b32 v1, v2
.LBB96_21:
	;; [unrolled: 12-line block ×5, first 2 shown]
	s_or_b64 exec, exec, s[0:1]
	v_cmp_eq_u32_e32 vcc, 0, v0
	s_waitcnt lgkmcnt(0)
	s_barrier
	s_and_saveexec_b64 s[0:1], vcc
	s_cbranch_execz .LBB96_29
; %bb.28:
	v_mov_b32_e32 v2, 0
	ds_read_b64 v[0:1], v2
	s_waitcnt lgkmcnt(0)
	v_add_u32_e32 v0, v1, v0
	ds_write_b32 v2, v0
.LBB96_29:
	s_or_b64 exec, exec, s[0:1]
	s_waitcnt lgkmcnt(0)
	s_barrier
	s_and_saveexec_b64 s[0:1], vcc
	s_cbranch_execz .LBB96_33
; %bb.30:
	v_mov_b32_e32 v0, 0
	ds_read_b32 v1, v0
	s_cmp_eq_u32 s11, 0
	s_cbranch_scc1 .LBB96_32
; %bb.31:
	s_lshl_b64 s[0:1], s[8:9], 2
	s_add_u32 s0, s6, s0
	s_addc_u32 s1, s7, s1
	s_load_dword s0, s[0:1], 0x0
	s_waitcnt lgkmcnt(0)
	s_mul_i32 s0, s0, s11
	v_add_u32_e32 v1, s0, v1
.LBB96_32:
	s_lshl_b64 s[0:1], s[8:9], 2
	s_add_u32 s0, s6, s0
	s_addc_u32 s1, s7, s1
	s_waitcnt lgkmcnt(0)
	global_store_dword v0, v1, s[0:1]
.LBB96_33:
	s_endpgm
	.section	.rodata,"a",@progbits
	.p2align	6, 0x0
	.amdhsa_kernel _ZN9rocsparseL29csrmvn_lrb_medium_rows_kernelILj256EllaaiiEEvbT0_PT1_S3_jNS_24const_host_device_scalarIT5_EEPKS1_PKS2_PKT2_PKT3_S6_PT4_21rocsparse_index_base_b
		.amdhsa_group_segment_fixed_size 1024
		.amdhsa_private_segment_fixed_size 0
		.amdhsa_kernarg_size 104
		.amdhsa_user_sgpr_count 6
		.amdhsa_user_sgpr_private_segment_buffer 1
		.amdhsa_user_sgpr_dispatch_ptr 0
		.amdhsa_user_sgpr_queue_ptr 0
		.amdhsa_user_sgpr_kernarg_segment_ptr 1
		.amdhsa_user_sgpr_dispatch_id 0
		.amdhsa_user_sgpr_flat_scratch_init 0
		.amdhsa_user_sgpr_kernarg_preload_length 0
		.amdhsa_user_sgpr_kernarg_preload_offset 0
		.amdhsa_user_sgpr_private_segment_size 0
		.amdhsa_uses_dynamic_stack 0
		.amdhsa_system_sgpr_private_segment_wavefront_offset 0
		.amdhsa_system_sgpr_workgroup_id_x 1
		.amdhsa_system_sgpr_workgroup_id_y 0
		.amdhsa_system_sgpr_workgroup_id_z 0
		.amdhsa_system_sgpr_workgroup_info 0
		.amdhsa_system_vgpr_workitem_id 0
		.amdhsa_next_free_vgpr 14
		.amdhsa_next_free_sgpr 20
		.amdhsa_accum_offset 16
		.amdhsa_reserve_vcc 1
		.amdhsa_reserve_flat_scratch 0
		.amdhsa_float_round_mode_32 0
		.amdhsa_float_round_mode_16_64 0
		.amdhsa_float_denorm_mode_32 3
		.amdhsa_float_denorm_mode_16_64 3
		.amdhsa_dx10_clamp 1
		.amdhsa_ieee_mode 1
		.amdhsa_fp16_overflow 0
		.amdhsa_tg_split 0
		.amdhsa_exception_fp_ieee_invalid_op 0
		.amdhsa_exception_fp_denorm_src 0
		.amdhsa_exception_fp_ieee_div_zero 0
		.amdhsa_exception_fp_ieee_overflow 0
		.amdhsa_exception_fp_ieee_underflow 0
		.amdhsa_exception_fp_ieee_inexact 0
		.amdhsa_exception_int_div_zero 0
	.end_amdhsa_kernel
	.section	.text._ZN9rocsparseL29csrmvn_lrb_medium_rows_kernelILj256EllaaiiEEvbT0_PT1_S3_jNS_24const_host_device_scalarIT5_EEPKS1_PKS2_PKT2_PKT3_S6_PT4_21rocsparse_index_base_b,"axG",@progbits,_ZN9rocsparseL29csrmvn_lrb_medium_rows_kernelILj256EllaaiiEEvbT0_PT1_S3_jNS_24const_host_device_scalarIT5_EEPKS1_PKS2_PKT2_PKT3_S6_PT4_21rocsparse_index_base_b,comdat
.Lfunc_end96:
	.size	_ZN9rocsparseL29csrmvn_lrb_medium_rows_kernelILj256EllaaiiEEvbT0_PT1_S3_jNS_24const_host_device_scalarIT5_EEPKS1_PKS2_PKT2_PKT3_S6_PT4_21rocsparse_index_base_b, .Lfunc_end96-_ZN9rocsparseL29csrmvn_lrb_medium_rows_kernelILj256EllaaiiEEvbT0_PT1_S3_jNS_24const_host_device_scalarIT5_EEPKS1_PKS2_PKT2_PKT3_S6_PT4_21rocsparse_index_base_b
                                        ; -- End function
	.section	.AMDGPU.csdata,"",@progbits
; Kernel info:
; codeLenInByte = 1028
; NumSgprs: 24
; NumVgprs: 14
; NumAgprs: 0
; TotalNumVgprs: 14
; ScratchSize: 0
; MemoryBound: 0
; FloatMode: 240
; IeeeMode: 1
; LDSByteSize: 1024 bytes/workgroup (compile time only)
; SGPRBlocks: 2
; VGPRBlocks: 1
; NumSGPRsForWavesPerEU: 24
; NumVGPRsForWavesPerEU: 14
; AccumOffset: 16
; Occupancy: 8
; WaveLimiterHint : 1
; COMPUTE_PGM_RSRC2:SCRATCH_EN: 0
; COMPUTE_PGM_RSRC2:USER_SGPR: 6
; COMPUTE_PGM_RSRC2:TRAP_HANDLER: 0
; COMPUTE_PGM_RSRC2:TGID_X_EN: 1
; COMPUTE_PGM_RSRC2:TGID_Y_EN: 0
; COMPUTE_PGM_RSRC2:TGID_Z_EN: 0
; COMPUTE_PGM_RSRC2:TIDIG_COMP_CNT: 0
; COMPUTE_PGM_RSRC3_GFX90A:ACCUM_OFFSET: 3
; COMPUTE_PGM_RSRC3_GFX90A:TG_SPLIT: 0
	.section	.text._ZN9rocsparseL27csrmvn_lrb_long_rows_kernelIllaaiiEEvbT_PjPT0_S4_jNS_24const_host_device_scalarIT4_EEPKS1_PKS3_PKT1_PKT2_S7_PT3_21rocsparse_index_base_b,"axG",@progbits,_ZN9rocsparseL27csrmvn_lrb_long_rows_kernelIllaaiiEEvbT_PjPT0_S4_jNS_24const_host_device_scalarIT4_EEPKS1_PKS3_PKT1_PKT2_S7_PT3_21rocsparse_index_base_b,comdat
	.globl	_ZN9rocsparseL27csrmvn_lrb_long_rows_kernelIllaaiiEEvbT_PjPT0_S4_jNS_24const_host_device_scalarIT4_EEPKS1_PKS3_PKT1_PKT2_S7_PT3_21rocsparse_index_base_b ; -- Begin function _ZN9rocsparseL27csrmvn_lrb_long_rows_kernelIllaaiiEEvbT_PjPT0_S4_jNS_24const_host_device_scalarIT4_EEPKS1_PKS3_PKT1_PKT2_S7_PT3_21rocsparse_index_base_b
	.p2align	8
	.type	_ZN9rocsparseL27csrmvn_lrb_long_rows_kernelIllaaiiEEvbT_PjPT0_S4_jNS_24const_host_device_scalarIT4_EEPKS1_PKS3_PKT1_PKT2_S7_PT3_21rocsparse_index_base_b,@function
_ZN9rocsparseL27csrmvn_lrb_long_rows_kernelIllaaiiEEvbT_PjPT0_S4_jNS_24const_host_device_scalarIT4_EEPKS1_PKS3_PKT1_PKT2_S7_PT3_21rocsparse_index_base_b: ; @_ZN9rocsparseL27csrmvn_lrb_long_rows_kernelIllaaiiEEvbT_PjPT0_S4_jNS_24const_host_device_scalarIT4_EEPKS1_PKS3_PKT1_PKT2_S7_PT3_21rocsparse_index_base_b
; %bb.0:
	s_load_dwordx2 s[14:15], s[4:5], 0x68
	s_load_dwordx2 s[8:9], s[4:5], 0x30
	s_mov_b64 s[10:11], -1
                                        ; implicit-def: $sgpr25
	s_waitcnt lgkmcnt(0)
	s_bitcmp1_b32 s15, 0
	s_cselect_b64 s[0:1], -1, 0
	s_xor_b64 s[2:3], s[0:1], -1
	s_and_b64 vcc, exec, s[2:3]
	s_cbranch_vccnz .LBB97_4
; %bb.1:
	s_load_dwordx2 s[0:1], s[4:5], 0x58
	s_andn2_b64 vcc, exec, s[10:11]
	s_cbranch_vccz .LBB97_5
.LBB97_2:
	s_and_b64 vcc, exec, s[2:3]
	s_cbranch_vccz .LBB97_6
.LBB97_3:
	s_waitcnt lgkmcnt(0)
	s_load_dword s22, s[0:1], 0x0
	s_cbranch_execz .LBB97_7
	s_branch .LBB97_8
.LBB97_4:
	s_load_dword s25, s[8:9], 0x0
	s_load_dwordx2 s[0:1], s[4:5], 0x58
	s_cbranch_execnz .LBB97_2
.LBB97_5:
	s_waitcnt lgkmcnt(0)
	s_mov_b32 s25, s8
	s_and_b64 vcc, exec, s[2:3]
	s_cbranch_vccnz .LBB97_3
.LBB97_6:
                                        ; implicit-def: $sgpr22
.LBB97_7:
	s_waitcnt lgkmcnt(0)
	s_mov_b32 s22, s0
.LBB97_8:
	s_waitcnt lgkmcnt(0)
	s_cmp_lg_u32 s25, 0
	s_cselect_b64 s[0:1], -1, 0
	s_cmp_lg_u32 s22, 1
	s_cselect_b64 s[2:3], -1, 0
	s_or_b64 s[0:1], s[0:1], s[2:3]
	s_andn2_b64 vcc, exec, s[0:1]
	s_mov_b32 s9, 0
	s_cbranch_vccnz .LBB97_42
; %bb.9:
	s_load_dword s8, s[4:5], 0x28
	s_load_dwordx2 s[0:1], s[4:5], 0x20
	v_mov_b32_e32 v2, 0
	s_waitcnt lgkmcnt(0)
	s_lshl_b64 s[2:3], s[8:9], 3
	s_add_u32 s10, s0, s2
	s_addc_u32 s11, s1, s3
	s_lshl_b32 s0, -1, s8
	s_not_b32 s0, s0
	s_mul_hi_u32 s0, s0, 0x2aaaaaab
	s_lshr_b32 s7, s0, 7
	s_add_i32 s15, s7, 1
	v_cvt_f32_u32_e32 v1, s15
	s_not_b32 s7, s7
	s_load_dwordx4 s[0:3], s[4:5], 0x10
	s_load_dwordx2 s[12:13], s[10:11], 0x0
	v_rcp_iflag_f32_e32 v1, v1
	v_mul_f32_e32 v1, 0x4f7ffffe, v1
	v_cvt_u32_f32_e32 v1, v1
	v_readfirstlane_b32 s8, v1
	s_mul_i32 s7, s7, s8
	s_mul_hi_u32 s7, s8, s7
	s_add_i32 s8, s8, s7
	s_mul_hi_u32 s7, s6, s8
	s_mul_i32 s8, s7, s15
	s_sub_i32 s8, s6, s8
	s_add_i32 s10, s7, 1
	s_sub_i32 s11, s8, s15
	s_cmp_ge_u32 s8, s15
	s_cselect_b32 s7, s10, s7
	s_cselect_b32 s8, s11, s8
	s_add_i32 s10, s7, 1
	s_cmp_ge_u32 s8, s15
	s_cselect_b32 s8, s10, s7
	s_mul_i32 s7, s8, s15
	s_waitcnt lgkmcnt(0)
	s_lshl_b64 s[10:11], s[12:13], 3
	s_sub_i32 s15, s6, s7
	s_add_u32 s7, s2, s10
	s_addc_u32 s10, s3, s11
	s_lshl_b64 s[2:3], s[8:9], 3
	s_add_u32 s8, s7, s2
	s_addc_u32 s9, s10, s3
	s_load_dwordx2 s[12:13], s[8:9], 0x0
	s_load_dwordx2 s[10:11], s[4:5], 0x38
	;; [unrolled: 1-line block ×3, first 2 shown]
	v_or_b32_e32 v1, s15, v0
	v_cmp_eq_u32_e32 vcc, 0, v1
	s_waitcnt lgkmcnt(0)
	s_lshl_b64 s[8:9], s[12:13], 3
	s_add_u32 s8, s10, s8
	s_addc_u32 s9, s11, s9
	s_ashr_i32 s7, s6, 31
	s_sub_u32 s16, s6, s15
	s_subb_u32 s17, s7, 0
	s_lshl_b64 s[6:7], s[6:7], 2
	s_add_u32 s6, s0, s6
	s_addc_u32 s7, s1, s7
	s_load_dwordx4 s[8:11], s[8:9], 0x0
	s_nop 0
	s_load_dword s24, s[6:7], 0x0
	s_and_saveexec_b64 s[18:19], vcc
	s_cbranch_execz .LBB97_13
; %bb.10:
	s_lshl_b64 s[26:27], s[12:13], 2
	s_add_u32 s26, s2, s26
	s_addc_u32 s27, s3, s27
	s_load_dword s26, s[26:27], 0x0
	s_mov_b64 s[20:21], exec
	v_mbcnt_lo_u32_b32 v1, s20, 0
	s_add_i32 s22, s22, -1
	v_mbcnt_hi_u32_b32 v1, s21, v1
	s_waitcnt lgkmcnt(0)
	s_mul_i32 s26, s26, s22
	v_cmp_eq_u32_e32 vcc, 0, v1
	s_waitcnt vmcnt(0) expcnt(0) lgkmcnt(0)
	s_and_saveexec_b64 s[22:23], vcc
	s_cbranch_execz .LBB97_12
; %bb.11:
	s_lshl_b64 s[28:29], s[16:17], 2
	s_add_u32 s28, s0, s28
	s_addc_u32 s29, s1, s29
	s_bcnt1_i32_b64 s20, s[20:21]
	s_and_b32 s20, s20, 1
	v_mov_b32_e32 v1, 0
	v_mov_b32_e32 v2, s20
	global_atomic_xor v1, v2, s[28:29]
.LBB97_12:
	s_or_b64 exec, exec, s[22:23]
	v_mov_b32_e32 v2, s26
.LBB97_13:
	s_or_b64 exec, exec, s[18:19]
	s_waitcnt lgkmcnt(0)
	s_sub_u32 s8, s8, s14
	s_mul_i32 s19, s15, 0x300
	s_subb_u32 s9, s9, 0
	s_mul_hi_u32 s18, s15, 0x300
	s_add_u32 s20, s8, s19
	s_addc_u32 s21, s9, s18
	s_sub_u32 s8, s10, s14
	s_subb_u32 s9, s11, 0
	s_add_u32 s10, s20, 0x300
	s_addc_u32 s11, s21, 0
	v_pk_mov_b32 v[4:5], s[8:9], s[8:9] op_sel:[0,1]
	v_cmp_lt_i64_e32 vcc, s[10:11], v[4:5]
	s_and_b64 s[18:19], vcc, exec
	v_mov_b32_e32 v1, s21
	v_add_co_u32_e32 v4, vcc, s20, v0
	s_cselect_b32 s19, s11, s9
	s_cselect_b32 s18, s10, s8
	v_addc_co_u32_e32 v5, vcc, 0, v1, vcc
	s_mov_b32 s26, 0
	v_cmp_gt_i64_e32 vcc, s[18:19], v[4:5]
	s_and_saveexec_b64 s[20:21], vcc
	s_cbranch_execz .LBB97_17
; %bb.14:
	s_load_dwordx4 s[8:11], s[4:5], 0x40
	s_load_dwordx2 s[22:23], s[4:5], 0x50
	v_lshlrev_b64 v[6:7], 3, v[4:5]
	s_mov_b64 s[4:5], 0
	v_mov_b32_e32 v8, s26
	s_waitcnt lgkmcnt(0)
	v_mov_b32_e32 v1, s9
	v_add_co_u32_e32 v6, vcc, s8, v6
	v_addc_co_u32_e32 v7, vcc, v1, v7, vcc
	v_mov_b32_e32 v1, s11
	v_mov_b32_e32 v9, s23
.LBB97_15:                              ; =>This Inner Loop Header: Depth=1
	global_load_dwordx2 v[10:11], v[6:7], off
	v_add_co_u32_e32 v12, vcc, s10, v4
	v_addc_co_u32_e32 v13, vcc, v1, v5, vcc
	global_load_sbyte v3, v[12:13], off
	s_waitcnt vmcnt(1)
	v_subrev_co_u32_e32 v10, vcc, s14, v10
	v_subb_co_u32_e32 v11, vcc, v11, v8, vcc
	v_add_co_u32_e32 v10, vcc, s22, v10
	v_addc_co_u32_e32 v11, vcc, v9, v11, vcc
	global_load_sbyte v10, v[10:11], off
	v_add_co_u32_e32 v4, vcc, 0x100, v4
	v_addc_co_u32_e32 v5, vcc, 0, v5, vcc
	v_add_co_u32_e32 v6, vcc, 0x800, v6
	v_addc_co_u32_e32 v7, vcc, 0, v7, vcc
	v_cmp_le_i64_e32 vcc, s[18:19], v[4:5]
	s_waitcnt vmcnt(1)
	v_mul_lo_u32 v3, s25, v3
	s_or_b64 s[4:5], vcc, s[4:5]
	s_waitcnt vmcnt(0)
	v_mad_u64_u32 v[2:3], s[8:9], v3, v10, v[2:3]
	s_andn2_b64 exec, exec, s[4:5]
	s_cbranch_execnz .LBB97_15
; %bb.16:
	s_or_b64 exec, exec, s[4:5]
.LBB97_17:
	s_or_b64 exec, exec, s[20:21]
	s_movk_i32 s4, 0x80
	v_lshlrev_b32_e32 v1, 2, v0
	v_cmp_gt_u32_e32 vcc, s4, v0
	ds_write_b32 v1, v2
	s_waitcnt lgkmcnt(0)
	s_barrier
	s_and_saveexec_b64 s[4:5], vcc
	s_cbranch_execz .LBB97_19
; %bb.18:
	ds_read2st64_b32 v[2:3], v1 offset1:2
	s_waitcnt lgkmcnt(0)
	v_add_u32_e32 v2, v3, v2
	ds_write_b32 v1, v2
.LBB97_19:
	s_or_b64 exec, exec, s[4:5]
	v_cmp_gt_u32_e32 vcc, 64, v0
	s_waitcnt lgkmcnt(0)
	s_barrier
	s_and_saveexec_b64 s[4:5], vcc
	s_cbranch_execz .LBB97_21
; %bb.20:
	ds_read2st64_b32 v[2:3], v1 offset1:1
	s_waitcnt lgkmcnt(0)
	v_add_u32_e32 v2, v3, v2
	ds_write_b32 v1, v2
.LBB97_21:
	s_or_b64 exec, exec, s[4:5]
	v_cmp_gt_u32_e32 vcc, 32, v0
	s_waitcnt lgkmcnt(0)
	s_barrier
	s_and_saveexec_b64 s[4:5], vcc
	s_cbranch_execz .LBB97_23
; %bb.22:
	ds_read2_b32 v[2:3], v1 offset1:32
	s_waitcnt lgkmcnt(0)
	v_add_u32_e32 v2, v3, v2
	ds_write_b32 v1, v2
.LBB97_23:
	s_or_b64 exec, exec, s[4:5]
	v_cmp_gt_u32_e32 vcc, 16, v0
	s_waitcnt lgkmcnt(0)
	s_barrier
	s_and_saveexec_b64 s[4:5], vcc
	s_cbranch_execz .LBB97_25
; %bb.24:
	ds_read2_b32 v[2:3], v1 offset1:16
	s_waitcnt lgkmcnt(0)
	v_add_u32_e32 v2, v3, v2
	ds_write_b32 v1, v2
.LBB97_25:
	;; [unrolled: 12-line block ×5, first 2 shown]
	s_or_b64 exec, exec, s[4:5]
	v_cmp_eq_u32_e32 vcc, 0, v0
	s_waitcnt lgkmcnt(0)
	s_barrier
	s_and_saveexec_b64 s[4:5], vcc
	s_cbranch_execz .LBB97_33
; %bb.32:
	v_mov_b32_e32 v2, 0
	ds_read_b64 v[0:1], v2
	s_waitcnt lgkmcnt(0)
	v_add_u32_e32 v0, v1, v0
	ds_write_b32 v2, v0
.LBB97_33:
	s_or_b64 exec, exec, s[4:5]
	s_waitcnt lgkmcnt(0)
	s_barrier
	s_and_saveexec_b64 s[4:5], vcc
	s_cbranch_execz .LBB97_42
; %bb.34:
	s_cmp_eq_u32 s15, 0
	s_cbranch_scc1 .LBB97_40
; %bb.35:
	s_lshl_b64 s[4:5], s[16:17], 2
	s_add_u32 s0, s0, s4
	s_addc_u32 s1, s1, s5
	v_mov_b32_e32 v0, 0
	s_branch .LBB97_37
.LBB97_36:                              ;   in Loop: Header=BB97_37 Depth=1
	s_or_b64 exec, exec, s[4:5]
	s_waitcnt vmcnt(0)
	v_readfirstlane_b32 s4, v1
	s_cmp_eq_u32 s4, s24
	s_cbranch_scc0 .LBB97_39
.LBB97_37:                              ; =>This Inner Loop Header: Depth=1
	v_mbcnt_lo_u32_b32 v1, exec_lo, 0
	v_mbcnt_hi_u32_b32 v1, exec_hi, v1
	v_cmp_eq_u32_e32 vcc, 0, v1
                                        ; implicit-def: $vgpr1
	s_and_saveexec_b64 s[4:5], vcc
	s_cbranch_execz .LBB97_36
; %bb.38:                               ;   in Loop: Header=BB97_37 Depth=1
	global_load_dword v1, v0, s[0:1] glc
	s_branch .LBB97_36
.LBB97_39:
	v_mov_b32_e32 v0, 0
	global_load_dword v1, v0, s[6:7]
	s_waitcnt vmcnt(0)
	v_xor_b32_e32 v1, 1, v1
	global_store_dword v0, v1, s[6:7]
.LBB97_40:
	s_mov_b64 s[0:1], exec
	v_mbcnt_lo_u32_b32 v0, s0, 0
	v_mbcnt_hi_u32_b32 v0, s1, v0
	v_cmp_eq_u32_e32 vcc, 0, v0
	s_and_b64 s[4:5], exec, vcc
	s_mov_b64 exec, s[4:5]
	s_cbranch_execz .LBB97_42
; %bb.41:
	v_mov_b32_e32 v0, 0
	ds_read_b32 v1, v0
	s_lshl_b64 s[4:5], s[12:13], 2
	s_add_u32 s2, s2, s4
	s_addc_u32 s3, s3, s5
	s_bcnt1_i32_b64 s0, s[0:1]
	s_waitcnt lgkmcnt(0)
	v_mul_lo_u32 v1, v1, s0
	global_atomic_add v0, v1, s[2:3]
.LBB97_42:
	s_endpgm
	.section	.rodata,"a",@progbits
	.p2align	6, 0x0
	.amdhsa_kernel _ZN9rocsparseL27csrmvn_lrb_long_rows_kernelIllaaiiEEvbT_PjPT0_S4_jNS_24const_host_device_scalarIT4_EEPKS1_PKS3_PKT1_PKT2_S7_PT3_21rocsparse_index_base_b
		.amdhsa_group_segment_fixed_size 1024
		.amdhsa_private_segment_fixed_size 0
		.amdhsa_kernarg_size 112
		.amdhsa_user_sgpr_count 6
		.amdhsa_user_sgpr_private_segment_buffer 1
		.amdhsa_user_sgpr_dispatch_ptr 0
		.amdhsa_user_sgpr_queue_ptr 0
		.amdhsa_user_sgpr_kernarg_segment_ptr 1
		.amdhsa_user_sgpr_dispatch_id 0
		.amdhsa_user_sgpr_flat_scratch_init 0
		.amdhsa_user_sgpr_kernarg_preload_length 0
		.amdhsa_user_sgpr_kernarg_preload_offset 0
		.amdhsa_user_sgpr_private_segment_size 0
		.amdhsa_uses_dynamic_stack 0
		.amdhsa_system_sgpr_private_segment_wavefront_offset 0
		.amdhsa_system_sgpr_workgroup_id_x 1
		.amdhsa_system_sgpr_workgroup_id_y 0
		.amdhsa_system_sgpr_workgroup_id_z 0
		.amdhsa_system_sgpr_workgroup_info 0
		.amdhsa_system_vgpr_workitem_id 0
		.amdhsa_next_free_vgpr 14
		.amdhsa_next_free_sgpr 30
		.amdhsa_accum_offset 16
		.amdhsa_reserve_vcc 1
		.amdhsa_reserve_flat_scratch 0
		.amdhsa_float_round_mode_32 0
		.amdhsa_float_round_mode_16_64 0
		.amdhsa_float_denorm_mode_32 3
		.amdhsa_float_denorm_mode_16_64 3
		.amdhsa_dx10_clamp 1
		.amdhsa_ieee_mode 1
		.amdhsa_fp16_overflow 0
		.amdhsa_tg_split 0
		.amdhsa_exception_fp_ieee_invalid_op 0
		.amdhsa_exception_fp_denorm_src 0
		.amdhsa_exception_fp_ieee_div_zero 0
		.amdhsa_exception_fp_ieee_overflow 0
		.amdhsa_exception_fp_ieee_underflow 0
		.amdhsa_exception_fp_ieee_inexact 0
		.amdhsa_exception_int_div_zero 0
	.end_amdhsa_kernel
	.section	.text._ZN9rocsparseL27csrmvn_lrb_long_rows_kernelIllaaiiEEvbT_PjPT0_S4_jNS_24const_host_device_scalarIT4_EEPKS1_PKS3_PKT1_PKT2_S7_PT3_21rocsparse_index_base_b,"axG",@progbits,_ZN9rocsparseL27csrmvn_lrb_long_rows_kernelIllaaiiEEvbT_PjPT0_S4_jNS_24const_host_device_scalarIT4_EEPKS1_PKS3_PKT1_PKT2_S7_PT3_21rocsparse_index_base_b,comdat
.Lfunc_end97:
	.size	_ZN9rocsparseL27csrmvn_lrb_long_rows_kernelIllaaiiEEvbT_PjPT0_S4_jNS_24const_host_device_scalarIT4_EEPKS1_PKS3_PKT1_PKT2_S7_PT3_21rocsparse_index_base_b, .Lfunc_end97-_ZN9rocsparseL27csrmvn_lrb_long_rows_kernelIllaaiiEEvbT_PjPT0_S4_jNS_24const_host_device_scalarIT4_EEPKS1_PKS3_PKT1_PKT2_S7_PT3_21rocsparse_index_base_b
                                        ; -- End function
	.section	.AMDGPU.csdata,"",@progbits
; Kernel info:
; codeLenInByte = 1492
; NumSgprs: 34
; NumVgprs: 14
; NumAgprs: 0
; TotalNumVgprs: 14
; ScratchSize: 0
; MemoryBound: 0
; FloatMode: 240
; IeeeMode: 1
; LDSByteSize: 1024 bytes/workgroup (compile time only)
; SGPRBlocks: 4
; VGPRBlocks: 1
; NumSGPRsForWavesPerEU: 34
; NumVGPRsForWavesPerEU: 14
; AccumOffset: 16
; Occupancy: 8
; WaveLimiterHint : 1
; COMPUTE_PGM_RSRC2:SCRATCH_EN: 0
; COMPUTE_PGM_RSRC2:USER_SGPR: 6
; COMPUTE_PGM_RSRC2:TRAP_HANDLER: 0
; COMPUTE_PGM_RSRC2:TGID_X_EN: 1
; COMPUTE_PGM_RSRC2:TGID_Y_EN: 0
; COMPUTE_PGM_RSRC2:TGID_Z_EN: 0
; COMPUTE_PGM_RSRC2:TIDIG_COMP_CNT: 0
; COMPUTE_PGM_RSRC3_GFX90A:ACCUM_OFFSET: 3
; COMPUTE_PGM_RSRC3_GFX90A:TG_SPLIT: 0
	.section	.text._ZN9rocsparseL28csrmvn_lrb_short_rows_kernelIiiaaffEEvbT_PT0_S3_jNS_24const_host_device_scalarIT4_EEPKS1_PKS2_PKT1_PKT2_S6_PT3_21rocsparse_index_base_b,"axG",@progbits,_ZN9rocsparseL28csrmvn_lrb_short_rows_kernelIiiaaffEEvbT_PT0_S3_jNS_24const_host_device_scalarIT4_EEPKS1_PKS2_PKT1_PKT2_S6_PT3_21rocsparse_index_base_b,comdat
	.globl	_ZN9rocsparseL28csrmvn_lrb_short_rows_kernelIiiaaffEEvbT_PT0_S3_jNS_24const_host_device_scalarIT4_EEPKS1_PKS2_PKT1_PKT2_S6_PT3_21rocsparse_index_base_b ; -- Begin function _ZN9rocsparseL28csrmvn_lrb_short_rows_kernelIiiaaffEEvbT_PT0_S3_jNS_24const_host_device_scalarIT4_EEPKS1_PKS2_PKT1_PKT2_S6_PT3_21rocsparse_index_base_b
	.p2align	8
	.type	_ZN9rocsparseL28csrmvn_lrb_short_rows_kernelIiiaaffEEvbT_PT0_S3_jNS_24const_host_device_scalarIT4_EEPKS1_PKS2_PKT1_PKT2_S6_PT3_21rocsparse_index_base_b,@function
_ZN9rocsparseL28csrmvn_lrb_short_rows_kernelIiiaaffEEvbT_PT0_S3_jNS_24const_host_device_scalarIT4_EEPKS1_PKS2_PKT1_PKT2_S6_PT3_21rocsparse_index_base_b: ; @_ZN9rocsparseL28csrmvn_lrb_short_rows_kernelIiiaaffEEvbT_PT0_S3_jNS_24const_host_device_scalarIT4_EEPKS1_PKS2_PKT1_PKT2_S6_PT3_21rocsparse_index_base_b
; %bb.0:
	s_load_dwordx2 s[20:21], s[4:5], 0x58
	s_load_dwordx2 s[22:23], s[4:5], 0x20
	;; [unrolled: 1-line block ×3, first 2 shown]
	s_waitcnt lgkmcnt(0)
	s_bitcmp1_b32 s21, 0
	s_cselect_b64 s[2:3], -1, 0
	s_xor_b64 s[0:1], s[2:3], -1
	s_and_b64 vcc, exec, s[2:3]
	s_cbranch_vccnz .LBB98_2
; %bb.1:
	s_load_dword s22, s[22:23], 0x0
.LBB98_2:
	s_andn2_b64 vcc, exec, s[0:1]
	s_cbranch_vccnz .LBB98_4
; %bb.3:
	s_load_dword s16, s[16:17], 0x0
.LBB98_4:
	s_waitcnt lgkmcnt(0)
	v_cmp_neq_f32_e64 s[0:1], s22, 0
	v_cmp_neq_f32_e64 s[2:3], s16, 1.0
	s_or_b64 s[0:1], s[0:1], s[2:3]
	s_andn2_b64 vcc, exec, s[0:1]
	s_mov_b32 s19, 0
	s_cbranch_vccnz .LBB98_18
; %bb.5:
	s_load_dword s18, s[4:5], 0x18
	s_load_dwordx4 s[0:3], s[4:5], 0x8
	s_mov_b32 s9, s19
	s_waitcnt lgkmcnt(0)
	s_lshl_b64 s[10:11], s[18:19], 2
	s_add_u32 s10, s2, s10
	s_addc_u32 s11, s3, s11
	s_add_i32 s8, s18, 1
	s_lshl_b64 s[8:9], s[8:9], 2
	s_add_u32 s2, s2, s8
	s_addc_u32 s3, s3, s9
	s_load_dword s17, s[10:11], 0x0
	s_load_dword s7, s[2:3], 0x0
	s_lshl_b32 s19, s6, 8
	s_add_i32 s3, s19, 0x100
	s_waitcnt lgkmcnt(0)
	s_sub_i32 s2, s7, s17
	s_min_u32 s21, s2, s3
	s_cmp_gt_u32 s18, 23
	s_cbranch_scc1 .LBB98_12
; %bb.6:
	s_load_dwordx8 s[8:15], s[4:5], 0x28
	v_bfe_u32 v1, v0, 0, s18
	s_lshl_b32 s23, 0x100, s18
	v_subrev_u32_e32 v6, s20, v1
	s_mov_b32 s24, 0
	v_lshl_add_u32 v7, v0, 2, 0
	v_mov_b32_e32 v3, 0
	s_branch .LBB98_9
.LBB98_7:                               ;   in Loop: Header=BB98_9 Depth=1
	s_or_b64 exec, exec, s[6:7]
	ds_write_b32 v7, v2
.LBB98_8:                               ;   in Loop: Header=BB98_9 Depth=1
	s_or_b64 exec, exec, s[2:3]
	s_addk_i32 s24, 0x100
	s_cmp_ge_u32 s24, s23
	v_add_u32_e32 v7, 0x400, v7
	s_cbranch_scc1 .LBB98_12
.LBB98_9:                               ; =>This Inner Loop Header: Depth=1
	v_add_u32_e32 v2, s24, v0
	v_lshrrev_b32_e32 v2, s18, v2
	v_add_u32_e32 v2, s19, v2
	v_cmp_gt_u32_e32 vcc, s21, v2
	s_and_saveexec_b64 s[2:3], vcc
	s_cbranch_execz .LBB98_8
; %bb.10:                               ;   in Loop: Header=BB98_9 Depth=1
	v_add_u32_e32 v2, s17, v2
	v_lshlrev_b64 v[4:5], 2, v[2:3]
	v_mov_b32_e32 v2, s1
	v_add_co_u32_e32 v4, vcc, s0, v4
	v_addc_co_u32_e32 v5, vcc, v2, v5, vcc
	global_load_dword v4, v[4:5], off
	s_waitcnt lgkmcnt(0)
	v_mov_b32_e32 v2, s9
	s_waitcnt vmcnt(0)
	v_ashrrev_i32_e32 v5, 31, v4
	v_lshlrev_b64 v[4:5], 2, v[4:5]
	v_add_co_u32_e32 v4, vcc, s8, v4
	v_addc_co_u32_e32 v5, vcc, v2, v5, vcc
	global_load_dwordx2 v[4:5], v[4:5], off
	s_waitcnt vmcnt(0)
	v_sub_u32_e32 v2, v5, v4
	v_cmp_lt_u32_e32 vcc, v1, v2
	v_mov_b32_e32 v2, 0
	s_and_saveexec_b64 s[6:7], vcc
	s_cbranch_execz .LBB98_7
; %bb.11:                               ;   in Loop: Header=BB98_9 Depth=1
	v_add_u32_e32 v2, v6, v4
	v_lshlrev_b64 v[4:5], 2, v[2:3]
	v_mov_b32_e32 v8, s11
	v_add_co_u32_e32 v4, vcc, s10, v4
	v_addc_co_u32_e32 v5, vcc, v8, v5, vcc
	global_load_dword v4, v[4:5], off
	v_mov_b32_e32 v5, s15
	global_load_sbyte v2, v2, s[12:13]
	s_waitcnt vmcnt(1)
	v_subrev_u32_e32 v4, s20, v4
	v_ashrrev_i32_e32 v8, 31, v4
	v_add_co_u32_e32 v4, vcc, s14, v4
	v_addc_co_u32_e32 v5, vcc, v5, v8, vcc
	global_load_sbyte v4, v[4:5], off
	s_waitcnt vmcnt(1)
	v_cvt_f32_i32_e32 v2, v2
	v_mul_f32_e32 v2, s22, v2
	s_waitcnt vmcnt(0)
	v_cvt_f32_i32_e32 v4, v4
	v_mul_f32_e32 v2, v2, v4
	s_branch .LBB98_7
.LBB98_12:
	s_sub_i32 s2, s21, s19
	v_cmp_gt_u32_e32 vcc, s2, v0
	s_waitcnt lgkmcnt(0)
	s_barrier
	s_and_saveexec_b64 s[2:3], vcc
	s_cbranch_execz .LBB98_18
; %bb.13:
	s_add_i32 s17, s17, s19
	v_add_u32_e32 v2, s17, v0
	v_mov_b32_e32 v3, 0
	v_lshlrev_b64 v[4:5], 2, v[2:3]
	v_mov_b32_e32 v1, s1
	v_add_co_u32_e32 v4, vcc, s0, v4
	v_addc_co_u32_e32 v5, vcc, v1, v5, vcc
	global_load_dword v4, v[4:5], off
	s_load_dwordx2 s[0:1], s[4:5], 0x50
	v_lshlrev_b32_e32 v0, s18, v0
	v_lshl_add_u32 v0, v0, 2, 0
	s_mov_b32 s2, 1
.LBB98_14:                              ; =>This Inner Loop Header: Depth=1
	ds_read_b32 v1, v0
	s_lshr_b32 s3, s2, s18
	s_add_i32 s2, s2, 1
	v_add_u32_e32 v0, 4, v0
	s_cmp_lg_u32 s3, 0
	s_waitcnt lgkmcnt(0)
	v_add_f32_e32 v3, v3, v1
	s_cbranch_scc0 .LBB98_14
; %bb.15:
	v_cmp_neq_f32_e64 s[2:3], s16, 0
	s_waitcnt vmcnt(0)
	v_ashrrev_i32_e32 v5, 31, v4
	s_and_b64 vcc, exec, s[2:3]
	v_lshlrev_b64 v[0:1], 2, v[4:5]
	s_cbranch_vccz .LBB98_17
; %bb.16:
	v_mov_b32_e32 v2, s1
	v_add_co_u32_e32 v4, vcc, s0, v0
	v_addc_co_u32_e32 v5, vcc, v2, v1, vcc
	global_load_dword v2, v[4:5], off
	s_waitcnt vmcnt(0)
	v_fmac_f32_e32 v3, s16, v2
.LBB98_17:
	v_mov_b32_e32 v2, s1
	v_add_co_u32_e32 v0, vcc, s0, v0
	v_addc_co_u32_e32 v1, vcc, v2, v1, vcc
	global_store_dword v[0:1], v3, off
.LBB98_18:
	s_endpgm
	.section	.rodata,"a",@progbits
	.p2align	6, 0x0
	.amdhsa_kernel _ZN9rocsparseL28csrmvn_lrb_short_rows_kernelIiiaaffEEvbT_PT0_S3_jNS_24const_host_device_scalarIT4_EEPKS1_PKS2_PKT1_PKT2_S6_PT3_21rocsparse_index_base_b
		.amdhsa_group_segment_fixed_size 0
		.amdhsa_private_segment_fixed_size 0
		.amdhsa_kernarg_size 96
		.amdhsa_user_sgpr_count 6
		.amdhsa_user_sgpr_private_segment_buffer 1
		.amdhsa_user_sgpr_dispatch_ptr 0
		.amdhsa_user_sgpr_queue_ptr 0
		.amdhsa_user_sgpr_kernarg_segment_ptr 1
		.amdhsa_user_sgpr_dispatch_id 0
		.amdhsa_user_sgpr_flat_scratch_init 0
		.amdhsa_user_sgpr_kernarg_preload_length 0
		.amdhsa_user_sgpr_kernarg_preload_offset 0
		.amdhsa_user_sgpr_private_segment_size 0
		.amdhsa_uses_dynamic_stack 0
		.amdhsa_system_sgpr_private_segment_wavefront_offset 0
		.amdhsa_system_sgpr_workgroup_id_x 1
		.amdhsa_system_sgpr_workgroup_id_y 0
		.amdhsa_system_sgpr_workgroup_id_z 0
		.amdhsa_system_sgpr_workgroup_info 0
		.amdhsa_system_vgpr_workitem_id 0
		.amdhsa_next_free_vgpr 9
		.amdhsa_next_free_sgpr 25
		.amdhsa_accum_offset 12
		.amdhsa_reserve_vcc 1
		.amdhsa_reserve_flat_scratch 0
		.amdhsa_float_round_mode_32 0
		.amdhsa_float_round_mode_16_64 0
		.amdhsa_float_denorm_mode_32 3
		.amdhsa_float_denorm_mode_16_64 3
		.amdhsa_dx10_clamp 1
		.amdhsa_ieee_mode 1
		.amdhsa_fp16_overflow 0
		.amdhsa_tg_split 0
		.amdhsa_exception_fp_ieee_invalid_op 0
		.amdhsa_exception_fp_denorm_src 0
		.amdhsa_exception_fp_ieee_div_zero 0
		.amdhsa_exception_fp_ieee_overflow 0
		.amdhsa_exception_fp_ieee_underflow 0
		.amdhsa_exception_fp_ieee_inexact 0
		.amdhsa_exception_int_div_zero 0
	.end_amdhsa_kernel
	.section	.text._ZN9rocsparseL28csrmvn_lrb_short_rows_kernelIiiaaffEEvbT_PT0_S3_jNS_24const_host_device_scalarIT4_EEPKS1_PKS2_PKT1_PKT2_S6_PT3_21rocsparse_index_base_b,"axG",@progbits,_ZN9rocsparseL28csrmvn_lrb_short_rows_kernelIiiaaffEEvbT_PT0_S3_jNS_24const_host_device_scalarIT4_EEPKS1_PKS2_PKT1_PKT2_S6_PT3_21rocsparse_index_base_b,comdat
.Lfunc_end98:
	.size	_ZN9rocsparseL28csrmvn_lrb_short_rows_kernelIiiaaffEEvbT_PT0_S3_jNS_24const_host_device_scalarIT4_EEPKS1_PKS2_PKT1_PKT2_S6_PT3_21rocsparse_index_base_b, .Lfunc_end98-_ZN9rocsparseL28csrmvn_lrb_short_rows_kernelIiiaaffEEvbT_PT0_S3_jNS_24const_host_device_scalarIT4_EEPKS1_PKS2_PKT1_PKT2_S6_PT3_21rocsparse_index_base_b
                                        ; -- End function
	.section	.AMDGPU.csdata,"",@progbits
; Kernel info:
; codeLenInByte = 720
; NumSgprs: 29
; NumVgprs: 9
; NumAgprs: 0
; TotalNumVgprs: 9
; ScratchSize: 0
; MemoryBound: 0
; FloatMode: 240
; IeeeMode: 1
; LDSByteSize: 0 bytes/workgroup (compile time only)
; SGPRBlocks: 3
; VGPRBlocks: 1
; NumSGPRsForWavesPerEU: 29
; NumVGPRsForWavesPerEU: 9
; AccumOffset: 12
; Occupancy: 8
; WaveLimiterHint : 1
; COMPUTE_PGM_RSRC2:SCRATCH_EN: 0
; COMPUTE_PGM_RSRC2:USER_SGPR: 6
; COMPUTE_PGM_RSRC2:TRAP_HANDLER: 0
; COMPUTE_PGM_RSRC2:TGID_X_EN: 1
; COMPUTE_PGM_RSRC2:TGID_Y_EN: 0
; COMPUTE_PGM_RSRC2:TGID_Z_EN: 0
; COMPUTE_PGM_RSRC2:TIDIG_COMP_CNT: 0
; COMPUTE_PGM_RSRC3_GFX90A:ACCUM_OFFSET: 2
; COMPUTE_PGM_RSRC3_GFX90A:TG_SPLIT: 0
	.section	.text._ZN9rocsparseL30csrmvn_lrb_short_rows_2_kernelIiiaaffEEvbT_PT0_S3_jNS_24const_host_device_scalarIT4_EEPKS1_PKS2_PKT1_PKT2_S6_PT3_21rocsparse_index_base_b,"axG",@progbits,_ZN9rocsparseL30csrmvn_lrb_short_rows_2_kernelIiiaaffEEvbT_PT0_S3_jNS_24const_host_device_scalarIT4_EEPKS1_PKS2_PKT1_PKT2_S6_PT3_21rocsparse_index_base_b,comdat
	.globl	_ZN9rocsparseL30csrmvn_lrb_short_rows_2_kernelIiiaaffEEvbT_PT0_S3_jNS_24const_host_device_scalarIT4_EEPKS1_PKS2_PKT1_PKT2_S6_PT3_21rocsparse_index_base_b ; -- Begin function _ZN9rocsparseL30csrmvn_lrb_short_rows_2_kernelIiiaaffEEvbT_PT0_S3_jNS_24const_host_device_scalarIT4_EEPKS1_PKS2_PKT1_PKT2_S6_PT3_21rocsparse_index_base_b
	.p2align	8
	.type	_ZN9rocsparseL30csrmvn_lrb_short_rows_2_kernelIiiaaffEEvbT_PT0_S3_jNS_24const_host_device_scalarIT4_EEPKS1_PKS2_PKT1_PKT2_S6_PT3_21rocsparse_index_base_b,@function
_ZN9rocsparseL30csrmvn_lrb_short_rows_2_kernelIiiaaffEEvbT_PT0_S3_jNS_24const_host_device_scalarIT4_EEPKS1_PKS2_PKT1_PKT2_S6_PT3_21rocsparse_index_base_b: ; @_ZN9rocsparseL30csrmvn_lrb_short_rows_2_kernelIiiaaffEEvbT_PT0_S3_jNS_24const_host_device_scalarIT4_EEPKS1_PKS2_PKT1_PKT2_S6_PT3_21rocsparse_index_base_b
; %bb.0:
	s_load_dwordx2 s[22:23], s[4:5], 0x58
	s_load_dwordx2 s[20:21], s[4:5], 0x20
	;; [unrolled: 1-line block ×3, first 2 shown]
	s_waitcnt lgkmcnt(0)
	s_bitcmp1_b32 s23, 0
	s_cselect_b64 s[2:3], -1, 0
	s_xor_b64 s[0:1], s[2:3], -1
	s_and_b64 vcc, exec, s[2:3]
	s_cbranch_vccnz .LBB99_2
; %bb.1:
	s_load_dword s20, s[20:21], 0x0
.LBB99_2:
	s_andn2_b64 vcc, exec, s[0:1]
	s_cbranch_vccnz .LBB99_4
; %bb.3:
	s_load_dword s16, s[16:17], 0x0
.LBB99_4:
	s_waitcnt lgkmcnt(0)
	v_cmp_neq_f32_e64 s[0:1], s20, 0
	v_cmp_neq_f32_e64 s[2:3], s16, 1.0
	s_or_b64 s[0:1], s[0:1], s[2:3]
	s_andn2_b64 vcc, exec, s[0:1]
	s_mov_b32 s19, 0
	s_cbranch_vccnz .LBB99_30
; %bb.5:
	s_load_dword s18, s[4:5], 0x18
	s_load_dwordx4 s[0:3], s[4:5], 0x8
	s_mov_b32 s9, s19
	s_waitcnt lgkmcnt(0)
	s_lshl_b64 s[10:11], s[18:19], 2
	s_add_u32 s24, s2, s10
	s_addc_u32 s25, s3, s11
	s_add_i32 s8, s18, 1
	s_lshl_b64 s[8:9], s[8:9], 2
	s_add_u32 s26, s2, s8
	s_addc_u32 s27, s3, s9
	s_load_dword s19, s[24:25], 0x0
	s_load_dword s7, s[26:27], 0x0
	s_load_dwordx2 s[2:3], s[4:5], 0x50
	s_load_dwordx8 s[8:15], s[4:5], 0x28
	s_lshr_b32 s17, 0x400, s18
	s_mul_i32 s21, s17, s6
	s_waitcnt lgkmcnt(0)
	s_sub_i32 s4, s7, s19
	s_add_i32 s5, s21, s17
	v_lshrrev_b32_e32 v2, s18, v0
	s_min_u32 s23, s4, s5
	v_bfe_u32 v6, v0, 0, s18
	v_add_u32_e32 v2, s21, v2
	v_subrev_u32_e32 v1, s22, v6
	v_cmp_gt_u32_e32 vcc, s23, v2
	s_and_saveexec_b64 s[4:5], vcc
	s_cbranch_execz .LBB99_9
; %bb.6:
	v_add_u32_e32 v2, s19, v2
	v_mov_b32_e32 v3, 0
	v_lshlrev_b64 v[4:5], 2, v[2:3]
	v_mov_b32_e32 v2, s1
	v_add_co_u32_e32 v4, vcc, s0, v4
	v_addc_co_u32_e32 v5, vcc, v2, v5, vcc
	global_load_dword v4, v[4:5], off
	v_mov_b32_e32 v2, s9
	s_waitcnt vmcnt(0)
	v_ashrrev_i32_e32 v5, 31, v4
	v_lshlrev_b64 v[4:5], 2, v[4:5]
	v_add_co_u32_e32 v4, vcc, s8, v4
	v_addc_co_u32_e32 v5, vcc, v2, v5, vcc
	global_load_dwordx2 v[4:5], v[4:5], off
	s_waitcnt vmcnt(0)
	v_sub_u32_e32 v2, v5, v4
	v_cmp_lt_u32_e32 vcc, v6, v2
	s_and_saveexec_b64 s[6:7], vcc
	s_cbranch_execz .LBB99_8
; %bb.7:
	v_add_u32_e32 v2, v4, v1
	v_mov_b32_e32 v3, 0
	v_lshlrev_b64 v[4:5], 2, v[2:3]
	v_mov_b32_e32 v3, s11
	v_add_co_u32_e32 v4, vcc, s10, v4
	v_addc_co_u32_e32 v5, vcc, v3, v5, vcc
	global_load_dword v3, v[4:5], off
	v_mov_b32_e32 v4, s15
	global_load_sbyte v5, v2, s[12:13]
	s_waitcnt vmcnt(1)
	v_subrev_u32_e32 v2, s22, v3
	v_ashrrev_i32_e32 v3, 31, v2
	v_add_co_u32_e32 v2, vcc, s14, v2
	v_addc_co_u32_e32 v3, vcc, v4, v3, vcc
	global_load_sbyte v2, v[2:3], off
	s_waitcnt vmcnt(1)
	v_cvt_f32_i32_e32 v3, v5
	v_mul_f32_e32 v3, s20, v3
	s_waitcnt vmcnt(0)
	v_cvt_f32_i32_e32 v2, v2
	v_mul_f32_e32 v3, v3, v2
.LBB99_8:
	s_or_b64 exec, exec, s[6:7]
	v_lshlrev_b32_e32 v2, 2, v0
	ds_write_b32 v2, v3
.LBB99_9:
	s_or_b64 exec, exec, s[4:5]
	v_or_b32_e32 v2, 0x100, v0
	v_lshrrev_b32_e32 v2, s18, v2
	v_add_u32_e32 v2, s21, v2
	v_cmp_gt_u32_e32 vcc, s23, v2
	s_and_saveexec_b64 s[4:5], vcc
	s_cbranch_execz .LBB99_13
; %bb.10:
	v_add_u32_e32 v2, s19, v2
	v_mov_b32_e32 v3, 0
	v_lshlrev_b64 v[4:5], 2, v[2:3]
	v_mov_b32_e32 v2, s1
	v_add_co_u32_e32 v4, vcc, s0, v4
	v_addc_co_u32_e32 v5, vcc, v2, v5, vcc
	global_load_dword v4, v[4:5], off
	v_mov_b32_e32 v2, s9
	s_waitcnt vmcnt(0)
	v_ashrrev_i32_e32 v5, 31, v4
	v_lshlrev_b64 v[4:5], 2, v[4:5]
	v_add_co_u32_e32 v4, vcc, s8, v4
	v_addc_co_u32_e32 v5, vcc, v2, v5, vcc
	global_load_dwordx2 v[4:5], v[4:5], off
	s_waitcnt vmcnt(0)
	v_sub_u32_e32 v2, v5, v4
	v_cmp_lt_u32_e32 vcc, v6, v2
	s_and_saveexec_b64 s[6:7], vcc
	s_cbranch_execz .LBB99_12
; %bb.11:
	v_add_u32_e32 v2, v4, v1
	v_mov_b32_e32 v3, 0
	v_lshlrev_b64 v[4:5], 2, v[2:3]
	v_mov_b32_e32 v3, s11
	v_add_co_u32_e32 v4, vcc, s10, v4
	v_addc_co_u32_e32 v5, vcc, v3, v5, vcc
	global_load_dword v3, v[4:5], off
	v_mov_b32_e32 v4, s15
	global_load_sbyte v5, v2, s[12:13]
	s_waitcnt vmcnt(1)
	v_subrev_u32_e32 v2, s22, v3
	v_ashrrev_i32_e32 v3, 31, v2
	v_add_co_u32_e32 v2, vcc, s14, v2
	v_addc_co_u32_e32 v3, vcc, v4, v3, vcc
	global_load_sbyte v2, v[2:3], off
	s_waitcnt vmcnt(1)
	v_cvt_f32_i32_e32 v3, v5
	v_mul_f32_e32 v3, s20, v3
	s_waitcnt vmcnt(0)
	v_cvt_f32_i32_e32 v2, v2
	v_mul_f32_e32 v3, v3, v2
.LBB99_12:
	s_or_b64 exec, exec, s[6:7]
	v_lshlrev_b32_e32 v2, 2, v0
	ds_write_b32 v2, v3 offset:1024
.LBB99_13:
	s_or_b64 exec, exec, s[4:5]
	v_or_b32_e32 v2, 0x200, v0
	v_lshrrev_b32_e32 v2, s18, v2
	v_add_u32_e32 v2, s21, v2
	v_cmp_gt_u32_e32 vcc, s23, v2
	s_and_saveexec_b64 s[4:5], vcc
	s_cbranch_execz .LBB99_17
; %bb.14:
	v_add_u32_e32 v2, s19, v2
	v_mov_b32_e32 v3, 0
	v_lshlrev_b64 v[4:5], 2, v[2:3]
	v_mov_b32_e32 v2, s1
	v_add_co_u32_e32 v4, vcc, s0, v4
	v_addc_co_u32_e32 v5, vcc, v2, v5, vcc
	global_load_dword v4, v[4:5], off
	v_mov_b32_e32 v2, s9
	s_waitcnt vmcnt(0)
	v_ashrrev_i32_e32 v5, 31, v4
	v_lshlrev_b64 v[4:5], 2, v[4:5]
	v_add_co_u32_e32 v4, vcc, s8, v4
	v_addc_co_u32_e32 v5, vcc, v2, v5, vcc
	global_load_dwordx2 v[4:5], v[4:5], off
	s_waitcnt vmcnt(0)
	v_sub_u32_e32 v2, v5, v4
	v_cmp_lt_u32_e32 vcc, v6, v2
	s_and_saveexec_b64 s[6:7], vcc
	s_cbranch_execz .LBB99_16
; %bb.15:
	v_add_u32_e32 v2, v4, v1
	v_mov_b32_e32 v3, 0
	v_lshlrev_b64 v[4:5], 2, v[2:3]
	v_mov_b32_e32 v3, s11
	v_add_co_u32_e32 v4, vcc, s10, v4
	v_addc_co_u32_e32 v5, vcc, v3, v5, vcc
	global_load_dword v3, v[4:5], off
	v_mov_b32_e32 v4, s15
	global_load_sbyte v5, v2, s[12:13]
	s_waitcnt vmcnt(1)
	v_subrev_u32_e32 v2, s22, v3
	v_ashrrev_i32_e32 v3, 31, v2
	v_add_co_u32_e32 v2, vcc, s14, v2
	v_addc_co_u32_e32 v3, vcc, v4, v3, vcc
	global_load_sbyte v2, v[2:3], off
	s_waitcnt vmcnt(1)
	v_cvt_f32_i32_e32 v3, v5
	v_mul_f32_e32 v3, s20, v3
	s_waitcnt vmcnt(0)
	v_cvt_f32_i32_e32 v2, v2
	v_mul_f32_e32 v3, v3, v2
.LBB99_16:
	s_or_b64 exec, exec, s[6:7]
	v_lshlrev_b32_e32 v2, 2, v0
	ds_write_b32 v2, v3 offset:2048
.LBB99_17:
	;; [unrolled: 54-line block ×3, first 2 shown]
	s_or_b64 exec, exec, s[4:5]
	s_cmp_lt_u32 s18, 11
	s_waitcnt lgkmcnt(0)
	s_barrier
	s_cbranch_scc0 .LBB99_30
; %bb.22:
	s_sub_i32 s8, s23, s21
	s_add_i32 s19, s19, s21
	s_mov_b32 s9, 0
	v_cmp_neq_f32_e64 s[4:5], s16, 0
	v_mov_b32_e32 v3, 0
	s_branch .LBB99_25
.LBB99_23:                              ;   in Loop: Header=BB99_25 Depth=1
	v_mov_b32_e32 v2, s3
	v_add_co_u32_e32 v4, vcc, s2, v4
	v_addc_co_u32_e32 v5, vcc, v2, v5, vcc
	global_store_dword v[4:5], v1, off
.LBB99_24:                              ;   in Loop: Header=BB99_25 Depth=1
	s_or_b64 exec, exec, s[6:7]
	s_addk_i32 s9, 0x100
	s_cmp_lt_u32 s9, s17
	s_cbranch_scc0 .LBB99_30
.LBB99_25:                              ; =>This Loop Header: Depth=1
                                        ;     Child Loop BB99_27 Depth 2
	v_add_u32_e32 v1, s9, v0
	v_cmp_gt_u32_e32 vcc, s8, v1
	s_and_saveexec_b64 s[6:7], vcc
	s_cbranch_execz .LBB99_24
; %bb.26:                               ;   in Loop: Header=BB99_25 Depth=1
	v_add_u32_e32 v2, s19, v1
	v_lshlrev_b64 v[4:5], 2, v[2:3]
	v_mov_b32_e32 v2, s1
	v_add_co_u32_e32 v4, vcc, s0, v4
	v_addc_co_u32_e32 v5, vcc, v2, v5, vcc
	global_load_dword v4, v[4:5], off
	v_lshlrev_b32_e32 v1, s18, v1
	v_lshlrev_b32_e32 v2, 2, v1
	s_mov_b32 s10, 1
	v_mov_b32_e32 v1, 0
.LBB99_27:                              ;   Parent Loop BB99_25 Depth=1
                                        ; =>  This Inner Loop Header: Depth=2
	ds_read_b32 v5, v2
	s_lshr_b32 s11, s10, s18
	s_add_i32 s10, s10, 1
	v_add_u32_e32 v2, 4, v2
	s_cmp_lg_u32 s11, 0
	s_waitcnt lgkmcnt(0)
	v_add_f32_e32 v1, v1, v5
	s_cbranch_scc0 .LBB99_27
; %bb.28:                               ;   in Loop: Header=BB99_25 Depth=1
	s_waitcnt vmcnt(0)
	v_ashrrev_i32_e32 v5, 31, v4
	s_and_b64 vcc, exec, s[4:5]
	v_lshlrev_b64 v[4:5], 2, v[4:5]
	s_cbranch_vccz .LBB99_23
; %bb.29:                               ;   in Loop: Header=BB99_25 Depth=1
	v_mov_b32_e32 v2, s3
	v_add_co_u32_e32 v6, vcc, s2, v4
	v_addc_co_u32_e32 v7, vcc, v2, v5, vcc
	global_load_dword v2, v[6:7], off
	s_waitcnt vmcnt(0)
	v_fmac_f32_e32 v1, s16, v2
	s_branch .LBB99_23
.LBB99_30:
	s_endpgm
	.section	.rodata,"a",@progbits
	.p2align	6, 0x0
	.amdhsa_kernel _ZN9rocsparseL30csrmvn_lrb_short_rows_2_kernelIiiaaffEEvbT_PT0_S3_jNS_24const_host_device_scalarIT4_EEPKS1_PKS2_PKT1_PKT2_S6_PT3_21rocsparse_index_base_b
		.amdhsa_group_segment_fixed_size 4096
		.amdhsa_private_segment_fixed_size 0
		.amdhsa_kernarg_size 96
		.amdhsa_user_sgpr_count 6
		.amdhsa_user_sgpr_private_segment_buffer 1
		.amdhsa_user_sgpr_dispatch_ptr 0
		.amdhsa_user_sgpr_queue_ptr 0
		.amdhsa_user_sgpr_kernarg_segment_ptr 1
		.amdhsa_user_sgpr_dispatch_id 0
		.amdhsa_user_sgpr_flat_scratch_init 0
		.amdhsa_user_sgpr_kernarg_preload_length 0
		.amdhsa_user_sgpr_kernarg_preload_offset 0
		.amdhsa_user_sgpr_private_segment_size 0
		.amdhsa_uses_dynamic_stack 0
		.amdhsa_system_sgpr_private_segment_wavefront_offset 0
		.amdhsa_system_sgpr_workgroup_id_x 1
		.amdhsa_system_sgpr_workgroup_id_y 0
		.amdhsa_system_sgpr_workgroup_id_z 0
		.amdhsa_system_sgpr_workgroup_info 0
		.amdhsa_system_vgpr_workitem_id 0
		.amdhsa_next_free_vgpr 8
		.amdhsa_next_free_sgpr 28
		.amdhsa_accum_offset 8
		.amdhsa_reserve_vcc 1
		.amdhsa_reserve_flat_scratch 0
		.amdhsa_float_round_mode_32 0
		.amdhsa_float_round_mode_16_64 0
		.amdhsa_float_denorm_mode_32 3
		.amdhsa_float_denorm_mode_16_64 3
		.amdhsa_dx10_clamp 1
		.amdhsa_ieee_mode 1
		.amdhsa_fp16_overflow 0
		.amdhsa_tg_split 0
		.amdhsa_exception_fp_ieee_invalid_op 0
		.amdhsa_exception_fp_denorm_src 0
		.amdhsa_exception_fp_ieee_div_zero 0
		.amdhsa_exception_fp_ieee_overflow 0
		.amdhsa_exception_fp_ieee_underflow 0
		.amdhsa_exception_fp_ieee_inexact 0
		.amdhsa_exception_int_div_zero 0
	.end_amdhsa_kernel
	.section	.text._ZN9rocsparseL30csrmvn_lrb_short_rows_2_kernelIiiaaffEEvbT_PT0_S3_jNS_24const_host_device_scalarIT4_EEPKS1_PKS2_PKT1_PKT2_S6_PT3_21rocsparse_index_base_b,"axG",@progbits,_ZN9rocsparseL30csrmvn_lrb_short_rows_2_kernelIiiaaffEEvbT_PT0_S3_jNS_24const_host_device_scalarIT4_EEPKS1_PKS2_PKT1_PKT2_S6_PT3_21rocsparse_index_base_b,comdat
.Lfunc_end99:
	.size	_ZN9rocsparseL30csrmvn_lrb_short_rows_2_kernelIiiaaffEEvbT_PT0_S3_jNS_24const_host_device_scalarIT4_EEPKS1_PKS2_PKT1_PKT2_S6_PT3_21rocsparse_index_base_b, .Lfunc_end99-_ZN9rocsparseL30csrmvn_lrb_short_rows_2_kernelIiiaaffEEvbT_PT0_S3_jNS_24const_host_device_scalarIT4_EEPKS1_PKS2_PKT1_PKT2_S6_PT3_21rocsparse_index_base_b
                                        ; -- End function
	.section	.AMDGPU.csdata,"",@progbits
; Kernel info:
; codeLenInByte = 1424
; NumSgprs: 32
; NumVgprs: 8
; NumAgprs: 0
; TotalNumVgprs: 8
; ScratchSize: 0
; MemoryBound: 0
; FloatMode: 240
; IeeeMode: 1
; LDSByteSize: 4096 bytes/workgroup (compile time only)
; SGPRBlocks: 3
; VGPRBlocks: 0
; NumSGPRsForWavesPerEU: 32
; NumVGPRsForWavesPerEU: 8
; AccumOffset: 8
; Occupancy: 8
; WaveLimiterHint : 1
; COMPUTE_PGM_RSRC2:SCRATCH_EN: 0
; COMPUTE_PGM_RSRC2:USER_SGPR: 6
; COMPUTE_PGM_RSRC2:TRAP_HANDLER: 0
; COMPUTE_PGM_RSRC2:TGID_X_EN: 1
; COMPUTE_PGM_RSRC2:TGID_Y_EN: 0
; COMPUTE_PGM_RSRC2:TGID_Z_EN: 0
; COMPUTE_PGM_RSRC2:TIDIG_COMP_CNT: 0
; COMPUTE_PGM_RSRC3_GFX90A:ACCUM_OFFSET: 1
; COMPUTE_PGM_RSRC3_GFX90A:TG_SPLIT: 0
	.section	.text._ZN9rocsparseL41csrmvn_lrb_medium_rows_warp_reduce_kernelILj256ELj32EiiaaffEEvbT1_lPT2_S3_jNS_24const_host_device_scalarIT6_EEPKS1_PKS2_PKT3_PKT4_S6_PT5_21rocsparse_index_base_b,"axG",@progbits,_ZN9rocsparseL41csrmvn_lrb_medium_rows_warp_reduce_kernelILj256ELj32EiiaaffEEvbT1_lPT2_S3_jNS_24const_host_device_scalarIT6_EEPKS1_PKS2_PKT3_PKT4_S6_PT5_21rocsparse_index_base_b,comdat
	.globl	_ZN9rocsparseL41csrmvn_lrb_medium_rows_warp_reduce_kernelILj256ELj32EiiaaffEEvbT1_lPT2_S3_jNS_24const_host_device_scalarIT6_EEPKS1_PKS2_PKT3_PKT4_S6_PT5_21rocsparse_index_base_b ; -- Begin function _ZN9rocsparseL41csrmvn_lrb_medium_rows_warp_reduce_kernelILj256ELj32EiiaaffEEvbT1_lPT2_S3_jNS_24const_host_device_scalarIT6_EEPKS1_PKS2_PKT3_PKT4_S6_PT5_21rocsparse_index_base_b
	.p2align	8
	.type	_ZN9rocsparseL41csrmvn_lrb_medium_rows_warp_reduce_kernelILj256ELj32EiiaaffEEvbT1_lPT2_S3_jNS_24const_host_device_scalarIT6_EEPKS1_PKS2_PKT3_PKT4_S6_PT5_21rocsparse_index_base_b,@function
_ZN9rocsparseL41csrmvn_lrb_medium_rows_warp_reduce_kernelILj256ELj32EiiaaffEEvbT1_lPT2_S3_jNS_24const_host_device_scalarIT6_EEPKS1_PKS2_PKT3_PKT4_S6_PT5_21rocsparse_index_base_b: ; @_ZN9rocsparseL41csrmvn_lrb_medium_rows_warp_reduce_kernelILj256ELj32EiiaaffEEvbT1_lPT2_S3_jNS_24const_host_device_scalarIT6_EEPKS1_PKS2_PKT3_PKT4_S6_PT5_21rocsparse_index_base_b
; %bb.0:
	s_load_dwordx2 s[10:11], s[4:5], 0x60
	s_load_dwordx2 s[12:13], s[4:5], 0x28
	;; [unrolled: 1-line block ×3, first 2 shown]
	s_waitcnt lgkmcnt(0)
	s_bitcmp1_b32 s11, 0
	s_cselect_b64 s[2:3], -1, 0
	s_xor_b64 s[0:1], s[2:3], -1
	s_and_b64 vcc, exec, s[2:3]
	s_cbranch_vccnz .LBB100_2
; %bb.1:
	s_load_dword s12, s[12:13], 0x0
.LBB100_2:
	s_andn2_b64 vcc, exec, s[0:1]
	s_cbranch_vccnz .LBB100_4
; %bb.3:
	s_load_dword s8, s[8:9], 0x0
.LBB100_4:
	s_waitcnt lgkmcnt(0)
	v_cmp_neq_f32_e64 s[0:1], s12, 0
	v_cmp_neq_f32_e64 s[2:3], s8, 1.0
	s_or_b64 s[0:1], s[0:1], s[2:3]
	s_andn2_b64 vcc, exec, s[0:1]
	s_cbranch_vccnz .LBB100_14
; %bb.5:
	s_load_dwordx2 s[0:1], s[4:5], 0x8
	v_lshrrev_b32_e32 v1, 5, v0
	v_lshl_or_b32 v2, s6, 3, v1
	v_ashrrev_i32_e32 v3, 31, v2
	s_waitcnt lgkmcnt(0)
	v_cmp_gt_i64_e32 vcc, s[0:1], v[2:3]
	s_and_saveexec_b64 s[0:1], vcc
	s_cbranch_execz .LBB100_14
; %bb.6:
	s_load_dword s6, s[4:5], 0x20
	s_load_dwordx4 s[0:3], s[4:5], 0x10
	s_mov_b32 s7, 0
	s_waitcnt lgkmcnt(0)
	s_lshl_b64 s[6:7], s[6:7], 2
	s_add_u32 s2, s2, s6
	s_addc_u32 s3, s3, s7
	s_load_dword s2, s[2:3], 0x0
	v_mov_b32_e32 v1, s1
	s_load_dwordx2 s[6:7], s[4:5], 0x58
	s_waitcnt lgkmcnt(0)
	v_add_u32_e32 v2, s2, v2
	v_ashrrev_i32_e32 v3, 31, v2
	v_lshlrev_b64 v[2:3], 2, v[2:3]
	v_add_co_u32_e32 v2, vcc, s0, v2
	v_addc_co_u32_e32 v3, vcc, v1, v3, vcc
	global_load_dword v2, v[2:3], off
	s_load_dwordx2 s[0:1], s[4:5], 0x30
	s_waitcnt lgkmcnt(0)
	v_mov_b32_e32 v1, s1
	s_waitcnt vmcnt(0)
	v_ashrrev_i32_e32 v3, 31, v2
	v_lshlrev_b64 v[2:3], 2, v[2:3]
	v_add_co_u32_e32 v4, vcc, s0, v2
	v_addc_co_u32_e32 v5, vcc, v1, v3, vcc
	global_load_dwordx2 v[6:7], v[4:5], off
	v_and_b32_e32 v4, 31, v0
	v_subrev_u32_e32 v0, s10, v4
	s_waitcnt vmcnt(0)
	v_subrev_u32_e32 v5, s10, v7
	v_add_u32_e32 v0, v6, v0
	v_cmp_lt_i32_e32 vcc, v0, v5
	v_mov_b32_e32 v6, 0
	s_and_saveexec_b64 s[14:15], vcc
	s_cbranch_execz .LBB100_10
; %bb.7:
	s_load_dwordx4 s[0:3], s[4:5], 0x38
	s_load_dwordx2 s[16:17], s[4:5], 0x48
	s_mov_b64 s[4:5], 0
	v_mov_b32_e32 v6, 0
	s_waitcnt lgkmcnt(0)
	v_mov_b32_e32 v7, s3
	v_mov_b32_e32 v8, s1
	;; [unrolled: 1-line block ×3, first 2 shown]
.LBB100_8:                              ; =>This Inner Loop Header: Depth=1
	v_ashrrev_i32_e32 v1, 31, v0
	v_lshlrev_b64 v[10:11], 2, v[0:1]
	v_add_co_u32_e32 v10, vcc, s0, v10
	v_addc_co_u32_e32 v11, vcc, v8, v11, vcc
	global_load_dword v12, v[10:11], off
	v_add_co_u32_e32 v10, vcc, s2, v0
	v_addc_co_u32_e32 v11, vcc, v7, v1, vcc
	global_load_sbyte v1, v[10:11], off
	v_add_u32_e32 v0, 32, v0
	s_waitcnt vmcnt(1)
	v_subrev_u32_e32 v10, s10, v12
	v_ashrrev_i32_e32 v11, 31, v10
	v_add_co_u32_e32 v10, vcc, s16, v10
	v_addc_co_u32_e32 v11, vcc, v9, v11, vcc
	global_load_sbyte v10, v[10:11], off
	s_waitcnt vmcnt(1)
	v_cvt_f32_i32_e32 v1, v1
	v_cmp_ge_i32_e32 vcc, v0, v5
	s_or_b64 s[4:5], vcc, s[4:5]
	v_mul_f32_e32 v1, s12, v1
	s_waitcnt vmcnt(0)
	v_cvt_f32_i32_e32 v10, v10
	v_fmac_f32_e32 v6, v1, v10
	s_andn2_b64 exec, exec, s[4:5]
	s_cbranch_execnz .LBB100_8
; %bb.9:
	s_or_b64 exec, exec, s[4:5]
.LBB100_10:
	s_or_b64 exec, exec, s[14:15]
	v_mov_b32_dpp v0, v6 row_shr:1 row_mask:0xf bank_mask:0xf
	v_add_f32_e32 v0, v6, v0
	v_cmp_eq_u32_e32 vcc, 31, v4
	s_nop 0
	v_mov_b32_dpp v1, v0 row_shr:2 row_mask:0xf bank_mask:0xf
	v_add_f32_e32 v0, v0, v1
	s_nop 1
	v_mov_b32_dpp v1, v0 row_shr:4 row_mask:0xf bank_mask:0xe
	v_add_f32_e32 v0, v0, v1
	;; [unrolled: 3-line block ×3, first 2 shown]
	s_nop 1
	v_mov_b32_dpp v1, v0 row_bcast:15 row_mask:0xa bank_mask:0xf
	s_and_b64 exec, exec, vcc
	s_cbranch_execz .LBB100_14
; %bb.11:
	v_cmp_eq_f32_e64 s[0:1], s8, 0
	v_add_f32_e32 v0, v0, v1
	s_and_b64 vcc, exec, s[0:1]
	s_cbranch_vccnz .LBB100_13
; %bb.12:
	v_mov_b32_e32 v1, s7
	v_add_co_u32_e32 v4, vcc, s6, v2
	v_addc_co_u32_e32 v5, vcc, v1, v3, vcc
	global_load_dword v1, v[4:5], off
	s_waitcnt vmcnt(0)
	v_fmac_f32_e32 v0, s8, v1
.LBB100_13:
	v_mov_b32_e32 v1, s7
	v_add_co_u32_e32 v2, vcc, s6, v2
	v_addc_co_u32_e32 v3, vcc, v1, v3, vcc
	global_store_dword v[2:3], v0, off
.LBB100_14:
	s_endpgm
	.section	.rodata,"a",@progbits
	.p2align	6, 0x0
	.amdhsa_kernel _ZN9rocsparseL41csrmvn_lrb_medium_rows_warp_reduce_kernelILj256ELj32EiiaaffEEvbT1_lPT2_S3_jNS_24const_host_device_scalarIT6_EEPKS1_PKS2_PKT3_PKT4_S6_PT5_21rocsparse_index_base_b
		.amdhsa_group_segment_fixed_size 0
		.amdhsa_private_segment_fixed_size 0
		.amdhsa_kernarg_size 104
		.amdhsa_user_sgpr_count 6
		.amdhsa_user_sgpr_private_segment_buffer 1
		.amdhsa_user_sgpr_dispatch_ptr 0
		.amdhsa_user_sgpr_queue_ptr 0
		.amdhsa_user_sgpr_kernarg_segment_ptr 1
		.amdhsa_user_sgpr_dispatch_id 0
		.amdhsa_user_sgpr_flat_scratch_init 0
		.amdhsa_user_sgpr_kernarg_preload_length 0
		.amdhsa_user_sgpr_kernarg_preload_offset 0
		.amdhsa_user_sgpr_private_segment_size 0
		.amdhsa_uses_dynamic_stack 0
		.amdhsa_system_sgpr_private_segment_wavefront_offset 0
		.amdhsa_system_sgpr_workgroup_id_x 1
		.amdhsa_system_sgpr_workgroup_id_y 0
		.amdhsa_system_sgpr_workgroup_id_z 0
		.amdhsa_system_sgpr_workgroup_info 0
		.amdhsa_system_vgpr_workitem_id 0
		.amdhsa_next_free_vgpr 13
		.amdhsa_next_free_sgpr 18
		.amdhsa_accum_offset 16
		.amdhsa_reserve_vcc 1
		.amdhsa_reserve_flat_scratch 0
		.amdhsa_float_round_mode_32 0
		.amdhsa_float_round_mode_16_64 0
		.amdhsa_float_denorm_mode_32 3
		.amdhsa_float_denorm_mode_16_64 3
		.amdhsa_dx10_clamp 1
		.amdhsa_ieee_mode 1
		.amdhsa_fp16_overflow 0
		.amdhsa_tg_split 0
		.amdhsa_exception_fp_ieee_invalid_op 0
		.amdhsa_exception_fp_denorm_src 0
		.amdhsa_exception_fp_ieee_div_zero 0
		.amdhsa_exception_fp_ieee_overflow 0
		.amdhsa_exception_fp_ieee_underflow 0
		.amdhsa_exception_fp_ieee_inexact 0
		.amdhsa_exception_int_div_zero 0
	.end_amdhsa_kernel
	.section	.text._ZN9rocsparseL41csrmvn_lrb_medium_rows_warp_reduce_kernelILj256ELj32EiiaaffEEvbT1_lPT2_S3_jNS_24const_host_device_scalarIT6_EEPKS1_PKS2_PKT3_PKT4_S6_PT5_21rocsparse_index_base_b,"axG",@progbits,_ZN9rocsparseL41csrmvn_lrb_medium_rows_warp_reduce_kernelILj256ELj32EiiaaffEEvbT1_lPT2_S3_jNS_24const_host_device_scalarIT6_EEPKS1_PKS2_PKT3_PKT4_S6_PT5_21rocsparse_index_base_b,comdat
.Lfunc_end100:
	.size	_ZN9rocsparseL41csrmvn_lrb_medium_rows_warp_reduce_kernelILj256ELj32EiiaaffEEvbT1_lPT2_S3_jNS_24const_host_device_scalarIT6_EEPKS1_PKS2_PKT3_PKT4_S6_PT5_21rocsparse_index_base_b, .Lfunc_end100-_ZN9rocsparseL41csrmvn_lrb_medium_rows_warp_reduce_kernelILj256ELj32EiiaaffEEvbT1_lPT2_S3_jNS_24const_host_device_scalarIT6_EEPKS1_PKS2_PKT3_PKT4_S6_PT5_21rocsparse_index_base_b
                                        ; -- End function
	.section	.AMDGPU.csdata,"",@progbits
; Kernel info:
; codeLenInByte = 640
; NumSgprs: 22
; NumVgprs: 13
; NumAgprs: 0
; TotalNumVgprs: 13
; ScratchSize: 0
; MemoryBound: 0
; FloatMode: 240
; IeeeMode: 1
; LDSByteSize: 0 bytes/workgroup (compile time only)
; SGPRBlocks: 2
; VGPRBlocks: 1
; NumSGPRsForWavesPerEU: 22
; NumVGPRsForWavesPerEU: 13
; AccumOffset: 16
; Occupancy: 8
; WaveLimiterHint : 1
; COMPUTE_PGM_RSRC2:SCRATCH_EN: 0
; COMPUTE_PGM_RSRC2:USER_SGPR: 6
; COMPUTE_PGM_RSRC2:TRAP_HANDLER: 0
; COMPUTE_PGM_RSRC2:TGID_X_EN: 1
; COMPUTE_PGM_RSRC2:TGID_Y_EN: 0
; COMPUTE_PGM_RSRC2:TGID_Z_EN: 0
; COMPUTE_PGM_RSRC2:TIDIG_COMP_CNT: 0
; COMPUTE_PGM_RSRC3_GFX90A:ACCUM_OFFSET: 3
; COMPUTE_PGM_RSRC3_GFX90A:TG_SPLIT: 0
	.section	.text._ZN9rocsparseL41csrmvn_lrb_medium_rows_warp_reduce_kernelILj256ELj64EiiaaffEEvbT1_lPT2_S3_jNS_24const_host_device_scalarIT6_EEPKS1_PKS2_PKT3_PKT4_S6_PT5_21rocsparse_index_base_b,"axG",@progbits,_ZN9rocsparseL41csrmvn_lrb_medium_rows_warp_reduce_kernelILj256ELj64EiiaaffEEvbT1_lPT2_S3_jNS_24const_host_device_scalarIT6_EEPKS1_PKS2_PKT3_PKT4_S6_PT5_21rocsparse_index_base_b,comdat
	.globl	_ZN9rocsparseL41csrmvn_lrb_medium_rows_warp_reduce_kernelILj256ELj64EiiaaffEEvbT1_lPT2_S3_jNS_24const_host_device_scalarIT6_EEPKS1_PKS2_PKT3_PKT4_S6_PT5_21rocsparse_index_base_b ; -- Begin function _ZN9rocsparseL41csrmvn_lrb_medium_rows_warp_reduce_kernelILj256ELj64EiiaaffEEvbT1_lPT2_S3_jNS_24const_host_device_scalarIT6_EEPKS1_PKS2_PKT3_PKT4_S6_PT5_21rocsparse_index_base_b
	.p2align	8
	.type	_ZN9rocsparseL41csrmvn_lrb_medium_rows_warp_reduce_kernelILj256ELj64EiiaaffEEvbT1_lPT2_S3_jNS_24const_host_device_scalarIT6_EEPKS1_PKS2_PKT3_PKT4_S6_PT5_21rocsparse_index_base_b,@function
_ZN9rocsparseL41csrmvn_lrb_medium_rows_warp_reduce_kernelILj256ELj64EiiaaffEEvbT1_lPT2_S3_jNS_24const_host_device_scalarIT6_EEPKS1_PKS2_PKT3_PKT4_S6_PT5_21rocsparse_index_base_b: ; @_ZN9rocsparseL41csrmvn_lrb_medium_rows_warp_reduce_kernelILj256ELj64EiiaaffEEvbT1_lPT2_S3_jNS_24const_host_device_scalarIT6_EEPKS1_PKS2_PKT3_PKT4_S6_PT5_21rocsparse_index_base_b
; %bb.0:
	s_load_dwordx2 s[10:11], s[4:5], 0x60
	s_load_dwordx2 s[12:13], s[4:5], 0x28
	;; [unrolled: 1-line block ×3, first 2 shown]
	s_waitcnt lgkmcnt(0)
	s_bitcmp1_b32 s11, 0
	s_cselect_b64 s[2:3], -1, 0
	s_xor_b64 s[0:1], s[2:3], -1
	s_and_b64 vcc, exec, s[2:3]
	s_cbranch_vccnz .LBB101_2
; %bb.1:
	s_load_dword s12, s[12:13], 0x0
.LBB101_2:
	s_andn2_b64 vcc, exec, s[0:1]
	s_cbranch_vccnz .LBB101_4
; %bb.3:
	s_load_dword s8, s[8:9], 0x0
.LBB101_4:
	s_waitcnt lgkmcnt(0)
	v_cmp_neq_f32_e64 s[0:1], s12, 0
	v_cmp_neq_f32_e64 s[2:3], s8, 1.0
	s_or_b64 s[0:1], s[0:1], s[2:3]
	s_andn2_b64 vcc, exec, s[0:1]
	s_cbranch_vccnz .LBB101_14
; %bb.5:
	s_load_dwordx2 s[0:1], s[4:5], 0x8
	v_lshrrev_b32_e32 v1, 6, v0
	v_lshl_or_b32 v2, s6, 2, v1
	v_ashrrev_i32_e32 v3, 31, v2
	s_waitcnt lgkmcnt(0)
	v_cmp_gt_i64_e32 vcc, s[0:1], v[2:3]
	s_and_saveexec_b64 s[0:1], vcc
	s_cbranch_execz .LBB101_14
; %bb.6:
	s_load_dword s6, s[4:5], 0x20
	s_load_dwordx4 s[0:3], s[4:5], 0x10
	s_mov_b32 s7, 0
	s_waitcnt lgkmcnt(0)
	s_lshl_b64 s[6:7], s[6:7], 2
	s_add_u32 s2, s2, s6
	s_addc_u32 s3, s3, s7
	s_load_dword s2, s[2:3], 0x0
	v_mov_b32_e32 v1, s1
	s_load_dwordx2 s[6:7], s[4:5], 0x58
	s_waitcnt lgkmcnt(0)
	v_add_u32_e32 v2, s2, v2
	v_ashrrev_i32_e32 v3, 31, v2
	v_lshlrev_b64 v[2:3], 2, v[2:3]
	v_add_co_u32_e32 v2, vcc, s0, v2
	v_addc_co_u32_e32 v3, vcc, v1, v3, vcc
	global_load_dword v2, v[2:3], off
	s_load_dwordx2 s[0:1], s[4:5], 0x30
	s_waitcnt lgkmcnt(0)
	v_mov_b32_e32 v1, s1
	s_waitcnt vmcnt(0)
	v_ashrrev_i32_e32 v3, 31, v2
	v_lshlrev_b64 v[2:3], 2, v[2:3]
	v_add_co_u32_e32 v4, vcc, s0, v2
	v_addc_co_u32_e32 v5, vcc, v1, v3, vcc
	global_load_dwordx2 v[6:7], v[4:5], off
	v_and_b32_e32 v4, 63, v0
	v_subrev_u32_e32 v0, s10, v4
	s_waitcnt vmcnt(0)
	v_subrev_u32_e32 v5, s10, v7
	v_add_u32_e32 v0, v6, v0
	v_cmp_lt_i32_e32 vcc, v0, v5
	v_mov_b32_e32 v6, 0
	s_and_saveexec_b64 s[14:15], vcc
	s_cbranch_execz .LBB101_10
; %bb.7:
	s_load_dwordx4 s[0:3], s[4:5], 0x38
	s_load_dwordx2 s[16:17], s[4:5], 0x48
	s_mov_b64 s[4:5], 0
	v_mov_b32_e32 v6, 0
	s_waitcnt lgkmcnt(0)
	v_mov_b32_e32 v7, s3
	v_mov_b32_e32 v8, s1
	;; [unrolled: 1-line block ×3, first 2 shown]
.LBB101_8:                              ; =>This Inner Loop Header: Depth=1
	v_ashrrev_i32_e32 v1, 31, v0
	v_lshlrev_b64 v[10:11], 2, v[0:1]
	v_add_co_u32_e32 v10, vcc, s0, v10
	v_addc_co_u32_e32 v11, vcc, v8, v11, vcc
	global_load_dword v12, v[10:11], off
	v_add_co_u32_e32 v10, vcc, s2, v0
	v_addc_co_u32_e32 v11, vcc, v7, v1, vcc
	global_load_sbyte v1, v[10:11], off
	v_add_u32_e32 v0, 64, v0
	s_waitcnt vmcnt(1)
	v_subrev_u32_e32 v10, s10, v12
	v_ashrrev_i32_e32 v11, 31, v10
	v_add_co_u32_e32 v10, vcc, s16, v10
	v_addc_co_u32_e32 v11, vcc, v9, v11, vcc
	global_load_sbyte v10, v[10:11], off
	s_waitcnt vmcnt(1)
	v_cvt_f32_i32_e32 v1, v1
	v_cmp_ge_i32_e32 vcc, v0, v5
	s_or_b64 s[4:5], vcc, s[4:5]
	v_mul_f32_e32 v1, s12, v1
	s_waitcnt vmcnt(0)
	v_cvt_f32_i32_e32 v10, v10
	v_fmac_f32_e32 v6, v1, v10
	s_andn2_b64 exec, exec, s[4:5]
	s_cbranch_execnz .LBB101_8
; %bb.9:
	s_or_b64 exec, exec, s[4:5]
.LBB101_10:
	s_or_b64 exec, exec, s[14:15]
	v_mov_b32_dpp v0, v6 row_shr:1 row_mask:0xf bank_mask:0xf
	v_add_f32_e32 v0, v6, v0
	v_cmp_eq_u32_e32 vcc, 63, v4
	s_nop 0
	v_mov_b32_dpp v1, v0 row_shr:2 row_mask:0xf bank_mask:0xf
	v_add_f32_e32 v0, v0, v1
	s_nop 1
	v_mov_b32_dpp v1, v0 row_shr:4 row_mask:0xf bank_mask:0xe
	v_add_f32_e32 v0, v0, v1
	s_nop 1
	v_mov_b32_dpp v1, v0 row_shr:8 row_mask:0xf bank_mask:0xc
	v_add_f32_e32 v0, v0, v1
	s_nop 1
	v_mov_b32_dpp v1, v0 row_bcast:15 row_mask:0xa bank_mask:0xf
	v_add_f32_e32 v0, v0, v1
	s_nop 1
	v_mov_b32_dpp v1, v0 row_bcast:31 row_mask:0xc bank_mask:0xf
	s_and_b64 exec, exec, vcc
	s_cbranch_execz .LBB101_14
; %bb.11:
	v_cmp_eq_f32_e64 s[0:1], s8, 0
	v_add_f32_e32 v0, v0, v1
	s_and_b64 vcc, exec, s[0:1]
	s_cbranch_vccnz .LBB101_13
; %bb.12:
	v_mov_b32_e32 v1, s7
	v_add_co_u32_e32 v4, vcc, s6, v2
	v_addc_co_u32_e32 v5, vcc, v1, v3, vcc
	global_load_dword v1, v[4:5], off
	s_waitcnt vmcnt(0)
	v_fmac_f32_e32 v0, s8, v1
.LBB101_13:
	v_mov_b32_e32 v1, s7
	v_add_co_u32_e32 v2, vcc, s6, v2
	v_addc_co_u32_e32 v3, vcc, v1, v3, vcc
	global_store_dword v[2:3], v0, off
.LBB101_14:
	s_endpgm
	.section	.rodata,"a",@progbits
	.p2align	6, 0x0
	.amdhsa_kernel _ZN9rocsparseL41csrmvn_lrb_medium_rows_warp_reduce_kernelILj256ELj64EiiaaffEEvbT1_lPT2_S3_jNS_24const_host_device_scalarIT6_EEPKS1_PKS2_PKT3_PKT4_S6_PT5_21rocsparse_index_base_b
		.amdhsa_group_segment_fixed_size 0
		.amdhsa_private_segment_fixed_size 0
		.amdhsa_kernarg_size 104
		.amdhsa_user_sgpr_count 6
		.amdhsa_user_sgpr_private_segment_buffer 1
		.amdhsa_user_sgpr_dispatch_ptr 0
		.amdhsa_user_sgpr_queue_ptr 0
		.amdhsa_user_sgpr_kernarg_segment_ptr 1
		.amdhsa_user_sgpr_dispatch_id 0
		.amdhsa_user_sgpr_flat_scratch_init 0
		.amdhsa_user_sgpr_kernarg_preload_length 0
		.amdhsa_user_sgpr_kernarg_preload_offset 0
		.amdhsa_user_sgpr_private_segment_size 0
		.amdhsa_uses_dynamic_stack 0
		.amdhsa_system_sgpr_private_segment_wavefront_offset 0
		.amdhsa_system_sgpr_workgroup_id_x 1
		.amdhsa_system_sgpr_workgroup_id_y 0
		.amdhsa_system_sgpr_workgroup_id_z 0
		.amdhsa_system_sgpr_workgroup_info 0
		.amdhsa_system_vgpr_workitem_id 0
		.amdhsa_next_free_vgpr 13
		.amdhsa_next_free_sgpr 18
		.amdhsa_accum_offset 16
		.amdhsa_reserve_vcc 1
		.amdhsa_reserve_flat_scratch 0
		.amdhsa_float_round_mode_32 0
		.amdhsa_float_round_mode_16_64 0
		.amdhsa_float_denorm_mode_32 3
		.amdhsa_float_denorm_mode_16_64 3
		.amdhsa_dx10_clamp 1
		.amdhsa_ieee_mode 1
		.amdhsa_fp16_overflow 0
		.amdhsa_tg_split 0
		.amdhsa_exception_fp_ieee_invalid_op 0
		.amdhsa_exception_fp_denorm_src 0
		.amdhsa_exception_fp_ieee_div_zero 0
		.amdhsa_exception_fp_ieee_overflow 0
		.amdhsa_exception_fp_ieee_underflow 0
		.amdhsa_exception_fp_ieee_inexact 0
		.amdhsa_exception_int_div_zero 0
	.end_amdhsa_kernel
	.section	.text._ZN9rocsparseL41csrmvn_lrb_medium_rows_warp_reduce_kernelILj256ELj64EiiaaffEEvbT1_lPT2_S3_jNS_24const_host_device_scalarIT6_EEPKS1_PKS2_PKT3_PKT4_S6_PT5_21rocsparse_index_base_b,"axG",@progbits,_ZN9rocsparseL41csrmvn_lrb_medium_rows_warp_reduce_kernelILj256ELj64EiiaaffEEvbT1_lPT2_S3_jNS_24const_host_device_scalarIT6_EEPKS1_PKS2_PKT3_PKT4_S6_PT5_21rocsparse_index_base_b,comdat
.Lfunc_end101:
	.size	_ZN9rocsparseL41csrmvn_lrb_medium_rows_warp_reduce_kernelILj256ELj64EiiaaffEEvbT1_lPT2_S3_jNS_24const_host_device_scalarIT6_EEPKS1_PKS2_PKT3_PKT4_S6_PT5_21rocsparse_index_base_b, .Lfunc_end101-_ZN9rocsparseL41csrmvn_lrb_medium_rows_warp_reduce_kernelILj256ELj64EiiaaffEEvbT1_lPT2_S3_jNS_24const_host_device_scalarIT6_EEPKS1_PKS2_PKT3_PKT4_S6_PT5_21rocsparse_index_base_b
                                        ; -- End function
	.section	.AMDGPU.csdata,"",@progbits
; Kernel info:
; codeLenInByte = 656
; NumSgprs: 22
; NumVgprs: 13
; NumAgprs: 0
; TotalNumVgprs: 13
; ScratchSize: 0
; MemoryBound: 0
; FloatMode: 240
; IeeeMode: 1
; LDSByteSize: 0 bytes/workgroup (compile time only)
; SGPRBlocks: 2
; VGPRBlocks: 1
; NumSGPRsForWavesPerEU: 22
; NumVGPRsForWavesPerEU: 13
; AccumOffset: 16
; Occupancy: 8
; WaveLimiterHint : 1
; COMPUTE_PGM_RSRC2:SCRATCH_EN: 0
; COMPUTE_PGM_RSRC2:USER_SGPR: 6
; COMPUTE_PGM_RSRC2:TRAP_HANDLER: 0
; COMPUTE_PGM_RSRC2:TGID_X_EN: 1
; COMPUTE_PGM_RSRC2:TGID_Y_EN: 0
; COMPUTE_PGM_RSRC2:TGID_Z_EN: 0
; COMPUTE_PGM_RSRC2:TIDIG_COMP_CNT: 0
; COMPUTE_PGM_RSRC3_GFX90A:ACCUM_OFFSET: 3
; COMPUTE_PGM_RSRC3_GFX90A:TG_SPLIT: 0
	.section	.text._ZN9rocsparseL29csrmvn_lrb_medium_rows_kernelILj256EiiaaffEEvbT0_PT1_S3_jNS_24const_host_device_scalarIT5_EEPKS1_PKS2_PKT2_PKT3_S6_PT4_21rocsparse_index_base_b,"axG",@progbits,_ZN9rocsparseL29csrmvn_lrb_medium_rows_kernelILj256EiiaaffEEvbT0_PT1_S3_jNS_24const_host_device_scalarIT5_EEPKS1_PKS2_PKT2_PKT3_S6_PT4_21rocsparse_index_base_b,comdat
	.globl	_ZN9rocsparseL29csrmvn_lrb_medium_rows_kernelILj256EiiaaffEEvbT0_PT1_S3_jNS_24const_host_device_scalarIT5_EEPKS1_PKS2_PKT2_PKT3_S6_PT4_21rocsparse_index_base_b ; -- Begin function _ZN9rocsparseL29csrmvn_lrb_medium_rows_kernelILj256EiiaaffEEvbT0_PT1_S3_jNS_24const_host_device_scalarIT5_EEPKS1_PKS2_PKT2_PKT3_S6_PT4_21rocsparse_index_base_b
	.p2align	8
	.type	_ZN9rocsparseL29csrmvn_lrb_medium_rows_kernelILj256EiiaaffEEvbT0_PT1_S3_jNS_24const_host_device_scalarIT5_EEPKS1_PKS2_PKT2_PKT3_S6_PT4_21rocsparse_index_base_b,@function
_ZN9rocsparseL29csrmvn_lrb_medium_rows_kernelILj256EiiaaffEEvbT0_PT1_S3_jNS_24const_host_device_scalarIT5_EEPKS1_PKS2_PKT2_PKT3_S6_PT4_21rocsparse_index_base_b: ; @_ZN9rocsparseL29csrmvn_lrb_medium_rows_kernelILj256EiiaaffEEvbT0_PT1_S3_jNS_24const_host_device_scalarIT5_EEPKS1_PKS2_PKT2_PKT3_S6_PT4_21rocsparse_index_base_b
; %bb.0:
	s_load_dwordx2 s[12:13], s[4:5], 0x58
	s_load_dwordx2 s[14:15], s[4:5], 0x20
	;; [unrolled: 1-line block ×3, first 2 shown]
	s_waitcnt lgkmcnt(0)
	s_bitcmp1_b32 s13, 0
	s_cselect_b64 s[2:3], -1, 0
	s_xor_b64 s[0:1], s[2:3], -1
	s_and_b64 vcc, exec, s[2:3]
	s_cbranch_vccnz .LBB102_2
; %bb.1:
	s_load_dword s14, s[14:15], 0x0
.LBB102_2:
	s_andn2_b64 vcc, exec, s[0:1]
	s_cbranch_vccnz .LBB102_4
; %bb.3:
	s_load_dword s8, s[8:9], 0x0
.LBB102_4:
	s_waitcnt lgkmcnt(0)
	v_cmp_neq_f32_e64 s[0:1], s14, 0
	v_cmp_neq_f32_e64 s[2:3], s8, 1.0
	s_or_b64 s[0:1], s[0:1], s[2:3]
	s_andn2_b64 vcc, exec, s[0:1]
	s_mov_b32 s1, 0
	s_cbranch_vccnz .LBB102_29
; %bb.5:
	s_load_dword s0, s[4:5], 0x18
	s_load_dwordx4 s[16:19], s[4:5], 0x8
	v_subrev_u32_e32 v1, s12, v0
	v_mov_b32_e32 v4, 0
	s_waitcnt lgkmcnt(0)
	s_lshl_b64 s[0:1], s[0:1], 2
	s_add_u32 s0, s18, s0
	s_addc_u32 s1, s19, s1
	s_load_dword s0, s[0:1], 0x0
	s_waitcnt lgkmcnt(0)
	s_add_i32 s0, s0, s6
	s_ashr_i32 s1, s0, 31
	s_lshl_b64 s[0:1], s[0:1], 2
	s_add_u32 s0, s16, s0
	s_addc_u32 s1, s17, s1
	s_load_dword s2, s[0:1], 0x0
	s_load_dwordx2 s[10:11], s[4:5], 0x28
	s_waitcnt lgkmcnt(0)
	s_ashr_i32 s3, s2, 31
	s_lshl_b64 s[6:7], s[2:3], 2
	s_add_u32 s0, s10, s6
	s_addc_u32 s1, s11, s7
	s_load_dwordx2 s[2:3], s[0:1], 0x0
	s_load_dwordx2 s[10:11], s[4:5], 0x50
	s_waitcnt lgkmcnt(0)
	s_sub_i32 s9, s3, s12
	v_add_u32_e32 v2, s2, v1
	v_cmp_gt_i32_e32 vcc, s9, v2
	s_and_saveexec_b64 s[16:17], vcc
	s_cbranch_execz .LBB102_9
; %bb.6:
	s_load_dwordx4 s[0:3], s[4:5], 0x30
	s_load_dwordx2 s[18:19], s[4:5], 0x40
	s_mov_b64 s[4:5], 0
	v_mov_b32_e32 v4, 0
	s_waitcnt lgkmcnt(0)
	v_mov_b32_e32 v1, s3
	v_mov_b32_e32 v5, s1
	;; [unrolled: 1-line block ×3, first 2 shown]
.LBB102_7:                              ; =>This Inner Loop Header: Depth=1
	v_ashrrev_i32_e32 v3, 31, v2
	v_lshlrev_b64 v[8:9], 2, v[2:3]
	v_add_co_u32_e32 v8, vcc, s0, v8
	v_addc_co_u32_e32 v9, vcc, v5, v9, vcc
	global_load_dword v7, v[8:9], off
	v_add_co_u32_e32 v8, vcc, s2, v2
	v_addc_co_u32_e32 v9, vcc, v1, v3, vcc
	global_load_sbyte v3, v[8:9], off
	v_add_u32_e32 v2, 0x100, v2
	s_waitcnt vmcnt(1)
	v_subrev_u32_e32 v7, s12, v7
	v_ashrrev_i32_e32 v9, 31, v7
	v_add_co_u32_e32 v8, vcc, s18, v7
	v_addc_co_u32_e32 v9, vcc, v6, v9, vcc
	global_load_sbyte v7, v[8:9], off
	s_waitcnt vmcnt(1)
	v_cvt_f32_i32_e32 v3, v3
	v_cmp_le_i32_e32 vcc, s9, v2
	s_or_b64 s[4:5], vcc, s[4:5]
	v_mul_f32_e32 v3, s14, v3
	s_waitcnt vmcnt(0)
	v_cvt_f32_i32_e32 v7, v7
	v_fmac_f32_e32 v4, v3, v7
	s_andn2_b64 exec, exec, s[4:5]
	s_cbranch_execnz .LBB102_7
; %bb.8:
	s_or_b64 exec, exec, s[4:5]
.LBB102_9:
	s_or_b64 exec, exec, s[16:17]
	s_movk_i32 s0, 0x80
	v_lshlrev_b32_e32 v1, 2, v0
	v_cmp_gt_u32_e32 vcc, s0, v0
	ds_write_b32 v1, v4
	s_waitcnt lgkmcnt(0)
	s_barrier
	s_and_saveexec_b64 s[0:1], vcc
	s_cbranch_execz .LBB102_11
; %bb.10:
	ds_read2st64_b32 v[2:3], v1 offset1:2
	s_waitcnt lgkmcnt(0)
	v_add_f32_e32 v2, v2, v3
	ds_write_b32 v1, v2
.LBB102_11:
	s_or_b64 exec, exec, s[0:1]
	v_cmp_gt_u32_e32 vcc, 64, v0
	s_waitcnt lgkmcnt(0)
	s_barrier
	s_and_saveexec_b64 s[0:1], vcc
	s_cbranch_execz .LBB102_13
; %bb.12:
	ds_read2st64_b32 v[2:3], v1 offset1:1
	s_waitcnt lgkmcnt(0)
	v_add_f32_e32 v2, v2, v3
	ds_write_b32 v1, v2
.LBB102_13:
	s_or_b64 exec, exec, s[0:1]
	v_cmp_gt_u32_e32 vcc, 32, v0
	s_waitcnt lgkmcnt(0)
	s_barrier
	s_and_saveexec_b64 s[0:1], vcc
	s_cbranch_execz .LBB102_15
; %bb.14:
	ds_read2_b32 v[2:3], v1 offset1:32
	s_waitcnt lgkmcnt(0)
	v_add_f32_e32 v2, v2, v3
	ds_write_b32 v1, v2
.LBB102_15:
	s_or_b64 exec, exec, s[0:1]
	v_cmp_gt_u32_e32 vcc, 16, v0
	s_waitcnt lgkmcnt(0)
	s_barrier
	s_and_saveexec_b64 s[0:1], vcc
	s_cbranch_execz .LBB102_17
; %bb.16:
	ds_read2_b32 v[2:3], v1 offset1:16
	s_waitcnt lgkmcnt(0)
	v_add_f32_e32 v2, v2, v3
	ds_write_b32 v1, v2
.LBB102_17:
	;; [unrolled: 12-line block ×5, first 2 shown]
	s_or_b64 exec, exec, s[0:1]
	v_cmp_eq_u32_e32 vcc, 0, v0
	s_waitcnt lgkmcnt(0)
	s_barrier
	s_and_saveexec_b64 s[0:1], vcc
	s_cbranch_execz .LBB102_25
; %bb.24:
	v_mov_b32_e32 v2, 0
	ds_read_b64 v[0:1], v2
	s_waitcnt lgkmcnt(0)
	v_add_f32_e32 v0, v0, v1
	ds_write_b32 v2, v0
.LBB102_25:
	s_or_b64 exec, exec, s[0:1]
	s_waitcnt lgkmcnt(0)
	s_barrier
	s_and_saveexec_b64 s[0:1], vcc
	s_cbranch_execz .LBB102_29
; %bb.26:
	v_mov_b32_e32 v0, 0
	ds_read_b32 v1, v0
	v_cmp_eq_f32_e64 s[0:1], s8, 0
	s_and_b64 vcc, exec, s[0:1]
	s_cbranch_vccnz .LBB102_28
; %bb.27:
	s_add_u32 s0, s10, s6
	s_addc_u32 s1, s11, s7
	s_load_dword s0, s[0:1], 0x0
	s_waitcnt lgkmcnt(0)
	v_mov_b32_e32 v2, s0
	v_fmac_f32_e32 v1, s8, v2
.LBB102_28:
	s_add_u32 s0, s10, s6
	s_addc_u32 s1, s11, s7
	s_waitcnt lgkmcnt(0)
	global_store_dword v0, v1, s[0:1]
.LBB102_29:
	s_endpgm
	.section	.rodata,"a",@progbits
	.p2align	6, 0x0
	.amdhsa_kernel _ZN9rocsparseL29csrmvn_lrb_medium_rows_kernelILj256EiiaaffEEvbT0_PT1_S3_jNS_24const_host_device_scalarIT5_EEPKS1_PKS2_PKT2_PKT3_S6_PT4_21rocsparse_index_base_b
		.amdhsa_group_segment_fixed_size 1024
		.amdhsa_private_segment_fixed_size 0
		.amdhsa_kernarg_size 96
		.amdhsa_user_sgpr_count 6
		.amdhsa_user_sgpr_private_segment_buffer 1
		.amdhsa_user_sgpr_dispatch_ptr 0
		.amdhsa_user_sgpr_queue_ptr 0
		.amdhsa_user_sgpr_kernarg_segment_ptr 1
		.amdhsa_user_sgpr_dispatch_id 0
		.amdhsa_user_sgpr_flat_scratch_init 0
		.amdhsa_user_sgpr_kernarg_preload_length 0
		.amdhsa_user_sgpr_kernarg_preload_offset 0
		.amdhsa_user_sgpr_private_segment_size 0
		.amdhsa_uses_dynamic_stack 0
		.amdhsa_system_sgpr_private_segment_wavefront_offset 0
		.amdhsa_system_sgpr_workgroup_id_x 1
		.amdhsa_system_sgpr_workgroup_id_y 0
		.amdhsa_system_sgpr_workgroup_id_z 0
		.amdhsa_system_sgpr_workgroup_info 0
		.amdhsa_system_vgpr_workitem_id 0
		.amdhsa_next_free_vgpr 10
		.amdhsa_next_free_sgpr 20
		.amdhsa_accum_offset 12
		.amdhsa_reserve_vcc 1
		.amdhsa_reserve_flat_scratch 0
		.amdhsa_float_round_mode_32 0
		.amdhsa_float_round_mode_16_64 0
		.amdhsa_float_denorm_mode_32 3
		.amdhsa_float_denorm_mode_16_64 3
		.amdhsa_dx10_clamp 1
		.amdhsa_ieee_mode 1
		.amdhsa_fp16_overflow 0
		.amdhsa_tg_split 0
		.amdhsa_exception_fp_ieee_invalid_op 0
		.amdhsa_exception_fp_denorm_src 0
		.amdhsa_exception_fp_ieee_div_zero 0
		.amdhsa_exception_fp_ieee_overflow 0
		.amdhsa_exception_fp_ieee_underflow 0
		.amdhsa_exception_fp_ieee_inexact 0
		.amdhsa_exception_int_div_zero 0
	.end_amdhsa_kernel
	.section	.text._ZN9rocsparseL29csrmvn_lrb_medium_rows_kernelILj256EiiaaffEEvbT0_PT1_S3_jNS_24const_host_device_scalarIT5_EEPKS1_PKS2_PKT2_PKT3_S6_PT4_21rocsparse_index_base_b,"axG",@progbits,_ZN9rocsparseL29csrmvn_lrb_medium_rows_kernelILj256EiiaaffEEvbT0_PT1_S3_jNS_24const_host_device_scalarIT5_EEPKS1_PKS2_PKT2_PKT3_S6_PT4_21rocsparse_index_base_b,comdat
.Lfunc_end102:
	.size	_ZN9rocsparseL29csrmvn_lrb_medium_rows_kernelILj256EiiaaffEEvbT0_PT1_S3_jNS_24const_host_device_scalarIT5_EEPKS1_PKS2_PKT2_PKT3_S6_PT4_21rocsparse_index_base_b, .Lfunc_end102-_ZN9rocsparseL29csrmvn_lrb_medium_rows_kernelILj256EiiaaffEEvbT0_PT1_S3_jNS_24const_host_device_scalarIT5_EEPKS1_PKS2_PKT2_PKT3_S6_PT4_21rocsparse_index_base_b
                                        ; -- End function
	.section	.AMDGPU.csdata,"",@progbits
; Kernel info:
; codeLenInByte = 924
; NumSgprs: 24
; NumVgprs: 10
; NumAgprs: 0
; TotalNumVgprs: 10
; ScratchSize: 0
; MemoryBound: 0
; FloatMode: 240
; IeeeMode: 1
; LDSByteSize: 1024 bytes/workgroup (compile time only)
; SGPRBlocks: 2
; VGPRBlocks: 1
; NumSGPRsForWavesPerEU: 24
; NumVGPRsForWavesPerEU: 10
; AccumOffset: 12
; Occupancy: 8
; WaveLimiterHint : 1
; COMPUTE_PGM_RSRC2:SCRATCH_EN: 0
; COMPUTE_PGM_RSRC2:USER_SGPR: 6
; COMPUTE_PGM_RSRC2:TRAP_HANDLER: 0
; COMPUTE_PGM_RSRC2:TGID_X_EN: 1
; COMPUTE_PGM_RSRC2:TGID_Y_EN: 0
; COMPUTE_PGM_RSRC2:TGID_Z_EN: 0
; COMPUTE_PGM_RSRC2:TIDIG_COMP_CNT: 0
; COMPUTE_PGM_RSRC3_GFX90A:ACCUM_OFFSET: 2
; COMPUTE_PGM_RSRC3_GFX90A:TG_SPLIT: 0
	.section	.text._ZN9rocsparseL27csrmvn_lrb_long_rows_kernelIiiaaffEEvbT_PjPT0_S4_jNS_24const_host_device_scalarIT4_EEPKS1_PKS3_PKT1_PKT2_S7_PT3_21rocsparse_index_base_b,"axG",@progbits,_ZN9rocsparseL27csrmvn_lrb_long_rows_kernelIiiaaffEEvbT_PjPT0_S4_jNS_24const_host_device_scalarIT4_EEPKS1_PKS3_PKT1_PKT2_S7_PT3_21rocsparse_index_base_b,comdat
	.globl	_ZN9rocsparseL27csrmvn_lrb_long_rows_kernelIiiaaffEEvbT_PjPT0_S4_jNS_24const_host_device_scalarIT4_EEPKS1_PKS3_PKT1_PKT2_S7_PT3_21rocsparse_index_base_b ; -- Begin function _ZN9rocsparseL27csrmvn_lrb_long_rows_kernelIiiaaffEEvbT_PjPT0_S4_jNS_24const_host_device_scalarIT4_EEPKS1_PKS3_PKT1_PKT2_S7_PT3_21rocsparse_index_base_b
	.p2align	8
	.type	_ZN9rocsparseL27csrmvn_lrb_long_rows_kernelIiiaaffEEvbT_PjPT0_S4_jNS_24const_host_device_scalarIT4_EEPKS1_PKS3_PKT1_PKT2_S7_PT3_21rocsparse_index_base_b,@function
_ZN9rocsparseL27csrmvn_lrb_long_rows_kernelIiiaaffEEvbT_PjPT0_S4_jNS_24const_host_device_scalarIT4_EEPKS1_PKS3_PKT1_PKT2_S7_PT3_21rocsparse_index_base_b: ; @_ZN9rocsparseL27csrmvn_lrb_long_rows_kernelIiiaaffEEvbT_PjPT0_S4_jNS_24const_host_device_scalarIT4_EEPKS1_PKS3_PKT1_PKT2_S7_PT3_21rocsparse_index_base_b
; %bb.0:
	s_load_dwordx2 s[16:17], s[4:5], 0x60
	s_load_dwordx2 s[18:19], s[4:5], 0x28
	;; [unrolled: 1-line block ×3, first 2 shown]
	s_waitcnt lgkmcnt(0)
	s_bitcmp1_b32 s17, 0
	s_cselect_b64 s[2:3], -1, 0
	s_xor_b64 s[0:1], s[2:3], -1
	s_and_b64 vcc, exec, s[2:3]
	s_cbranch_vccnz .LBB103_2
; %bb.1:
	s_load_dword s18, s[18:19], 0x0
.LBB103_2:
	s_andn2_b64 vcc, exec, s[0:1]
	s_cbranch_vccnz .LBB103_4
; %bb.3:
	s_load_dword s8, s[8:9], 0x0
.LBB103_4:
	s_waitcnt lgkmcnt(0)
	v_cmp_neq_f32_e64 s[0:1], s18, 0
	v_cmp_neq_f32_e64 s[2:3], s8, 1.0
	s_or_b64 s[0:1], s[0:1], s[2:3]
	s_andn2_b64 vcc, exec, s[0:1]
	s_mov_b32 s1, 0
	s_cbranch_vccnz .LBB103_39
; %bb.5:
	s_load_dword s0, s[4:5], 0x20
	s_load_dwordx2 s[2:3], s[4:5], 0x18
	v_mov_b32_e32 v4, 0
	s_waitcnt lgkmcnt(0)
	s_lshl_b64 s[10:11], s[0:1], 2
	s_add_u32 s10, s2, s10
	s_addc_u32 s11, s3, s11
	s_lshl_b32 s0, -1, s0
	s_not_b32 s0, s0
	s_mul_hi_u32 s0, s0, 0x2aaaaaab
	s_lshr_b32 s7, s0, 7
	s_add_i32 s9, s7, 1
	v_cvt_f32_u32_e32 v1, s9
	s_load_dwordx4 s[0:3], s[4:5], 0x8
	s_load_dword s12, s[10:11], 0x0
	s_not_b32 s7, s7
	v_rcp_iflag_f32_e32 v1, v1
	v_mul_f32_e32 v1, 0x4f7ffffe, v1
	v_cvt_u32_f32_e32 v1, v1
	v_readfirstlane_b32 s10, v1
	s_mul_i32 s7, s7, s10
	s_mul_hi_u32 s7, s10, s7
	s_add_i32 s10, s10, s7
	s_mul_hi_u32 s7, s6, s10
	s_mul_i32 s10, s7, s9
	s_sub_i32 s10, s6, s10
	s_add_i32 s11, s7, 1
	s_sub_i32 s13, s10, s9
	s_cmp_ge_u32 s10, s9
	s_cselect_b32 s7, s11, s7
	s_cselect_b32 s10, s13, s10
	s_add_i32 s11, s7, 1
	s_cmp_ge_u32 s10, s9
	s_cselect_b32 s7, s11, s7
	s_waitcnt lgkmcnt(0)
	s_add_i32 s10, s7, s12
	s_mul_i32 s14, s7, s9
	s_ashr_i32 s11, s10, 31
	s_sub_i32 s19, s6, s14
	s_lshl_b64 s[10:11], s[10:11], 2
	s_add_u32 s10, s2, s10
	s_addc_u32 s11, s3, s11
	s_load_dword s12, s[10:11], 0x0
	s_load_dwordx2 s[20:21], s[4:5], 0x30
	s_load_dwordx2 s[2:3], s[4:5], 0x58
	v_or_b32_e32 v1, s19, v0
	v_cmp_eq_u32_e32 vcc, 0, v1
	s_waitcnt lgkmcnt(0)
	s_ashr_i32 s13, s12, 31
	s_lshl_b64 s[12:13], s[12:13], 2
	s_add_u32 s10, s20, s12
	s_addc_u32 s11, s21, s13
	s_ashr_i32 s7, s6, 31
	s_lshl_b64 s[6:7], s[6:7], 2
	s_add_u32 s6, s0, s6
	s_addc_u32 s7, s1, s7
	s_load_dwordx2 s[10:11], s[10:11], 0x0
	s_nop 0
	s_load_dword s17, s[6:7], 0x0
	s_and_saveexec_b64 s[20:21], vcc
	s_cbranch_execz .LBB103_9
; %bb.6:
	s_add_u32 s24, s2, s12
	s_addc_u32 s25, s3, s13
	s_load_dword s24, s[24:25], 0x0
	s_mov_b64 s[22:23], exec
	v_mbcnt_lo_u32_b32 v2, s22, 0
	v_mbcnt_hi_u32_b32 v2, s23, v2
	v_add_f32_e64 v1, s8, -1.0
	v_cmp_eq_u32_e32 vcc, 0, v2
	s_waitcnt vmcnt(0) expcnt(0) lgkmcnt(0)
	s_and_saveexec_b64 s[8:9], vcc
	s_cbranch_execz .LBB103_8
; %bb.7:
	s_ashr_i32 s15, s14, 31
	s_lshl_b64 s[26:27], s[14:15], 2
	s_add_u32 s26, s0, s26
	s_addc_u32 s27, s1, s27
	s_bcnt1_i32_b64 s15, s[22:23]
	s_and_b32 s15, s15, 1
	v_mov_b32_e32 v2, 0
	v_mov_b32_e32 v3, s15
	global_atomic_xor v2, v3, s[26:27]
.LBB103_8:
	s_or_b64 exec, exec, s[8:9]
	v_mul_f32_e32 v4, s24, v1
.LBB103_9:
	s_or_b64 exec, exec, s[20:21]
	s_mul_i32 s8, s19, 0x300
	s_sub_i32 s8, s8, s16
	s_waitcnt lgkmcnt(0)
	s_add_i32 s8, s8, s10
	s_sub_i32 s9, s11, s16
	s_add_i32 s10, s8, 0x300
	s_min_i32 s15, s10, s9
	v_add_u32_e32 v2, s8, v0
	v_cmp_gt_i32_e32 vcc, s15, v2
	s_and_saveexec_b64 s[20:21], vcc
	s_cbranch_execz .LBB103_13
; %bb.10:
	s_load_dwordx4 s[8:11], s[4:5], 0x38
	s_load_dwordx2 s[22:23], s[4:5], 0x48
	s_mov_b64 s[4:5], 0
	s_waitcnt lgkmcnt(0)
	v_mov_b32_e32 v1, s11
	v_mov_b32_e32 v5, s9
	;; [unrolled: 1-line block ×3, first 2 shown]
.LBB103_11:                             ; =>This Inner Loop Header: Depth=1
	v_ashrrev_i32_e32 v3, 31, v2
	v_lshlrev_b64 v[8:9], 2, v[2:3]
	v_add_co_u32_e32 v8, vcc, s8, v8
	v_addc_co_u32_e32 v9, vcc, v5, v9, vcc
	global_load_dword v7, v[8:9], off
	v_add_co_u32_e32 v8, vcc, s10, v2
	v_addc_co_u32_e32 v9, vcc, v1, v3, vcc
	global_load_sbyte v3, v[8:9], off
	v_add_u32_e32 v2, 0x100, v2
	s_waitcnt vmcnt(1)
	v_subrev_u32_e32 v7, s16, v7
	v_ashrrev_i32_e32 v9, 31, v7
	v_add_co_u32_e32 v8, vcc, s22, v7
	v_addc_co_u32_e32 v9, vcc, v6, v9, vcc
	global_load_sbyte v7, v[8:9], off
	s_waitcnt vmcnt(1)
	v_cvt_f32_i32_e32 v3, v3
	v_cmp_le_i32_e32 vcc, s15, v2
	s_or_b64 s[4:5], vcc, s[4:5]
	v_mul_f32_e32 v3, s18, v3
	s_waitcnt vmcnt(0)
	v_cvt_f32_i32_e32 v7, v7
	v_fmac_f32_e32 v4, v3, v7
	s_andn2_b64 exec, exec, s[4:5]
	s_cbranch_execnz .LBB103_11
; %bb.12:
	s_or_b64 exec, exec, s[4:5]
.LBB103_13:
	s_or_b64 exec, exec, s[20:21]
	s_movk_i32 s4, 0x80
	v_lshlrev_b32_e32 v1, 2, v0
	v_cmp_gt_u32_e32 vcc, s4, v0
	ds_write_b32 v1, v4
	s_waitcnt lgkmcnt(0)
	s_barrier
	s_and_saveexec_b64 s[4:5], vcc
	s_cbranch_execz .LBB103_15
; %bb.14:
	ds_read2st64_b32 v[2:3], v1 offset1:2
	s_waitcnt lgkmcnt(0)
	v_add_f32_e32 v2, v2, v3
	ds_write_b32 v1, v2
.LBB103_15:
	s_or_b64 exec, exec, s[4:5]
	v_cmp_gt_u32_e32 vcc, 64, v0
	s_waitcnt lgkmcnt(0)
	s_barrier
	s_and_saveexec_b64 s[4:5], vcc
	s_cbranch_execz .LBB103_17
; %bb.16:
	ds_read2st64_b32 v[2:3], v1 offset1:1
	s_waitcnt lgkmcnt(0)
	v_add_f32_e32 v2, v2, v3
	ds_write_b32 v1, v2
.LBB103_17:
	s_or_b64 exec, exec, s[4:5]
	v_cmp_gt_u32_e32 vcc, 32, v0
	s_waitcnt lgkmcnt(0)
	s_barrier
	s_and_saveexec_b64 s[4:5], vcc
	s_cbranch_execz .LBB103_19
; %bb.18:
	ds_read2_b32 v[2:3], v1 offset1:32
	s_waitcnt lgkmcnt(0)
	v_add_f32_e32 v2, v2, v3
	ds_write_b32 v1, v2
.LBB103_19:
	s_or_b64 exec, exec, s[4:5]
	v_cmp_gt_u32_e32 vcc, 16, v0
	s_waitcnt lgkmcnt(0)
	s_barrier
	s_and_saveexec_b64 s[4:5], vcc
	s_cbranch_execz .LBB103_21
; %bb.20:
	ds_read2_b32 v[2:3], v1 offset1:16
	s_waitcnt lgkmcnt(0)
	v_add_f32_e32 v2, v2, v3
	ds_write_b32 v1, v2
.LBB103_21:
	;; [unrolled: 12-line block ×5, first 2 shown]
	s_or_b64 exec, exec, s[4:5]
	v_cmp_eq_u32_e32 vcc, 0, v0
	s_waitcnt lgkmcnt(0)
	s_barrier
	s_and_saveexec_b64 s[4:5], vcc
	s_cbranch_execz .LBB103_29
; %bb.28:
	v_mov_b32_e32 v2, 0
	ds_read_b64 v[0:1], v2
	s_waitcnt lgkmcnt(0)
	v_add_f32_e32 v0, v0, v1
	ds_write_b32 v2, v0
.LBB103_29:
	s_or_b64 exec, exec, s[4:5]
	s_waitcnt lgkmcnt(0)
	s_barrier
	s_and_saveexec_b64 s[4:5], vcc
	s_cbranch_execz .LBB103_39
; %bb.30:
	s_cmp_eq_u32 s19, 0
	s_cbranch_scc1 .LBB103_36
; %bb.31:
	s_ashr_i32 s15, s14, 31
	s_lshl_b64 s[4:5], s[14:15], 2
	s_add_u32 s0, s0, s4
	s_addc_u32 s1, s1, s5
	v_mov_b32_e32 v0, 0
	s_branch .LBB103_33
.LBB103_32:                             ;   in Loop: Header=BB103_33 Depth=1
	s_or_b64 exec, exec, s[4:5]
	s_waitcnt vmcnt(0)
	v_readfirstlane_b32 s4, v1
	s_cmp_eq_u32 s4, s17
	s_cbranch_scc0 .LBB103_35
.LBB103_33:                             ; =>This Inner Loop Header: Depth=1
	v_mbcnt_lo_u32_b32 v1, exec_lo, 0
	v_mbcnt_hi_u32_b32 v1, exec_hi, v1
	v_cmp_eq_u32_e32 vcc, 0, v1
                                        ; implicit-def: $vgpr1
	s_and_saveexec_b64 s[4:5], vcc
	s_cbranch_execz .LBB103_32
; %bb.34:                               ;   in Loop: Header=BB103_33 Depth=1
	global_load_dword v1, v0, s[0:1] glc
	s_branch .LBB103_32
.LBB103_35:
	v_mov_b32_e32 v0, 0
	global_load_dword v1, v0, s[6:7]
	s_waitcnt vmcnt(0)
	v_xor_b32_e32 v1, 1, v1
	global_store_dword v0, v1, s[6:7]
.LBB103_36:
	s_mov_b64 s[4:5], exec
	v_mbcnt_lo_u32_b32 v0, s4, 0
	v_mbcnt_hi_u32_b32 v0, s5, v0
	v_cmp_eq_u32_e32 vcc, 0, v0
	s_and_b64 s[0:1], exec, vcc
	s_mov_b64 exec, s[0:1]
	s_cbranch_execz .LBB103_39
; %bb.37:
	s_add_u32 s0, s2, s12
	s_addc_u32 s1, s3, s13
	v_mov_b32_e32 v2, 0
	global_load_dword v1, v2, s[0:1]
	ds_read_b32 v0, v2
	s_bcnt1_i32_b64 s2, s[4:5]
	v_cvt_f32_ubyte0_e32 v3, s2
	s_mov_b64 s[2:3], 0
	s_waitcnt lgkmcnt(0)
	v_mul_f32_e32 v3, v0, v3
.LBB103_38:                             ; =>This Inner Loop Header: Depth=1
	s_waitcnt vmcnt(0)
	v_add_f32_e32 v0, v1, v3
	global_atomic_cmpswap v0, v2, v[0:1], s[0:1] glc
	s_waitcnt vmcnt(0)
	v_cmp_eq_u32_e32 vcc, v0, v1
	s_or_b64 s[2:3], vcc, s[2:3]
	v_mov_b32_e32 v1, v0
	s_andn2_b64 exec, exec, s[2:3]
	s_cbranch_execnz .LBB103_38
.LBB103_39:
	s_endpgm
	.section	.rodata,"a",@progbits
	.p2align	6, 0x0
	.amdhsa_kernel _ZN9rocsparseL27csrmvn_lrb_long_rows_kernelIiiaaffEEvbT_PjPT0_S4_jNS_24const_host_device_scalarIT4_EEPKS1_PKS3_PKT1_PKT2_S7_PT3_21rocsparse_index_base_b
		.amdhsa_group_segment_fixed_size 1024
		.amdhsa_private_segment_fixed_size 0
		.amdhsa_kernarg_size 104
		.amdhsa_user_sgpr_count 6
		.amdhsa_user_sgpr_private_segment_buffer 1
		.amdhsa_user_sgpr_dispatch_ptr 0
		.amdhsa_user_sgpr_queue_ptr 0
		.amdhsa_user_sgpr_kernarg_segment_ptr 1
		.amdhsa_user_sgpr_dispatch_id 0
		.amdhsa_user_sgpr_flat_scratch_init 0
		.amdhsa_user_sgpr_kernarg_preload_length 0
		.amdhsa_user_sgpr_kernarg_preload_offset 0
		.amdhsa_user_sgpr_private_segment_size 0
		.amdhsa_uses_dynamic_stack 0
		.amdhsa_system_sgpr_private_segment_wavefront_offset 0
		.amdhsa_system_sgpr_workgroup_id_x 1
		.amdhsa_system_sgpr_workgroup_id_y 0
		.amdhsa_system_sgpr_workgroup_id_z 0
		.amdhsa_system_sgpr_workgroup_info 0
		.amdhsa_system_vgpr_workitem_id 0
		.amdhsa_next_free_vgpr 10
		.amdhsa_next_free_sgpr 28
		.amdhsa_accum_offset 12
		.amdhsa_reserve_vcc 1
		.amdhsa_reserve_flat_scratch 0
		.amdhsa_float_round_mode_32 0
		.amdhsa_float_round_mode_16_64 0
		.amdhsa_float_denorm_mode_32 3
		.amdhsa_float_denorm_mode_16_64 3
		.amdhsa_dx10_clamp 1
		.amdhsa_ieee_mode 1
		.amdhsa_fp16_overflow 0
		.amdhsa_tg_split 0
		.amdhsa_exception_fp_ieee_invalid_op 0
		.amdhsa_exception_fp_denorm_src 0
		.amdhsa_exception_fp_ieee_div_zero 0
		.amdhsa_exception_fp_ieee_overflow 0
		.amdhsa_exception_fp_ieee_underflow 0
		.amdhsa_exception_fp_ieee_inexact 0
		.amdhsa_exception_int_div_zero 0
	.end_amdhsa_kernel
	.section	.text._ZN9rocsparseL27csrmvn_lrb_long_rows_kernelIiiaaffEEvbT_PjPT0_S4_jNS_24const_host_device_scalarIT4_EEPKS1_PKS3_PKT1_PKT2_S7_PT3_21rocsparse_index_base_b,"axG",@progbits,_ZN9rocsparseL27csrmvn_lrb_long_rows_kernelIiiaaffEEvbT_PjPT0_S4_jNS_24const_host_device_scalarIT4_EEPKS1_PKS3_PKT1_PKT2_S7_PT3_21rocsparse_index_base_b,comdat
.Lfunc_end103:
	.size	_ZN9rocsparseL27csrmvn_lrb_long_rows_kernelIiiaaffEEvbT_PjPT0_S4_jNS_24const_host_device_scalarIT4_EEPKS1_PKS3_PKT1_PKT2_S7_PT3_21rocsparse_index_base_b, .Lfunc_end103-_ZN9rocsparseL27csrmvn_lrb_long_rows_kernelIiiaaffEEvbT_PjPT0_S4_jNS_24const_host_device_scalarIT4_EEPKS1_PKS3_PKT1_PKT2_S7_PT3_21rocsparse_index_base_b
                                        ; -- End function
	.section	.AMDGPU.csdata,"",@progbits
; Kernel info:
; codeLenInByte = 1392
; NumSgprs: 32
; NumVgprs: 10
; NumAgprs: 0
; TotalNumVgprs: 10
; ScratchSize: 0
; MemoryBound: 0
; FloatMode: 240
; IeeeMode: 1
; LDSByteSize: 1024 bytes/workgroup (compile time only)
; SGPRBlocks: 3
; VGPRBlocks: 1
; NumSGPRsForWavesPerEU: 32
; NumVGPRsForWavesPerEU: 10
; AccumOffset: 12
; Occupancy: 8
; WaveLimiterHint : 1
; COMPUTE_PGM_RSRC2:SCRATCH_EN: 0
; COMPUTE_PGM_RSRC2:USER_SGPR: 6
; COMPUTE_PGM_RSRC2:TRAP_HANDLER: 0
; COMPUTE_PGM_RSRC2:TGID_X_EN: 1
; COMPUTE_PGM_RSRC2:TGID_Y_EN: 0
; COMPUTE_PGM_RSRC2:TGID_Z_EN: 0
; COMPUTE_PGM_RSRC2:TIDIG_COMP_CNT: 0
; COMPUTE_PGM_RSRC3_GFX90A:ACCUM_OFFSET: 2
; COMPUTE_PGM_RSRC3_GFX90A:TG_SPLIT: 0
	.section	.text._ZN9rocsparseL28csrmvn_lrb_short_rows_kernelIliaaffEEvbT_PT0_S3_jNS_24const_host_device_scalarIT4_EEPKS1_PKS2_PKT1_PKT2_S6_PT3_21rocsparse_index_base_b,"axG",@progbits,_ZN9rocsparseL28csrmvn_lrb_short_rows_kernelIliaaffEEvbT_PT0_S3_jNS_24const_host_device_scalarIT4_EEPKS1_PKS2_PKT1_PKT2_S6_PT3_21rocsparse_index_base_b,comdat
	.globl	_ZN9rocsparseL28csrmvn_lrb_short_rows_kernelIliaaffEEvbT_PT0_S3_jNS_24const_host_device_scalarIT4_EEPKS1_PKS2_PKT1_PKT2_S6_PT3_21rocsparse_index_base_b ; -- Begin function _ZN9rocsparseL28csrmvn_lrb_short_rows_kernelIliaaffEEvbT_PT0_S3_jNS_24const_host_device_scalarIT4_EEPKS1_PKS2_PKT1_PKT2_S6_PT3_21rocsparse_index_base_b
	.p2align	8
	.type	_ZN9rocsparseL28csrmvn_lrb_short_rows_kernelIliaaffEEvbT_PT0_S3_jNS_24const_host_device_scalarIT4_EEPKS1_PKS2_PKT1_PKT2_S6_PT3_21rocsparse_index_base_b,@function
_ZN9rocsparseL28csrmvn_lrb_short_rows_kernelIliaaffEEvbT_PT0_S3_jNS_24const_host_device_scalarIT4_EEPKS1_PKS2_PKT1_PKT2_S6_PT3_21rocsparse_index_base_b: ; @_ZN9rocsparseL28csrmvn_lrb_short_rows_kernelIliaaffEEvbT_PT0_S3_jNS_24const_host_device_scalarIT4_EEPKS1_PKS2_PKT1_PKT2_S6_PT3_21rocsparse_index_base_b
; %bb.0:
	s_load_dwordx2 s[20:21], s[4:5], 0x60
	s_load_dwordx2 s[22:23], s[4:5], 0x28
	;; [unrolled: 1-line block ×3, first 2 shown]
	s_waitcnt lgkmcnt(0)
	s_bitcmp1_b32 s21, 0
	s_cselect_b64 s[2:3], -1, 0
	s_xor_b64 s[0:1], s[2:3], -1
	s_and_b64 vcc, exec, s[2:3]
	s_cbranch_vccnz .LBB104_2
; %bb.1:
	s_load_dword s22, s[22:23], 0x0
.LBB104_2:
	s_andn2_b64 vcc, exec, s[0:1]
	s_cbranch_vccnz .LBB104_4
; %bb.3:
	s_load_dword s16, s[16:17], 0x0
.LBB104_4:
	s_waitcnt lgkmcnt(0)
	v_cmp_neq_f32_e64 s[0:1], s22, 0
	v_cmp_neq_f32_e64 s[2:3], s16, 1.0
	s_or_b64 s[0:1], s[0:1], s[2:3]
	s_andn2_b64 vcc, exec, s[0:1]
	s_mov_b32 s19, 0
	s_cbranch_vccnz .LBB104_18
; %bb.5:
	s_load_dword s18, s[4:5], 0x20
	s_load_dwordx4 s[0:3], s[4:5], 0x10
	s_mov_b32 s9, s19
	s_waitcnt lgkmcnt(0)
	s_lshl_b64 s[10:11], s[18:19], 2
	s_add_u32 s10, s2, s10
	s_addc_u32 s11, s3, s11
	s_add_i32 s8, s18, 1
	s_lshl_b64 s[8:9], s[8:9], 2
	s_add_u32 s2, s2, s8
	s_addc_u32 s3, s3, s9
	s_load_dword s17, s[10:11], 0x0
	s_load_dword s7, s[2:3], 0x0
	s_lshl_b32 s19, s6, 8
	s_add_i32 s3, s19, 0x100
	s_waitcnt lgkmcnt(0)
	s_sub_i32 s2, s7, s17
	s_min_u32 s21, s2, s3
	s_cmp_gt_u32 s18, 23
	s_cbranch_scc1 .LBB104_12
; %bb.6:
	s_load_dwordx8 s[8:15], s[4:5], 0x30
	s_mov_b32 s24, 0
	v_mov_b32_e32 v9, 0
	s_lshl_b32 s23, 0x100, s18
	v_bfe_u32 v6, v0, 0, s18
	v_mov_b32_e32 v7, v9
	v_lshl_add_u32 v1, v0, 2, 0
	s_mov_b32 s25, s24
	s_branch .LBB104_9
.LBB104_7:                              ;   in Loop: Header=BB104_9 Depth=1
	s_or_b64 exec, exec, s[6:7]
	ds_write_b32 v1, v4
.LBB104_8:                              ;   in Loop: Header=BB104_9 Depth=1
	s_or_b64 exec, exec, s[2:3]
	s_addk_i32 s25, 0x100
	s_cmp_ge_u32 s25, s23
	v_add_u32_e32 v1, 0x400, v1
	s_cbranch_scc1 .LBB104_12
.LBB104_9:                              ; =>This Inner Loop Header: Depth=1
	v_add_u32_e32 v2, s25, v0
	v_lshrrev_b32_e32 v2, s18, v2
	v_add_u32_e32 v2, s19, v2
	v_cmp_gt_u32_e32 vcc, s21, v2
	s_and_saveexec_b64 s[2:3], vcc
	s_cbranch_execz .LBB104_8
; %bb.10:                               ;   in Loop: Header=BB104_9 Depth=1
	v_add_u32_e32 v8, s17, v2
	v_lshlrev_b64 v[2:3], 2, v[8:9]
	v_mov_b32_e32 v4, s1
	v_add_co_u32_e32 v2, vcc, s0, v2
	v_addc_co_u32_e32 v3, vcc, v4, v3, vcc
	global_load_dword v2, v[2:3], off
	s_waitcnt lgkmcnt(0)
	v_mov_b32_e32 v4, s9
	s_waitcnt vmcnt(0)
	v_ashrrev_i32_e32 v3, 31, v2
	v_lshlrev_b64 v[2:3], 3, v[2:3]
	v_add_co_u32_e32 v2, vcc, s8, v2
	v_addc_co_u32_e32 v3, vcc, v4, v3, vcc
	global_load_dwordx4 v[2:5], v[2:3], off
	s_waitcnt vmcnt(0)
	v_sub_co_u32_e32 v4, vcc, v4, v2
	v_subb_co_u32_e32 v5, vcc, v5, v3, vcc
	v_cmp_gt_i64_e32 vcc, v[4:5], v[6:7]
	v_mov_b32_e32 v4, 0
	s_and_saveexec_b64 s[6:7], vcc
	s_cbranch_execz .LBB104_7
; %bb.11:                               ;   in Loop: Header=BB104_9 Depth=1
	v_mov_b32_e32 v4, s24
	v_subrev_co_u32_e32 v2, vcc, s20, v2
	v_subb_co_u32_e32 v3, vcc, v3, v4, vcc
	v_add_co_u32_e32 v2, vcc, v2, v6
	v_addc_co_u32_e32 v3, vcc, 0, v3, vcc
	v_lshlrev_b64 v[4:5], 2, v[2:3]
	v_mov_b32_e32 v8, s11
	v_add_co_u32_e32 v4, vcc, s10, v4
	v_addc_co_u32_e32 v5, vcc, v8, v5, vcc
	global_load_dword v4, v[4:5], off
	v_mov_b32_e32 v5, s13
	v_add_co_u32_e32 v2, vcc, s12, v2
	v_addc_co_u32_e32 v3, vcc, v5, v3, vcc
	global_load_sbyte v5, v[2:3], off
	v_mov_b32_e32 v8, s15
	s_waitcnt vmcnt(1)
	v_subrev_u32_e32 v2, s20, v4
	v_ashrrev_i32_e32 v3, 31, v2
	v_add_co_u32_e32 v2, vcc, s14, v2
	v_addc_co_u32_e32 v3, vcc, v8, v3, vcc
	global_load_sbyte v2, v[2:3], off
	s_waitcnt vmcnt(1)
	v_cvt_f32_i32_e32 v3, v5
	v_mul_f32_e32 v3, s22, v3
	s_waitcnt vmcnt(0)
	v_cvt_f32_i32_e32 v2, v2
	v_mul_f32_e32 v4, v3, v2
	s_branch .LBB104_7
.LBB104_12:
	s_sub_i32 s2, s21, s19
	v_cmp_gt_u32_e32 vcc, s2, v0
	s_waitcnt lgkmcnt(0)
	s_barrier
	s_and_saveexec_b64 s[2:3], vcc
	s_cbranch_execz .LBB104_18
; %bb.13:
	s_add_i32 s17, s17, s19
	v_add_u32_e32 v2, s17, v0
	v_mov_b32_e32 v3, 0
	v_lshlrev_b64 v[4:5], 2, v[2:3]
	v_mov_b32_e32 v1, s1
	v_add_co_u32_e32 v4, vcc, s0, v4
	v_addc_co_u32_e32 v5, vcc, v1, v5, vcc
	global_load_dword v4, v[4:5], off
	s_load_dwordx2 s[0:1], s[4:5], 0x58
	v_lshlrev_b32_e32 v0, s18, v0
	v_lshl_add_u32 v0, v0, 2, 0
	s_mov_b32 s2, 1
.LBB104_14:                             ; =>This Inner Loop Header: Depth=1
	ds_read_b32 v1, v0
	s_lshr_b32 s3, s2, s18
	s_add_i32 s2, s2, 1
	v_add_u32_e32 v0, 4, v0
	s_cmp_lg_u32 s3, 0
	s_waitcnt lgkmcnt(0)
	v_add_f32_e32 v3, v3, v1
	s_cbranch_scc0 .LBB104_14
; %bb.15:
	v_cmp_neq_f32_e64 s[2:3], s16, 0
	s_waitcnt vmcnt(0)
	v_ashrrev_i32_e32 v5, 31, v4
	s_and_b64 vcc, exec, s[2:3]
	v_lshlrev_b64 v[0:1], 2, v[4:5]
	s_cbranch_vccz .LBB104_17
; %bb.16:
	v_mov_b32_e32 v2, s1
	v_add_co_u32_e32 v4, vcc, s0, v0
	v_addc_co_u32_e32 v5, vcc, v2, v1, vcc
	global_load_dword v2, v[4:5], off
	s_waitcnt vmcnt(0)
	v_fmac_f32_e32 v3, s16, v2
.LBB104_17:
	v_mov_b32_e32 v2, s1
	v_add_co_u32_e32 v0, vcc, s0, v0
	v_addc_co_u32_e32 v1, vcc, v2, v1, vcc
	global_store_dword v[0:1], v3, off
.LBB104_18:
	s_endpgm
	.section	.rodata,"a",@progbits
	.p2align	6, 0x0
	.amdhsa_kernel _ZN9rocsparseL28csrmvn_lrb_short_rows_kernelIliaaffEEvbT_PT0_S3_jNS_24const_host_device_scalarIT4_EEPKS1_PKS2_PKT1_PKT2_S6_PT3_21rocsparse_index_base_b
		.amdhsa_group_segment_fixed_size 0
		.amdhsa_private_segment_fixed_size 0
		.amdhsa_kernarg_size 104
		.amdhsa_user_sgpr_count 6
		.amdhsa_user_sgpr_private_segment_buffer 1
		.amdhsa_user_sgpr_dispatch_ptr 0
		.amdhsa_user_sgpr_queue_ptr 0
		.amdhsa_user_sgpr_kernarg_segment_ptr 1
		.amdhsa_user_sgpr_dispatch_id 0
		.amdhsa_user_sgpr_flat_scratch_init 0
		.amdhsa_user_sgpr_kernarg_preload_length 0
		.amdhsa_user_sgpr_kernarg_preload_offset 0
		.amdhsa_user_sgpr_private_segment_size 0
		.amdhsa_uses_dynamic_stack 0
		.amdhsa_system_sgpr_private_segment_wavefront_offset 0
		.amdhsa_system_sgpr_workgroup_id_x 1
		.amdhsa_system_sgpr_workgroup_id_y 0
		.amdhsa_system_sgpr_workgroup_id_z 0
		.amdhsa_system_sgpr_workgroup_info 0
		.amdhsa_system_vgpr_workitem_id 0
		.amdhsa_next_free_vgpr 10
		.amdhsa_next_free_sgpr 26
		.amdhsa_accum_offset 12
		.amdhsa_reserve_vcc 1
		.amdhsa_reserve_flat_scratch 0
		.amdhsa_float_round_mode_32 0
		.amdhsa_float_round_mode_16_64 0
		.amdhsa_float_denorm_mode_32 3
		.amdhsa_float_denorm_mode_16_64 3
		.amdhsa_dx10_clamp 1
		.amdhsa_ieee_mode 1
		.amdhsa_fp16_overflow 0
		.amdhsa_tg_split 0
		.amdhsa_exception_fp_ieee_invalid_op 0
		.amdhsa_exception_fp_denorm_src 0
		.amdhsa_exception_fp_ieee_div_zero 0
		.amdhsa_exception_fp_ieee_overflow 0
		.amdhsa_exception_fp_ieee_underflow 0
		.amdhsa_exception_fp_ieee_inexact 0
		.amdhsa_exception_int_div_zero 0
	.end_amdhsa_kernel
	.section	.text._ZN9rocsparseL28csrmvn_lrb_short_rows_kernelIliaaffEEvbT_PT0_S3_jNS_24const_host_device_scalarIT4_EEPKS1_PKS2_PKT1_PKT2_S6_PT3_21rocsparse_index_base_b,"axG",@progbits,_ZN9rocsparseL28csrmvn_lrb_short_rows_kernelIliaaffEEvbT_PT0_S3_jNS_24const_host_device_scalarIT4_EEPKS1_PKS2_PKT1_PKT2_S6_PT3_21rocsparse_index_base_b,comdat
.Lfunc_end104:
	.size	_ZN9rocsparseL28csrmvn_lrb_short_rows_kernelIliaaffEEvbT_PT0_S3_jNS_24const_host_device_scalarIT4_EEPKS1_PKS2_PKT1_PKT2_S6_PT3_21rocsparse_index_base_b, .Lfunc_end104-_ZN9rocsparseL28csrmvn_lrb_short_rows_kernelIliaaffEEvbT_PT0_S3_jNS_24const_host_device_scalarIT4_EEPKS1_PKS2_PKT1_PKT2_S6_PT3_21rocsparse_index_base_b
                                        ; -- End function
	.section	.AMDGPU.csdata,"",@progbits
; Kernel info:
; codeLenInByte = 756
; NumSgprs: 30
; NumVgprs: 10
; NumAgprs: 0
; TotalNumVgprs: 10
; ScratchSize: 0
; MemoryBound: 0
; FloatMode: 240
; IeeeMode: 1
; LDSByteSize: 0 bytes/workgroup (compile time only)
; SGPRBlocks: 3
; VGPRBlocks: 1
; NumSGPRsForWavesPerEU: 30
; NumVGPRsForWavesPerEU: 10
; AccumOffset: 12
; Occupancy: 8
; WaveLimiterHint : 1
; COMPUTE_PGM_RSRC2:SCRATCH_EN: 0
; COMPUTE_PGM_RSRC2:USER_SGPR: 6
; COMPUTE_PGM_RSRC2:TRAP_HANDLER: 0
; COMPUTE_PGM_RSRC2:TGID_X_EN: 1
; COMPUTE_PGM_RSRC2:TGID_Y_EN: 0
; COMPUTE_PGM_RSRC2:TGID_Z_EN: 0
; COMPUTE_PGM_RSRC2:TIDIG_COMP_CNT: 0
; COMPUTE_PGM_RSRC3_GFX90A:ACCUM_OFFSET: 2
; COMPUTE_PGM_RSRC3_GFX90A:TG_SPLIT: 0
	.section	.text._ZN9rocsparseL30csrmvn_lrb_short_rows_2_kernelIliaaffEEvbT_PT0_S3_jNS_24const_host_device_scalarIT4_EEPKS1_PKS2_PKT1_PKT2_S6_PT3_21rocsparse_index_base_b,"axG",@progbits,_ZN9rocsparseL30csrmvn_lrb_short_rows_2_kernelIliaaffEEvbT_PT0_S3_jNS_24const_host_device_scalarIT4_EEPKS1_PKS2_PKT1_PKT2_S6_PT3_21rocsparse_index_base_b,comdat
	.globl	_ZN9rocsparseL30csrmvn_lrb_short_rows_2_kernelIliaaffEEvbT_PT0_S3_jNS_24const_host_device_scalarIT4_EEPKS1_PKS2_PKT1_PKT2_S6_PT3_21rocsparse_index_base_b ; -- Begin function _ZN9rocsparseL30csrmvn_lrb_short_rows_2_kernelIliaaffEEvbT_PT0_S3_jNS_24const_host_device_scalarIT4_EEPKS1_PKS2_PKT1_PKT2_S6_PT3_21rocsparse_index_base_b
	.p2align	8
	.type	_ZN9rocsparseL30csrmvn_lrb_short_rows_2_kernelIliaaffEEvbT_PT0_S3_jNS_24const_host_device_scalarIT4_EEPKS1_PKS2_PKT1_PKT2_S6_PT3_21rocsparse_index_base_b,@function
_ZN9rocsparseL30csrmvn_lrb_short_rows_2_kernelIliaaffEEvbT_PT0_S3_jNS_24const_host_device_scalarIT4_EEPKS1_PKS2_PKT1_PKT2_S6_PT3_21rocsparse_index_base_b: ; @_ZN9rocsparseL30csrmvn_lrb_short_rows_2_kernelIliaaffEEvbT_PT0_S3_jNS_24const_host_device_scalarIT4_EEPKS1_PKS2_PKT1_PKT2_S6_PT3_21rocsparse_index_base_b
; %bb.0:
	s_load_dwordx2 s[22:23], s[4:5], 0x60
	s_load_dwordx2 s[20:21], s[4:5], 0x28
	;; [unrolled: 1-line block ×3, first 2 shown]
	s_waitcnt lgkmcnt(0)
	s_bitcmp1_b32 s23, 0
	s_cselect_b64 s[2:3], -1, 0
	s_xor_b64 s[0:1], s[2:3], -1
	s_and_b64 vcc, exec, s[2:3]
	s_cbranch_vccnz .LBB105_2
; %bb.1:
	s_load_dword s20, s[20:21], 0x0
.LBB105_2:
	s_andn2_b64 vcc, exec, s[0:1]
	s_cbranch_vccnz .LBB105_4
; %bb.3:
	s_load_dword s16, s[16:17], 0x0
.LBB105_4:
	s_waitcnt lgkmcnt(0)
	v_cmp_neq_f32_e64 s[0:1], s20, 0
	v_cmp_neq_f32_e64 s[2:3], s16, 1.0
	s_or_b64 s[0:1], s[0:1], s[2:3]
	s_andn2_b64 vcc, exec, s[0:1]
	s_mov_b32 s19, 0
	s_cbranch_vccnz .LBB105_30
; %bb.5:
	s_load_dword s18, s[4:5], 0x20
	s_load_dwordx4 s[0:3], s[4:5], 0x10
	s_mov_b32 s9, s19
	v_mov_b32_e32 v7, 0
	s_waitcnt lgkmcnt(0)
	s_lshl_b64 s[10:11], s[18:19], 2
	s_add_u32 s24, s2, s10
	s_addc_u32 s25, s3, s11
	s_add_i32 s8, s18, 1
	s_lshl_b64 s[8:9], s[8:9], 2
	s_add_u32 s26, s2, s8
	s_addc_u32 s27, s3, s9
	s_load_dword s19, s[24:25], 0x0
	s_load_dword s7, s[26:27], 0x0
	s_load_dwordx2 s[2:3], s[4:5], 0x58
	s_load_dwordx8 s[8:15], s[4:5], 0x30
	s_lshr_b32 s17, 0x400, s18
	s_mul_i32 s21, s17, s6
	s_waitcnt lgkmcnt(0)
	s_sub_i32 s4, s7, s19
	s_add_i32 s5, s21, s17
	v_lshrrev_b32_e32 v1, s18, v0
	s_min_u32 s23, s4, s5
	v_add_u32_e32 v1, s21, v1
	v_bfe_u32 v6, v0, 0, s18
	v_cmp_gt_u32_e32 vcc, s23, v1
	s_and_saveexec_b64 s[4:5], vcc
	s_cbranch_execz .LBB105_9
; %bb.6:
	v_add_u32_e32 v2, s19, v1
	v_mov_b32_e32 v3, v7
	v_lshlrev_b64 v[2:3], 2, v[2:3]
	v_mov_b32_e32 v1, s1
	v_add_co_u32_e32 v2, vcc, s0, v2
	v_addc_co_u32_e32 v3, vcc, v1, v3, vcc
	global_load_dword v2, v[2:3], off
	v_mov_b32_e32 v1, s9
	s_waitcnt vmcnt(0)
	v_ashrrev_i32_e32 v3, 31, v2
	v_lshlrev_b64 v[2:3], 3, v[2:3]
	v_add_co_u32_e32 v2, vcc, s8, v2
	v_addc_co_u32_e32 v3, vcc, v1, v3, vcc
	global_load_dwordx4 v[2:5], v[2:3], off
	v_mov_b32_e32 v1, v7
	s_waitcnt vmcnt(0)
	v_sub_co_u32_e32 v4, vcc, v4, v2
	v_subb_co_u32_e32 v5, vcc, v5, v3, vcc
	v_cmp_gt_i64_e32 vcc, v[4:5], v[6:7]
	s_and_saveexec_b64 s[6:7], vcc
	s_cbranch_execz .LBB105_8
; %bb.7:
	v_subrev_co_u32_e32 v1, vcc, s22, v2
	v_subbrev_co_u32_e32 v3, vcc, 0, v3, vcc
	v_add_co_u32_e32 v2, vcc, v1, v6
	v_addc_co_u32_e32 v3, vcc, 0, v3, vcc
	v_lshlrev_b64 v[4:5], 2, v[2:3]
	v_mov_b32_e32 v1, s11
	v_add_co_u32_e32 v4, vcc, s10, v4
	v_addc_co_u32_e32 v5, vcc, v1, v5, vcc
	global_load_dword v1, v[4:5], off
	v_mov_b32_e32 v4, s13
	v_add_co_u32_e32 v2, vcc, s12, v2
	v_addc_co_u32_e32 v3, vcc, v4, v3, vcc
	v_mov_b32_e32 v5, s15
	global_load_sbyte v4, v[2:3], off
	s_waitcnt vmcnt(1)
	v_subrev_u32_e32 v1, s22, v1
	v_ashrrev_i32_e32 v3, 31, v1
	v_add_co_u32_e32 v2, vcc, s14, v1
	v_addc_co_u32_e32 v3, vcc, v5, v3, vcc
	global_load_sbyte v1, v[2:3], off
	s_waitcnt vmcnt(1)
	v_cvt_f32_i32_e32 v2, v4
	v_mul_f32_e32 v2, s20, v2
	s_waitcnt vmcnt(0)
	v_cvt_f32_i32_e32 v1, v1
	v_mul_f32_e32 v1, v2, v1
.LBB105_8:
	s_or_b64 exec, exec, s[6:7]
	v_lshlrev_b32_e32 v2, 2, v0
	ds_write_b32 v2, v1
.LBB105_9:
	s_or_b64 exec, exec, s[4:5]
	v_or_b32_e32 v1, 0x100, v0
	v_lshrrev_b32_e32 v1, s18, v1
	v_add_u32_e32 v1, s21, v1
	v_cmp_gt_u32_e32 vcc, s23, v1
	s_and_saveexec_b64 s[4:5], vcc
	s_cbranch_execz .LBB105_13
; %bb.10:
	v_add_u32_e32 v8, s19, v1
	v_mov_b32_e32 v9, 0
	v_lshlrev_b64 v[2:3], 2, v[8:9]
	v_mov_b32_e32 v1, s1
	v_add_co_u32_e32 v2, vcc, s0, v2
	v_addc_co_u32_e32 v3, vcc, v1, v3, vcc
	global_load_dword v2, v[2:3], off
	v_mov_b32_e32 v1, s9
	s_waitcnt vmcnt(0)
	v_ashrrev_i32_e32 v3, 31, v2
	v_lshlrev_b64 v[2:3], 3, v[2:3]
	v_add_co_u32_e32 v2, vcc, s8, v2
	v_addc_co_u32_e32 v3, vcc, v1, v3, vcc
	global_load_dwordx4 v[2:5], v[2:3], off
	s_waitcnt vmcnt(0)
	v_sub_co_u32_e32 v4, vcc, v4, v2
	v_subb_co_u32_e32 v5, vcc, v5, v3, vcc
	v_cmp_gt_i64_e32 vcc, v[4:5], v[6:7]
	s_and_saveexec_b64 s[6:7], vcc
	s_cbranch_execz .LBB105_12
; %bb.11:
	v_subrev_co_u32_e32 v1, vcc, s22, v2
	v_subbrev_co_u32_e32 v3, vcc, 0, v3, vcc
	v_add_co_u32_e32 v2, vcc, v1, v6
	v_addc_co_u32_e32 v3, vcc, 0, v3, vcc
	v_lshlrev_b64 v[4:5], 2, v[2:3]
	v_mov_b32_e32 v1, s11
	v_add_co_u32_e32 v4, vcc, s10, v4
	v_addc_co_u32_e32 v5, vcc, v1, v5, vcc
	global_load_dword v1, v[4:5], off
	v_mov_b32_e32 v4, s13
	v_add_co_u32_e32 v2, vcc, s12, v2
	v_addc_co_u32_e32 v3, vcc, v4, v3, vcc
	v_mov_b32_e32 v5, s15
	global_load_sbyte v4, v[2:3], off
	s_waitcnt vmcnt(1)
	v_subrev_u32_e32 v1, s22, v1
	v_ashrrev_i32_e32 v3, 31, v1
	v_add_co_u32_e32 v2, vcc, s14, v1
	v_addc_co_u32_e32 v3, vcc, v5, v3, vcc
	global_load_sbyte v1, v[2:3], off
	s_waitcnt vmcnt(1)
	v_cvt_f32_i32_e32 v2, v4
	v_mul_f32_e32 v2, s20, v2
	s_waitcnt vmcnt(0)
	v_cvt_f32_i32_e32 v1, v1
	v_mul_f32_e32 v9, v2, v1
.LBB105_12:
	s_or_b64 exec, exec, s[6:7]
	v_lshlrev_b32_e32 v1, 2, v0
	ds_write_b32 v1, v9 offset:1024
.LBB105_13:
	s_or_b64 exec, exec, s[4:5]
	v_or_b32_e32 v1, 0x200, v0
	v_lshrrev_b32_e32 v1, s18, v1
	v_add_u32_e32 v1, s21, v1
	v_cmp_gt_u32_e32 vcc, s23, v1
	s_and_saveexec_b64 s[4:5], vcc
	s_cbranch_execz .LBB105_17
; %bb.14:
	v_add_u32_e32 v8, s19, v1
	v_mov_b32_e32 v9, 0
	v_lshlrev_b64 v[2:3], 2, v[8:9]
	v_mov_b32_e32 v1, s1
	v_add_co_u32_e32 v2, vcc, s0, v2
	v_addc_co_u32_e32 v3, vcc, v1, v3, vcc
	global_load_dword v2, v[2:3], off
	v_mov_b32_e32 v1, s9
	s_waitcnt vmcnt(0)
	v_ashrrev_i32_e32 v3, 31, v2
	v_lshlrev_b64 v[2:3], 3, v[2:3]
	v_add_co_u32_e32 v2, vcc, s8, v2
	v_addc_co_u32_e32 v3, vcc, v1, v3, vcc
	global_load_dwordx4 v[2:5], v[2:3], off
	s_waitcnt vmcnt(0)
	v_sub_co_u32_e32 v4, vcc, v4, v2
	v_subb_co_u32_e32 v5, vcc, v5, v3, vcc
	v_cmp_gt_i64_e32 vcc, v[4:5], v[6:7]
	s_and_saveexec_b64 s[6:7], vcc
	s_cbranch_execz .LBB105_16
; %bb.15:
	v_subrev_co_u32_e32 v1, vcc, s22, v2
	v_subbrev_co_u32_e32 v3, vcc, 0, v3, vcc
	v_add_co_u32_e32 v2, vcc, v1, v6
	v_addc_co_u32_e32 v3, vcc, 0, v3, vcc
	v_lshlrev_b64 v[4:5], 2, v[2:3]
	v_mov_b32_e32 v1, s11
	v_add_co_u32_e32 v4, vcc, s10, v4
	v_addc_co_u32_e32 v5, vcc, v1, v5, vcc
	global_load_dword v1, v[4:5], off
	v_mov_b32_e32 v4, s13
	v_add_co_u32_e32 v2, vcc, s12, v2
	v_addc_co_u32_e32 v3, vcc, v4, v3, vcc
	v_mov_b32_e32 v5, s15
	global_load_sbyte v4, v[2:3], off
	s_waitcnt vmcnt(1)
	v_subrev_u32_e32 v1, s22, v1
	v_ashrrev_i32_e32 v3, 31, v1
	v_add_co_u32_e32 v2, vcc, s14, v1
	v_addc_co_u32_e32 v3, vcc, v5, v3, vcc
	global_load_sbyte v1, v[2:3], off
	s_waitcnt vmcnt(1)
	v_cvt_f32_i32_e32 v2, v4
	v_mul_f32_e32 v2, s20, v2
	s_waitcnt vmcnt(0)
	v_cvt_f32_i32_e32 v1, v1
	v_mul_f32_e32 v9, v2, v1
.LBB105_16:
	s_or_b64 exec, exec, s[6:7]
	v_lshlrev_b32_e32 v1, 2, v0
	ds_write_b32 v1, v9 offset:2048
.LBB105_17:
	s_or_b64 exec, exec, s[4:5]
	v_or_b32_e32 v1, 0x300, v0
	v_lshrrev_b32_e32 v1, s18, v1
	v_add_u32_e32 v1, s21, v1
	v_cmp_gt_u32_e32 vcc, s23, v1
	s_and_saveexec_b64 s[4:5], vcc
	s_cbranch_execz .LBB105_21
; %bb.18:
	v_add_u32_e32 v8, s19, v1
	v_mov_b32_e32 v9, 0
	v_lshlrev_b64 v[2:3], 2, v[8:9]
	v_mov_b32_e32 v1, s1
	v_add_co_u32_e32 v2, vcc, s0, v2
	v_addc_co_u32_e32 v3, vcc, v1, v3, vcc
	global_load_dword v2, v[2:3], off
	v_mov_b32_e32 v1, s9
	s_waitcnt vmcnt(0)
	v_ashrrev_i32_e32 v3, 31, v2
	v_lshlrev_b64 v[2:3], 3, v[2:3]
	v_add_co_u32_e32 v2, vcc, s8, v2
	v_addc_co_u32_e32 v3, vcc, v1, v3, vcc
	global_load_dwordx4 v[2:5], v[2:3], off
	s_waitcnt vmcnt(0)
	v_sub_co_u32_e32 v4, vcc, v4, v2
	v_subb_co_u32_e32 v5, vcc, v5, v3, vcc
	v_cmp_gt_i64_e32 vcc, v[4:5], v[6:7]
	s_and_saveexec_b64 s[6:7], vcc
	s_cbranch_execz .LBB105_20
; %bb.19:
	v_subrev_co_u32_e32 v1, vcc, s22, v2
	v_subbrev_co_u32_e32 v3, vcc, 0, v3, vcc
	v_add_co_u32_e32 v2, vcc, v1, v6
	v_addc_co_u32_e32 v3, vcc, 0, v3, vcc
	v_lshlrev_b64 v[4:5], 2, v[2:3]
	v_mov_b32_e32 v1, s11
	v_add_co_u32_e32 v4, vcc, s10, v4
	v_addc_co_u32_e32 v5, vcc, v1, v5, vcc
	global_load_dword v1, v[4:5], off
	v_mov_b32_e32 v4, s13
	v_add_co_u32_e32 v2, vcc, s12, v2
	v_addc_co_u32_e32 v3, vcc, v4, v3, vcc
	v_mov_b32_e32 v5, s15
	global_load_sbyte v4, v[2:3], off
	s_waitcnt vmcnt(1)
	v_subrev_u32_e32 v1, s22, v1
	v_ashrrev_i32_e32 v3, 31, v1
	v_add_co_u32_e32 v2, vcc, s14, v1
	v_addc_co_u32_e32 v3, vcc, v5, v3, vcc
	global_load_sbyte v1, v[2:3], off
	s_waitcnt vmcnt(1)
	v_cvt_f32_i32_e32 v2, v4
	v_mul_f32_e32 v2, s20, v2
	s_waitcnt vmcnt(0)
	v_cvt_f32_i32_e32 v1, v1
	v_mul_f32_e32 v9, v2, v1
.LBB105_20:
	s_or_b64 exec, exec, s[6:7]
	v_lshlrev_b32_e32 v1, 2, v0
	ds_write_b32 v1, v9 offset:3072
.LBB105_21:
	s_or_b64 exec, exec, s[4:5]
	s_cmp_lt_u32 s18, 11
	s_waitcnt lgkmcnt(0)
	s_barrier
	s_cbranch_scc0 .LBB105_30
; %bb.22:
	s_sub_i32 s8, s23, s21
	s_add_i32 s19, s19, s21
	s_mov_b32 s9, 0
	v_cmp_neq_f32_e64 s[4:5], s16, 0
	v_mov_b32_e32 v3, 0
	s_branch .LBB105_25
.LBB105_23:                             ;   in Loop: Header=BB105_25 Depth=1
	v_mov_b32_e32 v2, s3
	v_add_co_u32_e32 v4, vcc, s2, v4
	v_addc_co_u32_e32 v5, vcc, v2, v5, vcc
	global_store_dword v[4:5], v1, off
.LBB105_24:                             ;   in Loop: Header=BB105_25 Depth=1
	s_or_b64 exec, exec, s[6:7]
	s_addk_i32 s9, 0x100
	s_cmp_lt_u32 s9, s17
	s_cbranch_scc0 .LBB105_30
.LBB105_25:                             ; =>This Loop Header: Depth=1
                                        ;     Child Loop BB105_27 Depth 2
	v_add_u32_e32 v1, s9, v0
	v_cmp_gt_u32_e32 vcc, s8, v1
	s_and_saveexec_b64 s[6:7], vcc
	s_cbranch_execz .LBB105_24
; %bb.26:                               ;   in Loop: Header=BB105_25 Depth=1
	v_add_u32_e32 v2, s19, v1
	v_lshlrev_b64 v[4:5], 2, v[2:3]
	v_mov_b32_e32 v2, s1
	v_add_co_u32_e32 v4, vcc, s0, v4
	v_addc_co_u32_e32 v5, vcc, v2, v5, vcc
	global_load_dword v4, v[4:5], off
	v_lshlrev_b32_e32 v1, s18, v1
	v_lshlrev_b32_e32 v2, 2, v1
	s_mov_b32 s10, 1
	v_mov_b32_e32 v1, 0
.LBB105_27:                             ;   Parent Loop BB105_25 Depth=1
                                        ; =>  This Inner Loop Header: Depth=2
	ds_read_b32 v5, v2
	s_lshr_b32 s11, s10, s18
	s_add_i32 s10, s10, 1
	v_add_u32_e32 v2, 4, v2
	s_cmp_lg_u32 s11, 0
	s_waitcnt lgkmcnt(0)
	v_add_f32_e32 v1, v1, v5
	s_cbranch_scc0 .LBB105_27
; %bb.28:                               ;   in Loop: Header=BB105_25 Depth=1
	s_waitcnt vmcnt(0)
	v_ashrrev_i32_e32 v5, 31, v4
	s_and_b64 vcc, exec, s[4:5]
	v_lshlrev_b64 v[4:5], 2, v[4:5]
	s_cbranch_vccz .LBB105_23
; %bb.29:                               ;   in Loop: Header=BB105_25 Depth=1
	v_mov_b32_e32 v2, s3
	v_add_co_u32_e32 v6, vcc, s2, v4
	v_addc_co_u32_e32 v7, vcc, v2, v5, vcc
	global_load_dword v2, v[6:7], off
	s_waitcnt vmcnt(0)
	v_fmac_f32_e32 v1, s16, v2
	s_branch .LBB105_23
.LBB105_30:
	s_endpgm
	.section	.rodata,"a",@progbits
	.p2align	6, 0x0
	.amdhsa_kernel _ZN9rocsparseL30csrmvn_lrb_short_rows_2_kernelIliaaffEEvbT_PT0_S3_jNS_24const_host_device_scalarIT4_EEPKS1_PKS2_PKT1_PKT2_S6_PT3_21rocsparse_index_base_b
		.amdhsa_group_segment_fixed_size 4096
		.amdhsa_private_segment_fixed_size 0
		.amdhsa_kernarg_size 104
		.amdhsa_user_sgpr_count 6
		.amdhsa_user_sgpr_private_segment_buffer 1
		.amdhsa_user_sgpr_dispatch_ptr 0
		.amdhsa_user_sgpr_queue_ptr 0
		.amdhsa_user_sgpr_kernarg_segment_ptr 1
		.amdhsa_user_sgpr_dispatch_id 0
		.amdhsa_user_sgpr_flat_scratch_init 0
		.amdhsa_user_sgpr_kernarg_preload_length 0
		.amdhsa_user_sgpr_kernarg_preload_offset 0
		.amdhsa_user_sgpr_private_segment_size 0
		.amdhsa_uses_dynamic_stack 0
		.amdhsa_system_sgpr_private_segment_wavefront_offset 0
		.amdhsa_system_sgpr_workgroup_id_x 1
		.amdhsa_system_sgpr_workgroup_id_y 0
		.amdhsa_system_sgpr_workgroup_id_z 0
		.amdhsa_system_sgpr_workgroup_info 0
		.amdhsa_system_vgpr_workitem_id 0
		.amdhsa_next_free_vgpr 10
		.amdhsa_next_free_sgpr 28
		.amdhsa_accum_offset 12
		.amdhsa_reserve_vcc 1
		.amdhsa_reserve_flat_scratch 0
		.amdhsa_float_round_mode_32 0
		.amdhsa_float_round_mode_16_64 0
		.amdhsa_float_denorm_mode_32 3
		.amdhsa_float_denorm_mode_16_64 3
		.amdhsa_dx10_clamp 1
		.amdhsa_ieee_mode 1
		.amdhsa_fp16_overflow 0
		.amdhsa_tg_split 0
		.amdhsa_exception_fp_ieee_invalid_op 0
		.amdhsa_exception_fp_denorm_src 0
		.amdhsa_exception_fp_ieee_div_zero 0
		.amdhsa_exception_fp_ieee_overflow 0
		.amdhsa_exception_fp_ieee_underflow 0
		.amdhsa_exception_fp_ieee_inexact 0
		.amdhsa_exception_int_div_zero 0
	.end_amdhsa_kernel
	.section	.text._ZN9rocsparseL30csrmvn_lrb_short_rows_2_kernelIliaaffEEvbT_PT0_S3_jNS_24const_host_device_scalarIT4_EEPKS1_PKS2_PKT1_PKT2_S6_PT3_21rocsparse_index_base_b,"axG",@progbits,_ZN9rocsparseL30csrmvn_lrb_short_rows_2_kernelIliaaffEEvbT_PT0_S3_jNS_24const_host_device_scalarIT4_EEPKS1_PKS2_PKT1_PKT2_S6_PT3_21rocsparse_index_base_b,comdat
.Lfunc_end105:
	.size	_ZN9rocsparseL30csrmvn_lrb_short_rows_2_kernelIliaaffEEvbT_PT0_S3_jNS_24const_host_device_scalarIT4_EEPKS1_PKS2_PKT1_PKT2_S6_PT3_21rocsparse_index_base_b, .Lfunc_end105-_ZN9rocsparseL30csrmvn_lrb_short_rows_2_kernelIliaaffEEvbT_PT0_S3_jNS_24const_host_device_scalarIT4_EEPKS1_PKS2_PKT1_PKT2_S6_PT3_21rocsparse_index_base_b
                                        ; -- End function
	.section	.AMDGPU.csdata,"",@progbits
; Kernel info:
; codeLenInByte = 1524
; NumSgprs: 32
; NumVgprs: 10
; NumAgprs: 0
; TotalNumVgprs: 10
; ScratchSize: 0
; MemoryBound: 0
; FloatMode: 240
; IeeeMode: 1
; LDSByteSize: 4096 bytes/workgroup (compile time only)
; SGPRBlocks: 3
; VGPRBlocks: 1
; NumSGPRsForWavesPerEU: 32
; NumVGPRsForWavesPerEU: 10
; AccumOffset: 12
; Occupancy: 8
; WaveLimiterHint : 1
; COMPUTE_PGM_RSRC2:SCRATCH_EN: 0
; COMPUTE_PGM_RSRC2:USER_SGPR: 6
; COMPUTE_PGM_RSRC2:TRAP_HANDLER: 0
; COMPUTE_PGM_RSRC2:TGID_X_EN: 1
; COMPUTE_PGM_RSRC2:TGID_Y_EN: 0
; COMPUTE_PGM_RSRC2:TGID_Z_EN: 0
; COMPUTE_PGM_RSRC2:TIDIG_COMP_CNT: 0
; COMPUTE_PGM_RSRC3_GFX90A:ACCUM_OFFSET: 2
; COMPUTE_PGM_RSRC3_GFX90A:TG_SPLIT: 0
	.section	.text._ZN9rocsparseL41csrmvn_lrb_medium_rows_warp_reduce_kernelILj256ELj32EliaaffEEvbT1_lPT2_S3_jNS_24const_host_device_scalarIT6_EEPKS1_PKS2_PKT3_PKT4_S6_PT5_21rocsparse_index_base_b,"axG",@progbits,_ZN9rocsparseL41csrmvn_lrb_medium_rows_warp_reduce_kernelILj256ELj32EliaaffEEvbT1_lPT2_S3_jNS_24const_host_device_scalarIT6_EEPKS1_PKS2_PKT3_PKT4_S6_PT5_21rocsparse_index_base_b,comdat
	.globl	_ZN9rocsparseL41csrmvn_lrb_medium_rows_warp_reduce_kernelILj256ELj32EliaaffEEvbT1_lPT2_S3_jNS_24const_host_device_scalarIT6_EEPKS1_PKS2_PKT3_PKT4_S6_PT5_21rocsparse_index_base_b ; -- Begin function _ZN9rocsparseL41csrmvn_lrb_medium_rows_warp_reduce_kernelILj256ELj32EliaaffEEvbT1_lPT2_S3_jNS_24const_host_device_scalarIT6_EEPKS1_PKS2_PKT3_PKT4_S6_PT5_21rocsparse_index_base_b
	.p2align	8
	.type	_ZN9rocsparseL41csrmvn_lrb_medium_rows_warp_reduce_kernelILj256ELj32EliaaffEEvbT1_lPT2_S3_jNS_24const_host_device_scalarIT6_EEPKS1_PKS2_PKT3_PKT4_S6_PT5_21rocsparse_index_base_b,@function
_ZN9rocsparseL41csrmvn_lrb_medium_rows_warp_reduce_kernelILj256ELj32EliaaffEEvbT1_lPT2_S3_jNS_24const_host_device_scalarIT6_EEPKS1_PKS2_PKT3_PKT4_S6_PT5_21rocsparse_index_base_b: ; @_ZN9rocsparseL41csrmvn_lrb_medium_rows_warp_reduce_kernelILj256ELj32EliaaffEEvbT1_lPT2_S3_jNS_24const_host_device_scalarIT6_EEPKS1_PKS2_PKT3_PKT4_S6_PT5_21rocsparse_index_base_b
; %bb.0:
	s_load_dwordx2 s[10:11], s[4:5], 0x68
	s_load_dwordx2 s[12:13], s[4:5], 0x30
	;; [unrolled: 1-line block ×3, first 2 shown]
	s_waitcnt lgkmcnt(0)
	s_bitcmp1_b32 s11, 0
	s_cselect_b64 s[2:3], -1, 0
	s_xor_b64 s[0:1], s[2:3], -1
	s_and_b64 vcc, exec, s[2:3]
	s_cbranch_vccnz .LBB106_2
; %bb.1:
	s_load_dword s12, s[12:13], 0x0
.LBB106_2:
	s_andn2_b64 vcc, exec, s[0:1]
	s_cbranch_vccnz .LBB106_4
; %bb.3:
	s_load_dword s8, s[8:9], 0x0
.LBB106_4:
	s_waitcnt lgkmcnt(0)
	v_cmp_neq_f32_e64 s[0:1], s12, 0
	v_cmp_neq_f32_e64 s[2:3], s8, 1.0
	s_or_b64 s[0:1], s[0:1], s[2:3]
	s_andn2_b64 vcc, exec, s[0:1]
	s_cbranch_vccnz .LBB106_14
; %bb.5:
	s_load_dwordx2 s[0:1], s[4:5], 0x10
	v_lshrrev_b32_e32 v1, 5, v0
	v_lshl_or_b32 v2, s6, 3, v1
	v_ashrrev_i32_e32 v3, 31, v2
	s_waitcnt lgkmcnt(0)
	v_cmp_gt_i64_e32 vcc, s[0:1], v[2:3]
	s_and_saveexec_b64 s[0:1], vcc
	s_cbranch_execz .LBB106_14
; %bb.6:
	s_load_dword s6, s[4:5], 0x28
	s_load_dwordx4 s[0:3], s[4:5], 0x18
	s_mov_b32 s7, 0
	v_and_b32_e32 v8, 31, v0
	s_waitcnt lgkmcnt(0)
	s_lshl_b64 s[6:7], s[6:7], 2
	s_add_u32 s2, s2, s6
	s_addc_u32 s3, s3, s7
	s_load_dword s2, s[2:3], 0x0
	v_mov_b32_e32 v1, s1
	s_load_dwordx2 s[6:7], s[4:5], 0x60
	s_waitcnt lgkmcnt(0)
	v_add_u32_e32 v2, s2, v2
	v_ashrrev_i32_e32 v3, 31, v2
	v_lshlrev_b64 v[2:3], 2, v[2:3]
	v_add_co_u32_e32 v2, vcc, s0, v2
	v_addc_co_u32_e32 v3, vcc, v1, v3, vcc
	global_load_dword v2, v[2:3], off
	s_load_dwordx2 s[0:1], s[4:5], 0x38
	s_waitcnt lgkmcnt(0)
	v_mov_b32_e32 v1, s1
	s_waitcnt vmcnt(0)
	v_ashrrev_i32_e32 v3, 31, v2
	v_lshlrev_b64 v[4:5], 3, v[2:3]
	v_add_co_u32_e32 v4, vcc, s0, v4
	v_addc_co_u32_e32 v5, vcc, v1, v5, vcc
	global_load_dwordx4 v[4:7], v[4:5], off
	v_subrev_co_u32_e32 v9, vcc, s10, v8
	v_subb_co_u32_e64 v10, s[0:1], 0, 0, vcc
	s_waitcnt vmcnt(0)
	v_subrev_co_u32_e32 v0, vcc, s10, v6
	v_subbrev_co_u32_e32 v1, vcc, 0, v7, vcc
	v_add_co_u32_e32 v4, vcc, v4, v9
	v_addc_co_u32_e32 v5, vcc, v5, v10, vcc
	v_cmp_lt_i64_e32 vcc, v[4:5], v[0:1]
	v_mov_b32_e32 v9, 0
	s_and_saveexec_b64 s[14:15], vcc
	s_cbranch_execz .LBB106_10
; %bb.7:
	s_load_dwordx4 s[0:3], s[4:5], 0x40
	s_load_dwordx2 s[16:17], s[4:5], 0x50
	v_lshlrev_b64 v[6:7], 2, v[4:5]
	s_waitcnt lgkmcnt(0)
	v_mov_b32_e32 v9, s1
	v_add_co_u32_e32 v6, vcc, s0, v6
	v_addc_co_u32_e32 v7, vcc, v9, v7, vcc
	s_mov_b64 s[0:1], 0
	v_mov_b32_e32 v9, 0
	v_mov_b32_e32 v10, s3
	;; [unrolled: 1-line block ×3, first 2 shown]
.LBB106_8:                              ; =>This Inner Loop Header: Depth=1
	global_load_dword v14, v[6:7], off
	v_add_co_u32_e32 v12, vcc, s2, v4
	v_addc_co_u32_e32 v13, vcc, v10, v5, vcc
	global_load_sbyte v15, v[12:13], off
	s_waitcnt vmcnt(1)
	v_subrev_u32_e32 v12, s10, v14
	v_ashrrev_i32_e32 v13, 31, v12
	v_add_co_u32_e32 v12, vcc, s16, v12
	v_addc_co_u32_e32 v13, vcc, v11, v13, vcc
	global_load_sbyte v12, v[12:13], off
	v_add_co_u32_e32 v4, vcc, 32, v4
	s_waitcnt vmcnt(1)
	v_cvt_f32_i32_e32 v13, v15
	v_addc_co_u32_e32 v5, vcc, 0, v5, vcc
	v_add_co_u32_e32 v6, vcc, 0x80, v6
	v_addc_co_u32_e32 v7, vcc, 0, v7, vcc
	v_cmp_ge_i64_e32 vcc, v[4:5], v[0:1]
	v_mul_f32_e32 v13, s12, v13
	s_or_b64 s[0:1], vcc, s[0:1]
	s_waitcnt vmcnt(0)
	v_cvt_f32_i32_e32 v12, v12
	v_fmac_f32_e32 v9, v13, v12
	s_andn2_b64 exec, exec, s[0:1]
	s_cbranch_execnz .LBB106_8
; %bb.9:
	s_or_b64 exec, exec, s[0:1]
.LBB106_10:
	s_or_b64 exec, exec, s[14:15]
	v_mov_b32_dpp v0, v9 row_shr:1 row_mask:0xf bank_mask:0xf
	v_add_f32_e32 v0, v9, v0
	v_cmp_eq_u32_e32 vcc, 31, v8
	s_nop 0
	v_mov_b32_dpp v1, v0 row_shr:2 row_mask:0xf bank_mask:0xf
	v_add_f32_e32 v0, v0, v1
	s_nop 1
	v_mov_b32_dpp v1, v0 row_shr:4 row_mask:0xf bank_mask:0xe
	v_add_f32_e32 v0, v0, v1
	;; [unrolled: 3-line block ×3, first 2 shown]
	s_nop 1
	v_mov_b32_dpp v1, v0 row_bcast:15 row_mask:0xa bank_mask:0xf
	s_and_b64 exec, exec, vcc
	s_cbranch_execz .LBB106_14
; %bb.11:
	v_cmp_eq_f32_e64 s[0:1], s8, 0
	v_add_f32_e32 v4, v0, v1
	s_and_b64 vcc, exec, s[0:1]
	v_lshlrev_b64 v[0:1], 2, v[2:3]
	s_cbranch_vccnz .LBB106_13
; %bb.12:
	v_mov_b32_e32 v3, s7
	v_add_co_u32_e32 v2, vcc, s6, v0
	v_addc_co_u32_e32 v3, vcc, v3, v1, vcc
	global_load_dword v2, v[2:3], off
	s_waitcnt vmcnt(0)
	v_fmac_f32_e32 v4, s8, v2
.LBB106_13:
	v_mov_b32_e32 v2, s7
	v_add_co_u32_e32 v0, vcc, s6, v0
	v_addc_co_u32_e32 v1, vcc, v2, v1, vcc
	global_store_dword v[0:1], v4, off
.LBB106_14:
	s_endpgm
	.section	.rodata,"a",@progbits
	.p2align	6, 0x0
	.amdhsa_kernel _ZN9rocsparseL41csrmvn_lrb_medium_rows_warp_reduce_kernelILj256ELj32EliaaffEEvbT1_lPT2_S3_jNS_24const_host_device_scalarIT6_EEPKS1_PKS2_PKT3_PKT4_S6_PT5_21rocsparse_index_base_b
		.amdhsa_group_segment_fixed_size 0
		.amdhsa_private_segment_fixed_size 0
		.amdhsa_kernarg_size 112
		.amdhsa_user_sgpr_count 6
		.amdhsa_user_sgpr_private_segment_buffer 1
		.amdhsa_user_sgpr_dispatch_ptr 0
		.amdhsa_user_sgpr_queue_ptr 0
		.amdhsa_user_sgpr_kernarg_segment_ptr 1
		.amdhsa_user_sgpr_dispatch_id 0
		.amdhsa_user_sgpr_flat_scratch_init 0
		.amdhsa_user_sgpr_kernarg_preload_length 0
		.amdhsa_user_sgpr_kernarg_preload_offset 0
		.amdhsa_user_sgpr_private_segment_size 0
		.amdhsa_uses_dynamic_stack 0
		.amdhsa_system_sgpr_private_segment_wavefront_offset 0
		.amdhsa_system_sgpr_workgroup_id_x 1
		.amdhsa_system_sgpr_workgroup_id_y 0
		.amdhsa_system_sgpr_workgroup_id_z 0
		.amdhsa_system_sgpr_workgroup_info 0
		.amdhsa_system_vgpr_workitem_id 0
		.amdhsa_next_free_vgpr 16
		.amdhsa_next_free_sgpr 18
		.amdhsa_accum_offset 16
		.amdhsa_reserve_vcc 1
		.amdhsa_reserve_flat_scratch 0
		.amdhsa_float_round_mode_32 0
		.amdhsa_float_round_mode_16_64 0
		.amdhsa_float_denorm_mode_32 3
		.amdhsa_float_denorm_mode_16_64 3
		.amdhsa_dx10_clamp 1
		.amdhsa_ieee_mode 1
		.amdhsa_fp16_overflow 0
		.amdhsa_tg_split 0
		.amdhsa_exception_fp_ieee_invalid_op 0
		.amdhsa_exception_fp_denorm_src 0
		.amdhsa_exception_fp_ieee_div_zero 0
		.amdhsa_exception_fp_ieee_overflow 0
		.amdhsa_exception_fp_ieee_underflow 0
		.amdhsa_exception_fp_ieee_inexact 0
		.amdhsa_exception_int_div_zero 0
	.end_amdhsa_kernel
	.section	.text._ZN9rocsparseL41csrmvn_lrb_medium_rows_warp_reduce_kernelILj256ELj32EliaaffEEvbT1_lPT2_S3_jNS_24const_host_device_scalarIT6_EEPKS1_PKS2_PKT3_PKT4_S6_PT5_21rocsparse_index_base_b,"axG",@progbits,_ZN9rocsparseL41csrmvn_lrb_medium_rows_warp_reduce_kernelILj256ELj32EliaaffEEvbT1_lPT2_S3_jNS_24const_host_device_scalarIT6_EEPKS1_PKS2_PKT3_PKT4_S6_PT5_21rocsparse_index_base_b,comdat
.Lfunc_end106:
	.size	_ZN9rocsparseL41csrmvn_lrb_medium_rows_warp_reduce_kernelILj256ELj32EliaaffEEvbT1_lPT2_S3_jNS_24const_host_device_scalarIT6_EEPKS1_PKS2_PKT3_PKT4_S6_PT5_21rocsparse_index_base_b, .Lfunc_end106-_ZN9rocsparseL41csrmvn_lrb_medium_rows_warp_reduce_kernelILj256ELj32EliaaffEEvbT1_lPT2_S3_jNS_24const_host_device_scalarIT6_EEPKS1_PKS2_PKT3_PKT4_S6_PT5_21rocsparse_index_base_b
                                        ; -- End function
	.section	.AMDGPU.csdata,"",@progbits
; Kernel info:
; codeLenInByte = 676
; NumSgprs: 22
; NumVgprs: 16
; NumAgprs: 0
; TotalNumVgprs: 16
; ScratchSize: 0
; MemoryBound: 0
; FloatMode: 240
; IeeeMode: 1
; LDSByteSize: 0 bytes/workgroup (compile time only)
; SGPRBlocks: 2
; VGPRBlocks: 1
; NumSGPRsForWavesPerEU: 22
; NumVGPRsForWavesPerEU: 16
; AccumOffset: 16
; Occupancy: 8
; WaveLimiterHint : 1
; COMPUTE_PGM_RSRC2:SCRATCH_EN: 0
; COMPUTE_PGM_RSRC2:USER_SGPR: 6
; COMPUTE_PGM_RSRC2:TRAP_HANDLER: 0
; COMPUTE_PGM_RSRC2:TGID_X_EN: 1
; COMPUTE_PGM_RSRC2:TGID_Y_EN: 0
; COMPUTE_PGM_RSRC2:TGID_Z_EN: 0
; COMPUTE_PGM_RSRC2:TIDIG_COMP_CNT: 0
; COMPUTE_PGM_RSRC3_GFX90A:ACCUM_OFFSET: 3
; COMPUTE_PGM_RSRC3_GFX90A:TG_SPLIT: 0
	.section	.text._ZN9rocsparseL41csrmvn_lrb_medium_rows_warp_reduce_kernelILj256ELj64EliaaffEEvbT1_lPT2_S3_jNS_24const_host_device_scalarIT6_EEPKS1_PKS2_PKT3_PKT4_S6_PT5_21rocsparse_index_base_b,"axG",@progbits,_ZN9rocsparseL41csrmvn_lrb_medium_rows_warp_reduce_kernelILj256ELj64EliaaffEEvbT1_lPT2_S3_jNS_24const_host_device_scalarIT6_EEPKS1_PKS2_PKT3_PKT4_S6_PT5_21rocsparse_index_base_b,comdat
	.globl	_ZN9rocsparseL41csrmvn_lrb_medium_rows_warp_reduce_kernelILj256ELj64EliaaffEEvbT1_lPT2_S3_jNS_24const_host_device_scalarIT6_EEPKS1_PKS2_PKT3_PKT4_S6_PT5_21rocsparse_index_base_b ; -- Begin function _ZN9rocsparseL41csrmvn_lrb_medium_rows_warp_reduce_kernelILj256ELj64EliaaffEEvbT1_lPT2_S3_jNS_24const_host_device_scalarIT6_EEPKS1_PKS2_PKT3_PKT4_S6_PT5_21rocsparse_index_base_b
	.p2align	8
	.type	_ZN9rocsparseL41csrmvn_lrb_medium_rows_warp_reduce_kernelILj256ELj64EliaaffEEvbT1_lPT2_S3_jNS_24const_host_device_scalarIT6_EEPKS1_PKS2_PKT3_PKT4_S6_PT5_21rocsparse_index_base_b,@function
_ZN9rocsparseL41csrmvn_lrb_medium_rows_warp_reduce_kernelILj256ELj64EliaaffEEvbT1_lPT2_S3_jNS_24const_host_device_scalarIT6_EEPKS1_PKS2_PKT3_PKT4_S6_PT5_21rocsparse_index_base_b: ; @_ZN9rocsparseL41csrmvn_lrb_medium_rows_warp_reduce_kernelILj256ELj64EliaaffEEvbT1_lPT2_S3_jNS_24const_host_device_scalarIT6_EEPKS1_PKS2_PKT3_PKT4_S6_PT5_21rocsparse_index_base_b
; %bb.0:
	s_load_dwordx2 s[10:11], s[4:5], 0x68
	s_load_dwordx2 s[12:13], s[4:5], 0x30
	;; [unrolled: 1-line block ×3, first 2 shown]
	s_waitcnt lgkmcnt(0)
	s_bitcmp1_b32 s11, 0
	s_cselect_b64 s[2:3], -1, 0
	s_xor_b64 s[0:1], s[2:3], -1
	s_and_b64 vcc, exec, s[2:3]
	s_cbranch_vccnz .LBB107_2
; %bb.1:
	s_load_dword s12, s[12:13], 0x0
.LBB107_2:
	s_andn2_b64 vcc, exec, s[0:1]
	s_cbranch_vccnz .LBB107_4
; %bb.3:
	s_load_dword s8, s[8:9], 0x0
.LBB107_4:
	s_waitcnt lgkmcnt(0)
	v_cmp_neq_f32_e64 s[0:1], s12, 0
	v_cmp_neq_f32_e64 s[2:3], s8, 1.0
	s_or_b64 s[0:1], s[0:1], s[2:3]
	s_andn2_b64 vcc, exec, s[0:1]
	s_cbranch_vccnz .LBB107_14
; %bb.5:
	s_load_dwordx2 s[0:1], s[4:5], 0x10
	v_lshrrev_b32_e32 v1, 6, v0
	v_lshl_or_b32 v2, s6, 2, v1
	v_ashrrev_i32_e32 v3, 31, v2
	s_waitcnt lgkmcnt(0)
	v_cmp_gt_i64_e32 vcc, s[0:1], v[2:3]
	s_and_saveexec_b64 s[0:1], vcc
	s_cbranch_execz .LBB107_14
; %bb.6:
	s_load_dword s6, s[4:5], 0x28
	s_load_dwordx4 s[0:3], s[4:5], 0x18
	s_mov_b32 s7, 0
	v_and_b32_e32 v8, 63, v0
	s_waitcnt lgkmcnt(0)
	s_lshl_b64 s[6:7], s[6:7], 2
	s_add_u32 s2, s2, s6
	s_addc_u32 s3, s3, s7
	s_load_dword s2, s[2:3], 0x0
	v_mov_b32_e32 v1, s1
	s_load_dwordx2 s[6:7], s[4:5], 0x60
	s_waitcnt lgkmcnt(0)
	v_add_u32_e32 v2, s2, v2
	v_ashrrev_i32_e32 v3, 31, v2
	v_lshlrev_b64 v[2:3], 2, v[2:3]
	v_add_co_u32_e32 v2, vcc, s0, v2
	v_addc_co_u32_e32 v3, vcc, v1, v3, vcc
	global_load_dword v2, v[2:3], off
	s_load_dwordx2 s[0:1], s[4:5], 0x38
	s_waitcnt lgkmcnt(0)
	v_mov_b32_e32 v1, s1
	s_waitcnt vmcnt(0)
	v_ashrrev_i32_e32 v3, 31, v2
	v_lshlrev_b64 v[4:5], 3, v[2:3]
	v_add_co_u32_e32 v4, vcc, s0, v4
	v_addc_co_u32_e32 v5, vcc, v1, v5, vcc
	global_load_dwordx4 v[4:7], v[4:5], off
	v_subrev_co_u32_e32 v9, vcc, s10, v8
	v_subb_co_u32_e64 v10, s[0:1], 0, 0, vcc
	s_waitcnt vmcnt(0)
	v_subrev_co_u32_e32 v0, vcc, s10, v6
	v_subbrev_co_u32_e32 v1, vcc, 0, v7, vcc
	v_add_co_u32_e32 v4, vcc, v4, v9
	v_addc_co_u32_e32 v5, vcc, v5, v10, vcc
	v_cmp_lt_i64_e32 vcc, v[4:5], v[0:1]
	v_mov_b32_e32 v9, 0
	s_and_saveexec_b64 s[14:15], vcc
	s_cbranch_execz .LBB107_10
; %bb.7:
	s_load_dwordx4 s[0:3], s[4:5], 0x40
	s_load_dwordx2 s[16:17], s[4:5], 0x50
	v_lshlrev_b64 v[6:7], 2, v[4:5]
	s_waitcnt lgkmcnt(0)
	v_mov_b32_e32 v9, s1
	v_add_co_u32_e32 v6, vcc, s0, v6
	v_addc_co_u32_e32 v7, vcc, v9, v7, vcc
	s_mov_b64 s[0:1], 0
	v_mov_b32_e32 v9, 0
	v_mov_b32_e32 v10, s3
	;; [unrolled: 1-line block ×3, first 2 shown]
.LBB107_8:                              ; =>This Inner Loop Header: Depth=1
	global_load_dword v14, v[6:7], off
	v_add_co_u32_e32 v12, vcc, s2, v4
	v_addc_co_u32_e32 v13, vcc, v10, v5, vcc
	global_load_sbyte v15, v[12:13], off
	s_waitcnt vmcnt(1)
	v_subrev_u32_e32 v12, s10, v14
	v_ashrrev_i32_e32 v13, 31, v12
	v_add_co_u32_e32 v12, vcc, s16, v12
	v_addc_co_u32_e32 v13, vcc, v11, v13, vcc
	global_load_sbyte v12, v[12:13], off
	v_add_co_u32_e32 v4, vcc, 64, v4
	s_waitcnt vmcnt(1)
	v_cvt_f32_i32_e32 v13, v15
	v_addc_co_u32_e32 v5, vcc, 0, v5, vcc
	v_add_co_u32_e32 v6, vcc, 0x100, v6
	v_addc_co_u32_e32 v7, vcc, 0, v7, vcc
	v_cmp_ge_i64_e32 vcc, v[4:5], v[0:1]
	v_mul_f32_e32 v13, s12, v13
	s_or_b64 s[0:1], vcc, s[0:1]
	s_waitcnt vmcnt(0)
	v_cvt_f32_i32_e32 v12, v12
	v_fmac_f32_e32 v9, v13, v12
	s_andn2_b64 exec, exec, s[0:1]
	s_cbranch_execnz .LBB107_8
; %bb.9:
	s_or_b64 exec, exec, s[0:1]
.LBB107_10:
	s_or_b64 exec, exec, s[14:15]
	v_mov_b32_dpp v0, v9 row_shr:1 row_mask:0xf bank_mask:0xf
	v_add_f32_e32 v0, v9, v0
	v_cmp_eq_u32_e32 vcc, 63, v8
	s_nop 0
	v_mov_b32_dpp v1, v0 row_shr:2 row_mask:0xf bank_mask:0xf
	v_add_f32_e32 v0, v0, v1
	s_nop 1
	v_mov_b32_dpp v1, v0 row_shr:4 row_mask:0xf bank_mask:0xe
	v_add_f32_e32 v0, v0, v1
	;; [unrolled: 3-line block ×3, first 2 shown]
	s_nop 1
	v_mov_b32_dpp v1, v0 row_bcast:15 row_mask:0xa bank_mask:0xf
	v_add_f32_e32 v0, v0, v1
	s_nop 1
	v_mov_b32_dpp v1, v0 row_bcast:31 row_mask:0xc bank_mask:0xf
	s_and_b64 exec, exec, vcc
	s_cbranch_execz .LBB107_14
; %bb.11:
	v_cmp_eq_f32_e64 s[0:1], s8, 0
	v_add_f32_e32 v4, v0, v1
	s_and_b64 vcc, exec, s[0:1]
	v_lshlrev_b64 v[0:1], 2, v[2:3]
	s_cbranch_vccnz .LBB107_13
; %bb.12:
	v_mov_b32_e32 v3, s7
	v_add_co_u32_e32 v2, vcc, s6, v0
	v_addc_co_u32_e32 v3, vcc, v3, v1, vcc
	global_load_dword v2, v[2:3], off
	s_waitcnt vmcnt(0)
	v_fmac_f32_e32 v4, s8, v2
.LBB107_13:
	v_mov_b32_e32 v2, s7
	v_add_co_u32_e32 v0, vcc, s6, v0
	v_addc_co_u32_e32 v1, vcc, v2, v1, vcc
	global_store_dword v[0:1], v4, off
.LBB107_14:
	s_endpgm
	.section	.rodata,"a",@progbits
	.p2align	6, 0x0
	.amdhsa_kernel _ZN9rocsparseL41csrmvn_lrb_medium_rows_warp_reduce_kernelILj256ELj64EliaaffEEvbT1_lPT2_S3_jNS_24const_host_device_scalarIT6_EEPKS1_PKS2_PKT3_PKT4_S6_PT5_21rocsparse_index_base_b
		.amdhsa_group_segment_fixed_size 0
		.amdhsa_private_segment_fixed_size 0
		.amdhsa_kernarg_size 112
		.amdhsa_user_sgpr_count 6
		.amdhsa_user_sgpr_private_segment_buffer 1
		.amdhsa_user_sgpr_dispatch_ptr 0
		.amdhsa_user_sgpr_queue_ptr 0
		.amdhsa_user_sgpr_kernarg_segment_ptr 1
		.amdhsa_user_sgpr_dispatch_id 0
		.amdhsa_user_sgpr_flat_scratch_init 0
		.amdhsa_user_sgpr_kernarg_preload_length 0
		.amdhsa_user_sgpr_kernarg_preload_offset 0
		.amdhsa_user_sgpr_private_segment_size 0
		.amdhsa_uses_dynamic_stack 0
		.amdhsa_system_sgpr_private_segment_wavefront_offset 0
		.amdhsa_system_sgpr_workgroup_id_x 1
		.amdhsa_system_sgpr_workgroup_id_y 0
		.amdhsa_system_sgpr_workgroup_id_z 0
		.amdhsa_system_sgpr_workgroup_info 0
		.amdhsa_system_vgpr_workitem_id 0
		.amdhsa_next_free_vgpr 16
		.amdhsa_next_free_sgpr 18
		.amdhsa_accum_offset 16
		.amdhsa_reserve_vcc 1
		.amdhsa_reserve_flat_scratch 0
		.amdhsa_float_round_mode_32 0
		.amdhsa_float_round_mode_16_64 0
		.amdhsa_float_denorm_mode_32 3
		.amdhsa_float_denorm_mode_16_64 3
		.amdhsa_dx10_clamp 1
		.amdhsa_ieee_mode 1
		.amdhsa_fp16_overflow 0
		.amdhsa_tg_split 0
		.amdhsa_exception_fp_ieee_invalid_op 0
		.amdhsa_exception_fp_denorm_src 0
		.amdhsa_exception_fp_ieee_div_zero 0
		.amdhsa_exception_fp_ieee_overflow 0
		.amdhsa_exception_fp_ieee_underflow 0
		.amdhsa_exception_fp_ieee_inexact 0
		.amdhsa_exception_int_div_zero 0
	.end_amdhsa_kernel
	.section	.text._ZN9rocsparseL41csrmvn_lrb_medium_rows_warp_reduce_kernelILj256ELj64EliaaffEEvbT1_lPT2_S3_jNS_24const_host_device_scalarIT6_EEPKS1_PKS2_PKT3_PKT4_S6_PT5_21rocsparse_index_base_b,"axG",@progbits,_ZN9rocsparseL41csrmvn_lrb_medium_rows_warp_reduce_kernelILj256ELj64EliaaffEEvbT1_lPT2_S3_jNS_24const_host_device_scalarIT6_EEPKS1_PKS2_PKT3_PKT4_S6_PT5_21rocsparse_index_base_b,comdat
.Lfunc_end107:
	.size	_ZN9rocsparseL41csrmvn_lrb_medium_rows_warp_reduce_kernelILj256ELj64EliaaffEEvbT1_lPT2_S3_jNS_24const_host_device_scalarIT6_EEPKS1_PKS2_PKT3_PKT4_S6_PT5_21rocsparse_index_base_b, .Lfunc_end107-_ZN9rocsparseL41csrmvn_lrb_medium_rows_warp_reduce_kernelILj256ELj64EliaaffEEvbT1_lPT2_S3_jNS_24const_host_device_scalarIT6_EEPKS1_PKS2_PKT3_PKT4_S6_PT5_21rocsparse_index_base_b
                                        ; -- End function
	.section	.AMDGPU.csdata,"",@progbits
; Kernel info:
; codeLenInByte = 692
; NumSgprs: 22
; NumVgprs: 16
; NumAgprs: 0
; TotalNumVgprs: 16
; ScratchSize: 0
; MemoryBound: 0
; FloatMode: 240
; IeeeMode: 1
; LDSByteSize: 0 bytes/workgroup (compile time only)
; SGPRBlocks: 2
; VGPRBlocks: 1
; NumSGPRsForWavesPerEU: 22
; NumVGPRsForWavesPerEU: 16
; AccumOffset: 16
; Occupancy: 8
; WaveLimiterHint : 1
; COMPUTE_PGM_RSRC2:SCRATCH_EN: 0
; COMPUTE_PGM_RSRC2:USER_SGPR: 6
; COMPUTE_PGM_RSRC2:TRAP_HANDLER: 0
; COMPUTE_PGM_RSRC2:TGID_X_EN: 1
; COMPUTE_PGM_RSRC2:TGID_Y_EN: 0
; COMPUTE_PGM_RSRC2:TGID_Z_EN: 0
; COMPUTE_PGM_RSRC2:TIDIG_COMP_CNT: 0
; COMPUTE_PGM_RSRC3_GFX90A:ACCUM_OFFSET: 3
; COMPUTE_PGM_RSRC3_GFX90A:TG_SPLIT: 0
	.section	.text._ZN9rocsparseL29csrmvn_lrb_medium_rows_kernelILj256EliaaffEEvbT0_PT1_S3_jNS_24const_host_device_scalarIT5_EEPKS1_PKS2_PKT2_PKT3_S6_PT4_21rocsparse_index_base_b,"axG",@progbits,_ZN9rocsparseL29csrmvn_lrb_medium_rows_kernelILj256EliaaffEEvbT0_PT1_S3_jNS_24const_host_device_scalarIT5_EEPKS1_PKS2_PKT2_PKT3_S6_PT4_21rocsparse_index_base_b,comdat
	.globl	_ZN9rocsparseL29csrmvn_lrb_medium_rows_kernelILj256EliaaffEEvbT0_PT1_S3_jNS_24const_host_device_scalarIT5_EEPKS1_PKS2_PKT2_PKT3_S6_PT4_21rocsparse_index_base_b ; -- Begin function _ZN9rocsparseL29csrmvn_lrb_medium_rows_kernelILj256EliaaffEEvbT0_PT1_S3_jNS_24const_host_device_scalarIT5_EEPKS1_PKS2_PKT2_PKT3_S6_PT4_21rocsparse_index_base_b
	.p2align	8
	.type	_ZN9rocsparseL29csrmvn_lrb_medium_rows_kernelILj256EliaaffEEvbT0_PT1_S3_jNS_24const_host_device_scalarIT5_EEPKS1_PKS2_PKT2_PKT3_S6_PT4_21rocsparse_index_base_b,@function
_ZN9rocsparseL29csrmvn_lrb_medium_rows_kernelILj256EliaaffEEvbT0_PT1_S3_jNS_24const_host_device_scalarIT5_EEPKS1_PKS2_PKT2_PKT3_S6_PT4_21rocsparse_index_base_b: ; @_ZN9rocsparseL29csrmvn_lrb_medium_rows_kernelILj256EliaaffEEvbT0_PT1_S3_jNS_24const_host_device_scalarIT5_EEPKS1_PKS2_PKT2_PKT3_S6_PT4_21rocsparse_index_base_b
; %bb.0:
	s_load_dwordx2 s[12:13], s[4:5], 0x60
	s_load_dwordx2 s[14:15], s[4:5], 0x28
	;; [unrolled: 1-line block ×3, first 2 shown]
	s_waitcnt lgkmcnt(0)
	s_bitcmp1_b32 s13, 0
	s_cselect_b64 s[2:3], -1, 0
	s_xor_b64 s[0:1], s[2:3], -1
	s_and_b64 vcc, exec, s[2:3]
	s_cbranch_vccnz .LBB108_2
; %bb.1:
	s_load_dword s14, s[14:15], 0x0
.LBB108_2:
	s_andn2_b64 vcc, exec, s[0:1]
	s_cbranch_vccnz .LBB108_4
; %bb.3:
	s_load_dword s8, s[8:9], 0x0
.LBB108_4:
	s_waitcnt lgkmcnt(0)
	v_cmp_neq_f32_e64 s[0:1], s14, 0
	v_cmp_neq_f32_e64 s[2:3], s8, 1.0
	s_or_b64 s[0:1], s[0:1], s[2:3]
	s_andn2_b64 vcc, exec, s[0:1]
	s_mov_b32 s1, 0
	s_cbranch_vccnz .LBB108_29
; %bb.5:
	s_load_dword s0, s[4:5], 0x20
	s_load_dwordx4 s[16:19], s[4:5], 0x10
	v_subrev_co_u32_e32 v1, vcc, s12, v0
	v_mov_b32_e32 v6, 0
	s_waitcnt lgkmcnt(0)
	s_lshl_b64 s[0:1], s[0:1], 2
	s_add_u32 s0, s18, s0
	s_addc_u32 s1, s19, s1
	s_load_dword s0, s[0:1], 0x0
	s_waitcnt lgkmcnt(0)
	s_add_i32 s0, s0, s6
	s_ashr_i32 s1, s0, 31
	s_lshl_b64 s[0:1], s[0:1], 2
	s_add_u32 s0, s16, s0
	s_addc_u32 s1, s17, s1
	s_load_dword s10, s[0:1], 0x0
	s_load_dwordx2 s[2:3], s[4:5], 0x30
	s_load_dwordx2 s[6:7], s[4:5], 0x58
	v_subb_co_u32_e64 v3, s[16:17], 0, 0, vcc
	s_waitcnt lgkmcnt(0)
	s_ashr_i32 s11, s10, 31
	s_lshl_b64 s[0:1], s[10:11], 3
	s_add_u32 s0, s2, s0
	s_addc_u32 s1, s3, s1
	s_load_dwordx4 s[0:3], s[0:1], 0x0
	s_waitcnt lgkmcnt(0)
	s_sub_u32 s16, s2, s12
	v_mov_b32_e32 v4, s1
	v_add_co_u32_e32 v2, vcc, s0, v1
	s_subb_u32 s17, s3, 0
	v_addc_co_u32_e32 v3, vcc, v4, v3, vcc
	v_cmp_gt_i64_e32 vcc, s[16:17], v[2:3]
	s_and_saveexec_b64 s[18:19], vcc
	s_cbranch_execz .LBB108_9
; %bb.6:
	s_load_dwordx4 s[0:3], s[4:5], 0x38
	s_load_dwordx2 s[20:21], s[4:5], 0x48
	v_lshlrev_b64 v[4:5], 2, v[2:3]
	v_mov_b32_e32 v6, 0
	s_waitcnt lgkmcnt(0)
	v_mov_b32_e32 v1, s1
	v_add_co_u32_e32 v4, vcc, s0, v4
	v_addc_co_u32_e32 v5, vcc, v1, v5, vcc
	s_mov_b64 s[0:1], 0
	v_mov_b32_e32 v1, s3
	v_mov_b32_e32 v7, s21
.LBB108_7:                              ; =>This Inner Loop Header: Depth=1
	global_load_dword v10, v[4:5], off
	v_add_co_u32_e32 v8, vcc, s2, v2
	v_addc_co_u32_e32 v9, vcc, v1, v3, vcc
	global_load_sbyte v11, v[8:9], off
	s_waitcnt vmcnt(1)
	v_subrev_u32_e32 v8, s12, v10
	v_ashrrev_i32_e32 v9, 31, v8
	v_add_co_u32_e32 v8, vcc, s20, v8
	v_addc_co_u32_e32 v9, vcc, v7, v9, vcc
	global_load_sbyte v8, v[8:9], off
	v_add_co_u32_e32 v2, vcc, 0x100, v2
	s_waitcnt vmcnt(1)
	v_cvt_f32_i32_e32 v9, v11
	v_addc_co_u32_e32 v3, vcc, 0, v3, vcc
	v_add_co_u32_e32 v4, vcc, 0x400, v4
	v_addc_co_u32_e32 v5, vcc, 0, v5, vcc
	v_cmp_le_i64_e32 vcc, s[16:17], v[2:3]
	v_mul_f32_e32 v9, s14, v9
	s_or_b64 s[0:1], vcc, s[0:1]
	s_waitcnt vmcnt(0)
	v_cvt_f32_i32_e32 v8, v8
	v_fmac_f32_e32 v6, v9, v8
	s_andn2_b64 exec, exec, s[0:1]
	s_cbranch_execnz .LBB108_7
; %bb.8:
	s_or_b64 exec, exec, s[0:1]
.LBB108_9:
	s_or_b64 exec, exec, s[18:19]
	s_movk_i32 s0, 0x80
	v_lshlrev_b32_e32 v1, 2, v0
	v_cmp_gt_u32_e32 vcc, s0, v0
	ds_write_b32 v1, v6
	s_waitcnt lgkmcnt(0)
	s_barrier
	s_and_saveexec_b64 s[0:1], vcc
	s_cbranch_execz .LBB108_11
; %bb.10:
	ds_read2st64_b32 v[2:3], v1 offset1:2
	s_waitcnt lgkmcnt(0)
	v_add_f32_e32 v2, v2, v3
	ds_write_b32 v1, v2
.LBB108_11:
	s_or_b64 exec, exec, s[0:1]
	v_cmp_gt_u32_e32 vcc, 64, v0
	s_waitcnt lgkmcnt(0)
	s_barrier
	s_and_saveexec_b64 s[0:1], vcc
	s_cbranch_execz .LBB108_13
; %bb.12:
	ds_read2st64_b32 v[2:3], v1 offset1:1
	s_waitcnt lgkmcnt(0)
	v_add_f32_e32 v2, v2, v3
	ds_write_b32 v1, v2
.LBB108_13:
	s_or_b64 exec, exec, s[0:1]
	v_cmp_gt_u32_e32 vcc, 32, v0
	s_waitcnt lgkmcnt(0)
	s_barrier
	s_and_saveexec_b64 s[0:1], vcc
	s_cbranch_execz .LBB108_15
; %bb.14:
	ds_read2_b32 v[2:3], v1 offset1:32
	s_waitcnt lgkmcnt(0)
	v_add_f32_e32 v2, v2, v3
	ds_write_b32 v1, v2
.LBB108_15:
	s_or_b64 exec, exec, s[0:1]
	v_cmp_gt_u32_e32 vcc, 16, v0
	s_waitcnt lgkmcnt(0)
	s_barrier
	s_and_saveexec_b64 s[0:1], vcc
	s_cbranch_execz .LBB108_17
; %bb.16:
	ds_read2_b32 v[2:3], v1 offset1:16
	s_waitcnt lgkmcnt(0)
	v_add_f32_e32 v2, v2, v3
	ds_write_b32 v1, v2
.LBB108_17:
	;; [unrolled: 12-line block ×5, first 2 shown]
	s_or_b64 exec, exec, s[0:1]
	v_cmp_eq_u32_e32 vcc, 0, v0
	s_waitcnt lgkmcnt(0)
	s_barrier
	s_and_saveexec_b64 s[0:1], vcc
	s_cbranch_execz .LBB108_25
; %bb.24:
	v_mov_b32_e32 v2, 0
	ds_read_b64 v[0:1], v2
	s_waitcnt lgkmcnt(0)
	v_add_f32_e32 v0, v0, v1
	ds_write_b32 v2, v0
.LBB108_25:
	s_or_b64 exec, exec, s[0:1]
	s_waitcnt lgkmcnt(0)
	s_barrier
	s_and_saveexec_b64 s[0:1], vcc
	s_cbranch_execz .LBB108_29
; %bb.26:
	v_mov_b32_e32 v0, 0
	ds_read_b32 v1, v0
	v_cmp_eq_f32_e64 s[0:1], s8, 0
	s_and_b64 vcc, exec, s[0:1]
	s_cbranch_vccnz .LBB108_28
; %bb.27:
	s_lshl_b64 s[0:1], s[10:11], 2
	s_add_u32 s0, s6, s0
	s_addc_u32 s1, s7, s1
	s_load_dword s0, s[0:1], 0x0
	s_waitcnt lgkmcnt(0)
	v_mov_b32_e32 v2, s0
	v_fmac_f32_e32 v1, s8, v2
.LBB108_28:
	s_lshl_b64 s[0:1], s[10:11], 2
	s_add_u32 s0, s6, s0
	s_addc_u32 s1, s7, s1
	s_waitcnt lgkmcnt(0)
	global_store_dword v0, v1, s[0:1]
.LBB108_29:
	s_endpgm
	.section	.rodata,"a",@progbits
	.p2align	6, 0x0
	.amdhsa_kernel _ZN9rocsparseL29csrmvn_lrb_medium_rows_kernelILj256EliaaffEEvbT0_PT1_S3_jNS_24const_host_device_scalarIT5_EEPKS1_PKS2_PKT2_PKT3_S6_PT4_21rocsparse_index_base_b
		.amdhsa_group_segment_fixed_size 1024
		.amdhsa_private_segment_fixed_size 0
		.amdhsa_kernarg_size 104
		.amdhsa_user_sgpr_count 6
		.amdhsa_user_sgpr_private_segment_buffer 1
		.amdhsa_user_sgpr_dispatch_ptr 0
		.amdhsa_user_sgpr_queue_ptr 0
		.amdhsa_user_sgpr_kernarg_segment_ptr 1
		.amdhsa_user_sgpr_dispatch_id 0
		.amdhsa_user_sgpr_flat_scratch_init 0
		.amdhsa_user_sgpr_kernarg_preload_length 0
		.amdhsa_user_sgpr_kernarg_preload_offset 0
		.amdhsa_user_sgpr_private_segment_size 0
		.amdhsa_uses_dynamic_stack 0
		.amdhsa_system_sgpr_private_segment_wavefront_offset 0
		.amdhsa_system_sgpr_workgroup_id_x 1
		.amdhsa_system_sgpr_workgroup_id_y 0
		.amdhsa_system_sgpr_workgroup_id_z 0
		.amdhsa_system_sgpr_workgroup_info 0
		.amdhsa_system_vgpr_workitem_id 0
		.amdhsa_next_free_vgpr 12
		.amdhsa_next_free_sgpr 22
		.amdhsa_accum_offset 12
		.amdhsa_reserve_vcc 1
		.amdhsa_reserve_flat_scratch 0
		.amdhsa_float_round_mode_32 0
		.amdhsa_float_round_mode_16_64 0
		.amdhsa_float_denorm_mode_32 3
		.amdhsa_float_denorm_mode_16_64 3
		.amdhsa_dx10_clamp 1
		.amdhsa_ieee_mode 1
		.amdhsa_fp16_overflow 0
		.amdhsa_tg_split 0
		.amdhsa_exception_fp_ieee_invalid_op 0
		.amdhsa_exception_fp_denorm_src 0
		.amdhsa_exception_fp_ieee_div_zero 0
		.amdhsa_exception_fp_ieee_overflow 0
		.amdhsa_exception_fp_ieee_underflow 0
		.amdhsa_exception_fp_ieee_inexact 0
		.amdhsa_exception_int_div_zero 0
	.end_amdhsa_kernel
	.section	.text._ZN9rocsparseL29csrmvn_lrb_medium_rows_kernelILj256EliaaffEEvbT0_PT1_S3_jNS_24const_host_device_scalarIT5_EEPKS1_PKS2_PKT2_PKT3_S6_PT4_21rocsparse_index_base_b,"axG",@progbits,_ZN9rocsparseL29csrmvn_lrb_medium_rows_kernelILj256EliaaffEEvbT0_PT1_S3_jNS_24const_host_device_scalarIT5_EEPKS1_PKS2_PKT2_PKT3_S6_PT4_21rocsparse_index_base_b,comdat
.Lfunc_end108:
	.size	_ZN9rocsparseL29csrmvn_lrb_medium_rows_kernelILj256EliaaffEEvbT0_PT1_S3_jNS_24const_host_device_scalarIT5_EEPKS1_PKS2_PKT2_PKT3_S6_PT4_21rocsparse_index_base_b, .Lfunc_end108-_ZN9rocsparseL29csrmvn_lrb_medium_rows_kernelILj256EliaaffEEvbT0_PT1_S3_jNS_24const_host_device_scalarIT5_EEPKS1_PKS2_PKT2_PKT3_S6_PT4_21rocsparse_index_base_b
                                        ; -- End function
	.section	.AMDGPU.csdata,"",@progbits
; Kernel info:
; codeLenInByte = 964
; NumSgprs: 26
; NumVgprs: 12
; NumAgprs: 0
; TotalNumVgprs: 12
; ScratchSize: 0
; MemoryBound: 0
; FloatMode: 240
; IeeeMode: 1
; LDSByteSize: 1024 bytes/workgroup (compile time only)
; SGPRBlocks: 3
; VGPRBlocks: 1
; NumSGPRsForWavesPerEU: 26
; NumVGPRsForWavesPerEU: 12
; AccumOffset: 12
; Occupancy: 8
; WaveLimiterHint : 1
; COMPUTE_PGM_RSRC2:SCRATCH_EN: 0
; COMPUTE_PGM_RSRC2:USER_SGPR: 6
; COMPUTE_PGM_RSRC2:TRAP_HANDLER: 0
; COMPUTE_PGM_RSRC2:TGID_X_EN: 1
; COMPUTE_PGM_RSRC2:TGID_Y_EN: 0
; COMPUTE_PGM_RSRC2:TGID_Z_EN: 0
; COMPUTE_PGM_RSRC2:TIDIG_COMP_CNT: 0
; COMPUTE_PGM_RSRC3_GFX90A:ACCUM_OFFSET: 2
; COMPUTE_PGM_RSRC3_GFX90A:TG_SPLIT: 0
	.section	.text._ZN9rocsparseL27csrmvn_lrb_long_rows_kernelIliaaffEEvbT_PjPT0_S4_jNS_24const_host_device_scalarIT4_EEPKS1_PKS3_PKT1_PKT2_S7_PT3_21rocsparse_index_base_b,"axG",@progbits,_ZN9rocsparseL27csrmvn_lrb_long_rows_kernelIliaaffEEvbT_PjPT0_S4_jNS_24const_host_device_scalarIT4_EEPKS1_PKS3_PKT1_PKT2_S7_PT3_21rocsparse_index_base_b,comdat
	.globl	_ZN9rocsparseL27csrmvn_lrb_long_rows_kernelIliaaffEEvbT_PjPT0_S4_jNS_24const_host_device_scalarIT4_EEPKS1_PKS3_PKT1_PKT2_S7_PT3_21rocsparse_index_base_b ; -- Begin function _ZN9rocsparseL27csrmvn_lrb_long_rows_kernelIliaaffEEvbT_PjPT0_S4_jNS_24const_host_device_scalarIT4_EEPKS1_PKS3_PKT1_PKT2_S7_PT3_21rocsparse_index_base_b
	.p2align	8
	.type	_ZN9rocsparseL27csrmvn_lrb_long_rows_kernelIliaaffEEvbT_PjPT0_S4_jNS_24const_host_device_scalarIT4_EEPKS1_PKS3_PKT1_PKT2_S7_PT3_21rocsparse_index_base_b,@function
_ZN9rocsparseL27csrmvn_lrb_long_rows_kernelIliaaffEEvbT_PjPT0_S4_jNS_24const_host_device_scalarIT4_EEPKS1_PKS3_PKT1_PKT2_S7_PT3_21rocsparse_index_base_b: ; @_ZN9rocsparseL27csrmvn_lrb_long_rows_kernelIliaaffEEvbT_PjPT0_S4_jNS_24const_host_device_scalarIT4_EEPKS1_PKS3_PKT1_PKT2_S7_PT3_21rocsparse_index_base_b
; %bb.0:
	s_load_dwordx2 s[16:17], s[4:5], 0x68
	s_load_dwordx2 s[18:19], s[4:5], 0x30
	;; [unrolled: 1-line block ×3, first 2 shown]
	s_waitcnt lgkmcnt(0)
	s_bitcmp1_b32 s17, 0
	s_cselect_b64 s[2:3], -1, 0
	s_xor_b64 s[0:1], s[2:3], -1
	s_and_b64 vcc, exec, s[2:3]
	s_cbranch_vccnz .LBB109_2
; %bb.1:
	s_load_dword s18, s[18:19], 0x0
.LBB109_2:
	s_andn2_b64 vcc, exec, s[0:1]
	s_cbranch_vccnz .LBB109_4
; %bb.3:
	s_load_dword s20, s[20:21], 0x0
.LBB109_4:
	s_waitcnt lgkmcnt(0)
	v_cmp_neq_f32_e64 s[0:1], s18, 0
	v_cmp_neq_f32_e64 s[2:3], s20, 1.0
	s_or_b64 s[0:1], s[0:1], s[2:3]
	s_andn2_b64 vcc, exec, s[0:1]
	s_mov_b32 s1, 0
	s_cbranch_vccnz .LBB109_39
; %bb.5:
	s_load_dword s0, s[4:5], 0x28
	s_load_dwordx2 s[2:3], s[4:5], 0x20
	s_waitcnt lgkmcnt(0)
	s_lshl_b64 s[8:9], s[0:1], 2
	s_add_u32 s8, s2, s8
	s_addc_u32 s9, s3, s9
	s_lshl_b32 s0, -1, s0
	s_not_b32 s0, s0
	s_mul_hi_u32 s0, s0, 0x2aaaaaab
	s_lshr_b32 s7, s0, 7
	s_add_i32 s10, s7, 1
	v_cvt_f32_u32_e32 v1, s10
	s_load_dwordx4 s[0:3], s[4:5], 0x10
	s_load_dword s11, s[8:9], 0x0
	s_not_b32 s7, s7
	v_rcp_iflag_f32_e32 v1, v1
	v_mul_f32_e32 v1, 0x4f7ffffe, v1
	v_cvt_u32_f32_e32 v1, v1
	v_readfirstlane_b32 s8, v1
	s_mul_i32 s7, s7, s8
	s_mul_hi_u32 s7, s8, s7
	s_add_i32 s8, s8, s7
	s_mul_hi_u32 s7, s6, s8
	s_mul_i32 s8, s7, s10
	s_sub_i32 s8, s6, s8
	s_add_i32 s9, s7, 1
	s_sub_i32 s12, s8, s10
	s_cmp_ge_u32 s8, s10
	s_cselect_b32 s7, s9, s7
	s_cselect_b32 s8, s12, s8
	s_add_i32 s9, s7, 1
	s_cmp_ge_u32 s8, s10
	s_cselect_b32 s7, s9, s7
	s_waitcnt lgkmcnt(0)
	s_add_i32 s8, s7, s11
	s_mul_i32 s14, s7, s10
	s_ashr_i32 s9, s8, 31
	s_sub_i32 s19, s6, s14
	s_lshl_b64 s[8:9], s[8:9], 2
	s_add_u32 s8, s2, s8
	s_addc_u32 s9, s3, s9
	s_load_dword s12, s[8:9], 0x0
	s_load_dwordx2 s[10:11], s[4:5], 0x38
	s_load_dwordx2 s[2:3], s[4:5], 0x60
	v_or_b32_e32 v1, s19, v0
	v_cmp_eq_u32_e32 vcc, 0, v1
	s_waitcnt lgkmcnt(0)
	s_ashr_i32 s13, s12, 31
	s_lshl_b64 s[8:9], s[12:13], 3
	s_add_u32 s8, s10, s8
	s_addc_u32 s9, s11, s9
	s_ashr_i32 s7, s6, 31
	s_lshl_b64 s[6:7], s[6:7], 2
	s_add_u32 s6, s0, s6
	s_addc_u32 s7, s1, s7
	s_load_dwordx4 s[8:11], s[8:9], 0x0
	v_mov_b32_e32 v1, 0
	s_load_dword s17, s[6:7], 0x0
	s_and_saveexec_b64 s[22:23], vcc
	s_cbranch_execz .LBB109_9
; %bb.6:
	s_lshl_b64 s[26:27], s[12:13], 2
	s_add_u32 s26, s2, s26
	s_addc_u32 s27, s3, s27
	s_load_dword s26, s[26:27], 0x0
	s_mov_b64 s[24:25], exec
	v_mbcnt_lo_u32_b32 v2, s24, 0
	v_mbcnt_hi_u32_b32 v2, s25, v2
	v_add_f32_e64 v1, s20, -1.0
	v_cmp_eq_u32_e32 vcc, 0, v2
	s_waitcnt vmcnt(0) expcnt(0) lgkmcnt(0)
	s_and_saveexec_b64 s[20:21], vcc
	s_cbranch_execz .LBB109_8
; %bb.7:
	s_ashr_i32 s15, s14, 31
	s_lshl_b64 s[28:29], s[14:15], 2
	s_add_u32 s28, s0, s28
	s_addc_u32 s29, s1, s29
	s_bcnt1_i32_b64 s15, s[24:25]
	s_and_b32 s15, s15, 1
	v_mov_b32_e32 v2, 0
	v_mov_b32_e32 v3, s15
	global_atomic_xor v2, v3, s[28:29]
.LBB109_8:
	s_or_b64 exec, exec, s[20:21]
	v_mul_f32_e32 v1, s26, v1
.LBB109_9:
	s_or_b64 exec, exec, s[22:23]
	s_mul_i32 s20, s19, 3
	s_mov_b32 s21, 0
	s_lshl_b64 s[20:21], s[20:21], 8
	s_waitcnt lgkmcnt(0)
	s_sub_u32 s8, s8, s16
	s_subb_u32 s9, s9, 0
	s_add_u32 s15, s8, s20
	s_addc_u32 s22, s9, s21
	s_sub_u32 s8, s10, s16
	s_subb_u32 s9, s11, 0
	s_add_u32 s10, s15, 0x300
	s_addc_u32 s11, s22, 0
	v_pk_mov_b32 v[2:3], s[8:9], s[8:9] op_sel:[0,1]
	v_cmp_lt_i64_e32 vcc, s[10:11], v[2:3]
	s_and_b64 s[20:21], vcc, exec
	v_mov_b32_e32 v3, s22
	v_add_co_u32_e32 v2, vcc, s15, v0
	s_cselect_b32 s21, s11, s9
	s_cselect_b32 s20, s10, s8
	v_addc_co_u32_e32 v3, vcc, 0, v3, vcc
	v_cmp_gt_i64_e32 vcc, s[20:21], v[2:3]
	s_and_saveexec_b64 s[22:23], vcc
	s_cbranch_execz .LBB109_13
; %bb.10:
	s_load_dwordx4 s[8:11], s[4:5], 0x40
	s_load_dwordx2 s[24:25], s[4:5], 0x50
	v_lshlrev_b64 v[4:5], 2, v[2:3]
	s_mov_b64 s[4:5], 0
	s_waitcnt lgkmcnt(0)
	v_mov_b32_e32 v6, s9
	v_add_co_u32_e32 v4, vcc, s8, v4
	v_addc_co_u32_e32 v5, vcc, v6, v5, vcc
	v_mov_b32_e32 v6, s11
	v_mov_b32_e32 v7, s25
.LBB109_11:                             ; =>This Inner Loop Header: Depth=1
	global_load_dword v10, v[4:5], off
	v_add_co_u32_e32 v8, vcc, s10, v2
	v_addc_co_u32_e32 v9, vcc, v6, v3, vcc
	global_load_sbyte v11, v[8:9], off
	s_waitcnt vmcnt(1)
	v_subrev_u32_e32 v8, s16, v10
	v_ashrrev_i32_e32 v9, 31, v8
	v_add_co_u32_e32 v8, vcc, s24, v8
	v_addc_co_u32_e32 v9, vcc, v7, v9, vcc
	global_load_sbyte v8, v[8:9], off
	v_add_co_u32_e32 v2, vcc, 0x100, v2
	s_waitcnt vmcnt(1)
	v_cvt_f32_i32_e32 v9, v11
	v_addc_co_u32_e32 v3, vcc, 0, v3, vcc
	v_add_co_u32_e32 v4, vcc, 0x400, v4
	v_addc_co_u32_e32 v5, vcc, 0, v5, vcc
	v_cmp_le_i64_e32 vcc, s[20:21], v[2:3]
	v_mul_f32_e32 v9, s18, v9
	s_or_b64 s[4:5], vcc, s[4:5]
	s_waitcnt vmcnt(0)
	v_cvt_f32_i32_e32 v8, v8
	v_fmac_f32_e32 v1, v9, v8
	s_andn2_b64 exec, exec, s[4:5]
	s_cbranch_execnz .LBB109_11
; %bb.12:
	s_or_b64 exec, exec, s[4:5]
.LBB109_13:
	s_or_b64 exec, exec, s[22:23]
	s_movk_i32 s4, 0x80
	v_lshlrev_b32_e32 v2, 2, v0
	v_cmp_gt_u32_e32 vcc, s4, v0
	ds_write_b32 v2, v1
	s_waitcnt lgkmcnt(0)
	s_barrier
	s_and_saveexec_b64 s[4:5], vcc
	s_cbranch_execz .LBB109_15
; %bb.14:
	ds_read2st64_b32 v[4:5], v2 offset1:2
	s_waitcnt lgkmcnt(0)
	v_add_f32_e32 v1, v4, v5
	ds_write_b32 v2, v1
.LBB109_15:
	s_or_b64 exec, exec, s[4:5]
	v_cmp_gt_u32_e32 vcc, 64, v0
	s_waitcnt lgkmcnt(0)
	s_barrier
	s_and_saveexec_b64 s[4:5], vcc
	s_cbranch_execz .LBB109_17
; %bb.16:
	ds_read2st64_b32 v[4:5], v2 offset1:1
	s_waitcnt lgkmcnt(0)
	v_add_f32_e32 v1, v4, v5
	ds_write_b32 v2, v1
.LBB109_17:
	s_or_b64 exec, exec, s[4:5]
	v_cmp_gt_u32_e32 vcc, 32, v0
	s_waitcnt lgkmcnt(0)
	s_barrier
	s_and_saveexec_b64 s[4:5], vcc
	s_cbranch_execz .LBB109_19
; %bb.18:
	ds_read2_b32 v[4:5], v2 offset1:32
	s_waitcnt lgkmcnt(0)
	v_add_f32_e32 v1, v4, v5
	ds_write_b32 v2, v1
.LBB109_19:
	s_or_b64 exec, exec, s[4:5]
	v_cmp_gt_u32_e32 vcc, 16, v0
	s_waitcnt lgkmcnt(0)
	s_barrier
	s_and_saveexec_b64 s[4:5], vcc
	s_cbranch_execz .LBB109_21
; %bb.20:
	ds_read2_b32 v[4:5], v2 offset1:16
	s_waitcnt lgkmcnt(0)
	v_add_f32_e32 v1, v4, v5
	ds_write_b32 v2, v1
.LBB109_21:
	s_or_b64 exec, exec, s[4:5]
	v_cmp_gt_u32_e32 vcc, 8, v0
	s_waitcnt lgkmcnt(0)
	s_barrier
	s_and_saveexec_b64 s[4:5], vcc
	s_cbranch_execz .LBB109_23
; %bb.22:
	ds_read2_b32 v[4:5], v2 offset1:8
	s_waitcnt lgkmcnt(0)
	v_add_f32_e32 v1, v4, v5
	ds_write_b32 v2, v1
.LBB109_23:
	s_or_b64 exec, exec, s[4:5]
	v_cmp_gt_u32_e32 vcc, 4, v0
	s_waitcnt lgkmcnt(0)
	s_barrier
	s_and_saveexec_b64 s[4:5], vcc
	s_cbranch_execz .LBB109_25
; %bb.24:
	ds_read2_b32 v[4:5], v2 offset1:4
	s_waitcnt lgkmcnt(0)
	v_add_f32_e32 v1, v4, v5
	ds_write_b32 v2, v1
.LBB109_25:
	s_or_b64 exec, exec, s[4:5]
	v_cmp_gt_u32_e32 vcc, 2, v0
	s_waitcnt lgkmcnt(0)
	s_barrier
	s_and_saveexec_b64 s[4:5], vcc
	s_cbranch_execz .LBB109_27
; %bb.26:
	ds_read2_b32 v[4:5], v2 offset1:2
	s_waitcnt lgkmcnt(0)
	v_add_f32_e32 v1, v4, v5
	ds_write_b32 v2, v1
.LBB109_27:
	s_or_b64 exec, exec, s[4:5]
	v_cmp_eq_u32_e32 vcc, 0, v0
	s_waitcnt lgkmcnt(0)
	s_barrier
	s_and_saveexec_b64 s[4:5], vcc
	s_cbranch_execz .LBB109_29
; %bb.28:
	v_mov_b32_e32 v2, 0
	ds_read_b64 v[0:1], v2
	s_waitcnt lgkmcnt(0)
	v_add_f32_e32 v0, v0, v1
	ds_write_b32 v2, v0
.LBB109_29:
	s_or_b64 exec, exec, s[4:5]
	s_waitcnt lgkmcnt(0)
	s_barrier
	s_and_saveexec_b64 s[4:5], vcc
	s_cbranch_execz .LBB109_39
; %bb.30:
	s_cmp_eq_u32 s19, 0
	s_cbranch_scc1 .LBB109_36
; %bb.31:
	s_ashr_i32 s15, s14, 31
	s_lshl_b64 s[4:5], s[14:15], 2
	s_add_u32 s0, s0, s4
	s_addc_u32 s1, s1, s5
	v_mov_b32_e32 v0, 0
	s_branch .LBB109_33
.LBB109_32:                             ;   in Loop: Header=BB109_33 Depth=1
	s_or_b64 exec, exec, s[4:5]
	s_waitcnt vmcnt(0)
	v_readfirstlane_b32 s4, v1
	s_cmp_eq_u32 s4, s17
	s_cbranch_scc0 .LBB109_35
.LBB109_33:                             ; =>This Inner Loop Header: Depth=1
	v_mbcnt_lo_u32_b32 v1, exec_lo, 0
	v_mbcnt_hi_u32_b32 v1, exec_hi, v1
	v_cmp_eq_u32_e32 vcc, 0, v1
                                        ; implicit-def: $vgpr1
	s_and_saveexec_b64 s[4:5], vcc
	s_cbranch_execz .LBB109_32
; %bb.34:                               ;   in Loop: Header=BB109_33 Depth=1
	global_load_dword v1, v0, s[0:1] glc
	s_branch .LBB109_32
.LBB109_35:
	v_mov_b32_e32 v0, 0
	global_load_dword v1, v0, s[6:7]
	s_waitcnt vmcnt(0)
	v_xor_b32_e32 v1, 1, v1
	global_store_dword v0, v1, s[6:7]
.LBB109_36:
	s_mov_b64 s[4:5], exec
	v_mbcnt_lo_u32_b32 v0, s4, 0
	v_mbcnt_hi_u32_b32 v0, s5, v0
	v_cmp_eq_u32_e32 vcc, 0, v0
	s_and_b64 s[0:1], exec, vcc
	s_mov_b64 exec, s[0:1]
	s_cbranch_execz .LBB109_39
; %bb.37:
	s_lshl_b64 s[0:1], s[12:13], 2
	s_add_u32 s0, s2, s0
	s_addc_u32 s1, s3, s1
	v_mov_b32_e32 v2, 0
	global_load_dword v1, v2, s[0:1]
	ds_read_b32 v0, v2
	s_bcnt1_i32_b64 s2, s[4:5]
	v_cvt_f32_ubyte0_e32 v3, s2
	s_mov_b64 s[2:3], 0
	s_waitcnt lgkmcnt(0)
	v_mul_f32_e32 v3, v0, v3
.LBB109_38:                             ; =>This Inner Loop Header: Depth=1
	s_waitcnt vmcnt(0)
	v_add_f32_e32 v0, v1, v3
	global_atomic_cmpswap v0, v2, v[0:1], s[0:1] glc
	s_waitcnt vmcnt(0)
	v_cmp_eq_u32_e32 vcc, v0, v1
	s_or_b64 s[2:3], vcc, s[2:3]
	v_mov_b32_e32 v1, v0
	s_andn2_b64 exec, exec, s[2:3]
	s_cbranch_execnz .LBB109_38
.LBB109_39:
	s_endpgm
	.section	.rodata,"a",@progbits
	.p2align	6, 0x0
	.amdhsa_kernel _ZN9rocsparseL27csrmvn_lrb_long_rows_kernelIliaaffEEvbT_PjPT0_S4_jNS_24const_host_device_scalarIT4_EEPKS1_PKS3_PKT1_PKT2_S7_PT3_21rocsparse_index_base_b
		.amdhsa_group_segment_fixed_size 1024
		.amdhsa_private_segment_fixed_size 0
		.amdhsa_kernarg_size 112
		.amdhsa_user_sgpr_count 6
		.amdhsa_user_sgpr_private_segment_buffer 1
		.amdhsa_user_sgpr_dispatch_ptr 0
		.amdhsa_user_sgpr_queue_ptr 0
		.amdhsa_user_sgpr_kernarg_segment_ptr 1
		.amdhsa_user_sgpr_dispatch_id 0
		.amdhsa_user_sgpr_flat_scratch_init 0
		.amdhsa_user_sgpr_kernarg_preload_length 0
		.amdhsa_user_sgpr_kernarg_preload_offset 0
		.amdhsa_user_sgpr_private_segment_size 0
		.amdhsa_uses_dynamic_stack 0
		.amdhsa_system_sgpr_private_segment_wavefront_offset 0
		.amdhsa_system_sgpr_workgroup_id_x 1
		.amdhsa_system_sgpr_workgroup_id_y 0
		.amdhsa_system_sgpr_workgroup_id_z 0
		.amdhsa_system_sgpr_workgroup_info 0
		.amdhsa_system_vgpr_workitem_id 0
		.amdhsa_next_free_vgpr 12
		.amdhsa_next_free_sgpr 30
		.amdhsa_accum_offset 12
		.amdhsa_reserve_vcc 1
		.amdhsa_reserve_flat_scratch 0
		.amdhsa_float_round_mode_32 0
		.amdhsa_float_round_mode_16_64 0
		.amdhsa_float_denorm_mode_32 3
		.amdhsa_float_denorm_mode_16_64 3
		.amdhsa_dx10_clamp 1
		.amdhsa_ieee_mode 1
		.amdhsa_fp16_overflow 0
		.amdhsa_tg_split 0
		.amdhsa_exception_fp_ieee_invalid_op 0
		.amdhsa_exception_fp_denorm_src 0
		.amdhsa_exception_fp_ieee_div_zero 0
		.amdhsa_exception_fp_ieee_overflow 0
		.amdhsa_exception_fp_ieee_underflow 0
		.amdhsa_exception_fp_ieee_inexact 0
		.amdhsa_exception_int_div_zero 0
	.end_amdhsa_kernel
	.section	.text._ZN9rocsparseL27csrmvn_lrb_long_rows_kernelIliaaffEEvbT_PjPT0_S4_jNS_24const_host_device_scalarIT4_EEPKS1_PKS3_PKT1_PKT2_S7_PT3_21rocsparse_index_base_b,"axG",@progbits,_ZN9rocsparseL27csrmvn_lrb_long_rows_kernelIliaaffEEvbT_PjPT0_S4_jNS_24const_host_device_scalarIT4_EEPKS1_PKS3_PKT1_PKT2_S7_PT3_21rocsparse_index_base_b,comdat
.Lfunc_end109:
	.size	_ZN9rocsparseL27csrmvn_lrb_long_rows_kernelIliaaffEEvbT_PjPT0_S4_jNS_24const_host_device_scalarIT4_EEPKS1_PKS3_PKT1_PKT2_S7_PT3_21rocsparse_index_base_b, .Lfunc_end109-_ZN9rocsparseL27csrmvn_lrb_long_rows_kernelIliaaffEEvbT_PjPT0_S4_jNS_24const_host_device_scalarIT4_EEPKS1_PKS3_PKT1_PKT2_S7_PT3_21rocsparse_index_base_b
                                        ; -- End function
	.section	.AMDGPU.csdata,"",@progbits
; Kernel info:
; codeLenInByte = 1456
; NumSgprs: 34
; NumVgprs: 12
; NumAgprs: 0
; TotalNumVgprs: 12
; ScratchSize: 0
; MemoryBound: 0
; FloatMode: 240
; IeeeMode: 1
; LDSByteSize: 1024 bytes/workgroup (compile time only)
; SGPRBlocks: 4
; VGPRBlocks: 1
; NumSGPRsForWavesPerEU: 34
; NumVGPRsForWavesPerEU: 12
; AccumOffset: 12
; Occupancy: 8
; WaveLimiterHint : 1
; COMPUTE_PGM_RSRC2:SCRATCH_EN: 0
; COMPUTE_PGM_RSRC2:USER_SGPR: 6
; COMPUTE_PGM_RSRC2:TRAP_HANDLER: 0
; COMPUTE_PGM_RSRC2:TGID_X_EN: 1
; COMPUTE_PGM_RSRC2:TGID_Y_EN: 0
; COMPUTE_PGM_RSRC2:TGID_Z_EN: 0
; COMPUTE_PGM_RSRC2:TIDIG_COMP_CNT: 0
; COMPUTE_PGM_RSRC3_GFX90A:ACCUM_OFFSET: 2
; COMPUTE_PGM_RSRC3_GFX90A:TG_SPLIT: 0
	.section	.text._ZN9rocsparseL28csrmvn_lrb_short_rows_kernelIllaaffEEvbT_PT0_S3_jNS_24const_host_device_scalarIT4_EEPKS1_PKS2_PKT1_PKT2_S6_PT3_21rocsparse_index_base_b,"axG",@progbits,_ZN9rocsparseL28csrmvn_lrb_short_rows_kernelIllaaffEEvbT_PT0_S3_jNS_24const_host_device_scalarIT4_EEPKS1_PKS2_PKT1_PKT2_S6_PT3_21rocsparse_index_base_b,comdat
	.globl	_ZN9rocsparseL28csrmvn_lrb_short_rows_kernelIllaaffEEvbT_PT0_S3_jNS_24const_host_device_scalarIT4_EEPKS1_PKS2_PKT1_PKT2_S6_PT3_21rocsparse_index_base_b ; -- Begin function _ZN9rocsparseL28csrmvn_lrb_short_rows_kernelIllaaffEEvbT_PT0_S3_jNS_24const_host_device_scalarIT4_EEPKS1_PKS2_PKT1_PKT2_S6_PT3_21rocsparse_index_base_b
	.p2align	8
	.type	_ZN9rocsparseL28csrmvn_lrb_short_rows_kernelIllaaffEEvbT_PT0_S3_jNS_24const_host_device_scalarIT4_EEPKS1_PKS2_PKT1_PKT2_S6_PT3_21rocsparse_index_base_b,@function
_ZN9rocsparseL28csrmvn_lrb_short_rows_kernelIllaaffEEvbT_PT0_S3_jNS_24const_host_device_scalarIT4_EEPKS1_PKS2_PKT1_PKT2_S6_PT3_21rocsparse_index_base_b: ; @_ZN9rocsparseL28csrmvn_lrb_short_rows_kernelIllaaffEEvbT_PT0_S3_jNS_24const_host_device_scalarIT4_EEPKS1_PKS2_PKT1_PKT2_S6_PT3_21rocsparse_index_base_b
; %bb.0:
	s_load_dwordx2 s[20:21], s[4:5], 0x60
	s_load_dwordx2 s[22:23], s[4:5], 0x28
	;; [unrolled: 1-line block ×3, first 2 shown]
	s_waitcnt lgkmcnt(0)
	s_bitcmp1_b32 s21, 0
	s_cselect_b64 s[2:3], -1, 0
	s_xor_b64 s[0:1], s[2:3], -1
	s_and_b64 vcc, exec, s[2:3]
	s_cbranch_vccnz .LBB110_2
; %bb.1:
	s_load_dword s22, s[22:23], 0x0
.LBB110_2:
	s_andn2_b64 vcc, exec, s[0:1]
	s_cbranch_vccnz .LBB110_4
; %bb.3:
	s_load_dword s16, s[16:17], 0x0
.LBB110_4:
	s_waitcnt lgkmcnt(0)
	v_cmp_neq_f32_e64 s[0:1], s22, 0
	v_cmp_neq_f32_e64 s[2:3], s16, 1.0
	s_or_b64 s[0:1], s[0:1], s[2:3]
	s_andn2_b64 vcc, exec, s[0:1]
	s_mov_b32 s19, 0
	s_cbranch_vccnz .LBB110_18
; %bb.5:
	s_load_dword s18, s[4:5], 0x20
	s_load_dwordx4 s[0:3], s[4:5], 0x10
	s_mov_b32 s9, s19
	s_waitcnt lgkmcnt(0)
	s_lshl_b64 s[10:11], s[18:19], 3
	s_add_u32 s10, s2, s10
	s_addc_u32 s11, s3, s11
	s_add_i32 s8, s18, 1
	s_lshl_b64 s[8:9], s[8:9], 3
	s_add_u32 s8, s2, s8
	s_addc_u32 s9, s3, s9
	s_load_dwordx2 s[2:3], s[10:11], 0x0
	s_load_dword s7, s[8:9], 0x0
	s_lshl_b32 s6, s6, 8
	s_add_i32 s8, s6, 0x100
	s_waitcnt lgkmcnt(0)
	s_sub_i32 s7, s7, s2
	s_min_u32 s7, s7, s8
	s_cmp_gt_u32 s18, 23
	s_cbranch_scc1 .LBB110_12
; %bb.6:
	s_load_dwordx8 s[8:15], s[4:5], 0x30
	s_lshl_b32 s17, 0x100, s18
	s_lshl_b64 s[24:25], s[2:3], 3
	s_add_u32 s19, s0, s24
	s_mov_b32 s23, 0
	v_mov_b32_e32 v9, 0
	s_addc_u32 s21, s1, s25
	v_bfe_u32 v6, v0, 0, s18
	v_mov_b32_e32 v7, v9
	v_lshl_add_u32 v1, v0, 2, 0
	s_mov_b32 s28, s23
	s_branch .LBB110_9
.LBB110_7:                              ;   in Loop: Header=BB110_9 Depth=1
	s_or_b64 exec, exec, s[26:27]
	ds_write_b32 v1, v4
.LBB110_8:                              ;   in Loop: Header=BB110_9 Depth=1
	s_or_b64 exec, exec, s[24:25]
	s_addk_i32 s28, 0x100
	s_cmp_ge_u32 s28, s17
	v_add_u32_e32 v1, 0x400, v1
	s_cbranch_scc1 .LBB110_12
.LBB110_9:                              ; =>This Inner Loop Header: Depth=1
	v_add_u32_e32 v2, s28, v0
	v_lshrrev_b32_e32 v2, s18, v2
	v_add_u32_e32 v8, s6, v2
	v_cmp_gt_u32_e32 vcc, s7, v8
	s_and_saveexec_b64 s[24:25], vcc
	s_cbranch_execz .LBB110_8
; %bb.10:                               ;   in Loop: Header=BB110_9 Depth=1
	v_lshlrev_b64 v[2:3], 3, v[8:9]
	v_mov_b32_e32 v4, s21
	v_add_co_u32_e32 v2, vcc, s19, v2
	v_addc_co_u32_e32 v3, vcc, v4, v3, vcc
	global_load_dwordx2 v[2:3], v[2:3], off
	s_waitcnt lgkmcnt(0)
	v_mov_b32_e32 v4, s9
	s_waitcnt vmcnt(0)
	v_lshlrev_b64 v[2:3], 3, v[2:3]
	v_add_co_u32_e32 v2, vcc, s8, v2
	v_addc_co_u32_e32 v3, vcc, v4, v3, vcc
	global_load_dwordx4 v[2:5], v[2:3], off
	s_waitcnt vmcnt(0)
	v_sub_co_u32_e32 v4, vcc, v4, v2
	v_subb_co_u32_e32 v5, vcc, v5, v3, vcc
	v_cmp_gt_i64_e32 vcc, v[4:5], v[6:7]
	v_mov_b32_e32 v4, 0
	s_and_saveexec_b64 s[26:27], vcc
	s_cbranch_execz .LBB110_7
; %bb.11:                               ;   in Loop: Header=BB110_9 Depth=1
	v_mov_b32_e32 v8, s23
	v_subrev_co_u32_e32 v2, vcc, s20, v2
	v_subb_co_u32_e32 v3, vcc, v3, v8, vcc
	v_add_co_u32_e32 v2, vcc, v2, v6
	v_addc_co_u32_e32 v3, vcc, 0, v3, vcc
	v_lshlrev_b64 v[4:5], 3, v[2:3]
	v_mov_b32_e32 v10, s11
	v_add_co_u32_e32 v4, vcc, s10, v4
	v_addc_co_u32_e32 v5, vcc, v10, v5, vcc
	global_load_dwordx2 v[4:5], v[4:5], off
	v_mov_b32_e32 v10, s13
	v_add_co_u32_e32 v2, vcc, s12, v2
	v_addc_co_u32_e32 v3, vcc, v10, v3, vcc
	global_load_sbyte v10, v[2:3], off
	v_mov_b32_e32 v11, s15
	s_waitcnt vmcnt(1)
	v_subrev_co_u32_e32 v2, vcc, s20, v4
	v_subb_co_u32_e32 v3, vcc, v5, v8, vcc
	v_add_co_u32_e32 v2, vcc, s14, v2
	v_addc_co_u32_e32 v3, vcc, v11, v3, vcc
	global_load_sbyte v2, v[2:3], off
	s_waitcnt vmcnt(1)
	v_cvt_f32_i32_e32 v3, v10
	v_mul_f32_e32 v3, s22, v3
	s_waitcnt vmcnt(0)
	v_cvt_f32_i32_e32 v2, v2
	v_mul_f32_e32 v4, v3, v2
	s_branch .LBB110_7
.LBB110_12:
	s_sub_i32 s7, s7, s6
	v_cmp_gt_u32_e32 vcc, s7, v0
	s_waitcnt lgkmcnt(0)
	s_barrier
	s_and_saveexec_b64 s[8:9], vcc
	s_cbranch_execz .LBB110_18
; %bb.13:
	s_lshl_b64 s[2:3], s[2:3], 3
	s_mov_b32 s7, 0
	s_add_u32 s2, s0, s2
	s_addc_u32 s3, s1, s3
	s_lshl_b64 s[0:1], s[6:7], 3
	s_add_u32 s0, s2, s0
	s_addc_u32 s1, s3, s1
	v_lshlrev_b32_e32 v1, 3, v0
	global_load_dwordx2 v[2:3], v1, s[0:1]
	s_load_dwordx2 s[0:1], s[4:5], 0x58
	v_lshlrev_b32_e32 v0, s18, v0
	v_lshl_add_u32 v0, v0, 2, 0
	s_mov_b32 s2, 1
	v_mov_b32_e32 v4, 0
.LBB110_14:                             ; =>This Inner Loop Header: Depth=1
	ds_read_b32 v1, v0
	s_lshr_b32 s3, s2, s18
	s_add_i32 s2, s2, 1
	v_add_u32_e32 v0, 4, v0
	s_cmp_lg_u32 s3, 0
	s_waitcnt lgkmcnt(0)
	v_add_f32_e32 v4, v4, v1
	s_cbranch_scc0 .LBB110_14
; %bb.15:
	v_cmp_neq_f32_e64 s[2:3], s16, 0
	s_and_b64 vcc, exec, s[2:3]
	s_waitcnt vmcnt(0)
	v_lshlrev_b64 v[0:1], 2, v[2:3]
	s_cbranch_vccz .LBB110_17
; %bb.16:
	v_mov_b32_e32 v3, s1
	v_add_co_u32_e32 v2, vcc, s0, v0
	v_addc_co_u32_e32 v3, vcc, v3, v1, vcc
	global_load_dword v2, v[2:3], off
	s_waitcnt vmcnt(0)
	v_fmac_f32_e32 v4, s16, v2
.LBB110_17:
	v_mov_b32_e32 v2, s1
	v_add_co_u32_e32 v0, vcc, s0, v0
	v_addc_co_u32_e32 v1, vcc, v2, v1, vcc
	global_store_dword v[0:1], v4, off
.LBB110_18:
	s_endpgm
	.section	.rodata,"a",@progbits
	.p2align	6, 0x0
	.amdhsa_kernel _ZN9rocsparseL28csrmvn_lrb_short_rows_kernelIllaaffEEvbT_PT0_S3_jNS_24const_host_device_scalarIT4_EEPKS1_PKS2_PKT1_PKT2_S6_PT3_21rocsparse_index_base_b
		.amdhsa_group_segment_fixed_size 0
		.amdhsa_private_segment_fixed_size 0
		.amdhsa_kernarg_size 104
		.amdhsa_user_sgpr_count 6
		.amdhsa_user_sgpr_private_segment_buffer 1
		.amdhsa_user_sgpr_dispatch_ptr 0
		.amdhsa_user_sgpr_queue_ptr 0
		.amdhsa_user_sgpr_kernarg_segment_ptr 1
		.amdhsa_user_sgpr_dispatch_id 0
		.amdhsa_user_sgpr_flat_scratch_init 0
		.amdhsa_user_sgpr_kernarg_preload_length 0
		.amdhsa_user_sgpr_kernarg_preload_offset 0
		.amdhsa_user_sgpr_private_segment_size 0
		.amdhsa_uses_dynamic_stack 0
		.amdhsa_system_sgpr_private_segment_wavefront_offset 0
		.amdhsa_system_sgpr_workgroup_id_x 1
		.amdhsa_system_sgpr_workgroup_id_y 0
		.amdhsa_system_sgpr_workgroup_id_z 0
		.amdhsa_system_sgpr_workgroup_info 0
		.amdhsa_system_vgpr_workitem_id 0
		.amdhsa_next_free_vgpr 12
		.amdhsa_next_free_sgpr 29
		.amdhsa_accum_offset 12
		.amdhsa_reserve_vcc 1
		.amdhsa_reserve_flat_scratch 0
		.amdhsa_float_round_mode_32 0
		.amdhsa_float_round_mode_16_64 0
		.amdhsa_float_denorm_mode_32 3
		.amdhsa_float_denorm_mode_16_64 3
		.amdhsa_dx10_clamp 1
		.amdhsa_ieee_mode 1
		.amdhsa_fp16_overflow 0
		.amdhsa_tg_split 0
		.amdhsa_exception_fp_ieee_invalid_op 0
		.amdhsa_exception_fp_denorm_src 0
		.amdhsa_exception_fp_ieee_div_zero 0
		.amdhsa_exception_fp_ieee_overflow 0
		.amdhsa_exception_fp_ieee_underflow 0
		.amdhsa_exception_fp_ieee_inexact 0
		.amdhsa_exception_int_div_zero 0
	.end_amdhsa_kernel
	.section	.text._ZN9rocsparseL28csrmvn_lrb_short_rows_kernelIllaaffEEvbT_PT0_S3_jNS_24const_host_device_scalarIT4_EEPKS1_PKS2_PKT1_PKT2_S6_PT3_21rocsparse_index_base_b,"axG",@progbits,_ZN9rocsparseL28csrmvn_lrb_short_rows_kernelIllaaffEEvbT_PT0_S3_jNS_24const_host_device_scalarIT4_EEPKS1_PKS2_PKT1_PKT2_S6_PT3_21rocsparse_index_base_b,comdat
.Lfunc_end110:
	.size	_ZN9rocsparseL28csrmvn_lrb_short_rows_kernelIllaaffEEvbT_PT0_S3_jNS_24const_host_device_scalarIT4_EEPKS1_PKS2_PKT1_PKT2_S6_PT3_21rocsparse_index_base_b, .Lfunc_end110-_ZN9rocsparseL28csrmvn_lrb_short_rows_kernelIllaaffEEvbT_PT0_S3_jNS_24const_host_device_scalarIT4_EEPKS1_PKS2_PKT1_PKT2_S6_PT3_21rocsparse_index_base_b
                                        ; -- End function
	.section	.AMDGPU.csdata,"",@progbits
; Kernel info:
; codeLenInByte = 760
; NumSgprs: 33
; NumVgprs: 12
; NumAgprs: 0
; TotalNumVgprs: 12
; ScratchSize: 0
; MemoryBound: 0
; FloatMode: 240
; IeeeMode: 1
; LDSByteSize: 0 bytes/workgroup (compile time only)
; SGPRBlocks: 4
; VGPRBlocks: 1
; NumSGPRsForWavesPerEU: 33
; NumVGPRsForWavesPerEU: 12
; AccumOffset: 12
; Occupancy: 8
; WaveLimiterHint : 1
; COMPUTE_PGM_RSRC2:SCRATCH_EN: 0
; COMPUTE_PGM_RSRC2:USER_SGPR: 6
; COMPUTE_PGM_RSRC2:TRAP_HANDLER: 0
; COMPUTE_PGM_RSRC2:TGID_X_EN: 1
; COMPUTE_PGM_RSRC2:TGID_Y_EN: 0
; COMPUTE_PGM_RSRC2:TGID_Z_EN: 0
; COMPUTE_PGM_RSRC2:TIDIG_COMP_CNT: 0
; COMPUTE_PGM_RSRC3_GFX90A:ACCUM_OFFSET: 2
; COMPUTE_PGM_RSRC3_GFX90A:TG_SPLIT: 0
	.section	.text._ZN9rocsparseL30csrmvn_lrb_short_rows_2_kernelIllaaffEEvbT_PT0_S3_jNS_24const_host_device_scalarIT4_EEPKS1_PKS2_PKT1_PKT2_S6_PT3_21rocsparse_index_base_b,"axG",@progbits,_ZN9rocsparseL30csrmvn_lrb_short_rows_2_kernelIllaaffEEvbT_PT0_S3_jNS_24const_host_device_scalarIT4_EEPKS1_PKS2_PKT1_PKT2_S6_PT3_21rocsparse_index_base_b,comdat
	.globl	_ZN9rocsparseL30csrmvn_lrb_short_rows_2_kernelIllaaffEEvbT_PT0_S3_jNS_24const_host_device_scalarIT4_EEPKS1_PKS2_PKT1_PKT2_S6_PT3_21rocsparse_index_base_b ; -- Begin function _ZN9rocsparseL30csrmvn_lrb_short_rows_2_kernelIllaaffEEvbT_PT0_S3_jNS_24const_host_device_scalarIT4_EEPKS1_PKS2_PKT1_PKT2_S6_PT3_21rocsparse_index_base_b
	.p2align	8
	.type	_ZN9rocsparseL30csrmvn_lrb_short_rows_2_kernelIllaaffEEvbT_PT0_S3_jNS_24const_host_device_scalarIT4_EEPKS1_PKS2_PKT1_PKT2_S6_PT3_21rocsparse_index_base_b,@function
_ZN9rocsparseL30csrmvn_lrb_short_rows_2_kernelIllaaffEEvbT_PT0_S3_jNS_24const_host_device_scalarIT4_EEPKS1_PKS2_PKT1_PKT2_S6_PT3_21rocsparse_index_base_b: ; @_ZN9rocsparseL30csrmvn_lrb_short_rows_2_kernelIllaaffEEvbT_PT0_S3_jNS_24const_host_device_scalarIT4_EEPKS1_PKS2_PKT1_PKT2_S6_PT3_21rocsparse_index_base_b
; %bb.0:
	s_load_dwordx2 s[20:21], s[4:5], 0x60
	s_load_dwordx2 s[18:19], s[4:5], 0x28
	;; [unrolled: 1-line block ×3, first 2 shown]
	s_waitcnt lgkmcnt(0)
	s_bitcmp1_b32 s21, 0
	s_cselect_b64 s[8:9], -1, 0
	s_xor_b64 s[2:3], s[8:9], -1
	s_and_b64 vcc, exec, s[8:9]
	s_cbranch_vccnz .LBB111_2
; %bb.1:
	s_load_dword s18, s[18:19], 0x0
.LBB111_2:
	s_andn2_b64 vcc, exec, s[2:3]
	s_cbranch_vccnz .LBB111_4
; %bb.3:
	s_load_dword s0, s[0:1], 0x0
.LBB111_4:
	s_waitcnt lgkmcnt(0)
	v_cmp_neq_f32_e64 s[2:3], s18, 0
	v_cmp_neq_f32_e64 s[8:9], s0, 1.0
	s_or_b64 s[2:3], s[2:3], s[8:9]
	s_andn2_b64 vcc, exec, s[2:3]
	s_mov_b32 s3, 0
	s_cbranch_vccnz .LBB111_30
; %bb.5:
	s_load_dword s2, s[4:5], 0x20
	s_load_dwordx4 s[24:27], s[4:5], 0x10
	s_mov_b32 s9, s3
	v_mov_b32_e32 v7, 0
	s_waitcnt lgkmcnt(0)
	s_lshl_b64 s[10:11], s[2:3], 3
	s_add_u32 s22, s26, s10
	s_addc_u32 s23, s27, s11
	s_add_i32 s8, s2, 1
	s_lshl_b64 s[8:9], s[8:9], 3
	s_add_u32 s26, s26, s8
	s_addc_u32 s27, s27, s9
	s_load_dwordx2 s[28:29], s[22:23], 0x0
	s_load_dword s3, s[26:27], 0x0
	s_load_dwordx2 s[16:17], s[4:5], 0x58
	s_load_dwordx8 s[8:15], s[4:5], 0x30
	s_lshr_b32 s1, 0x400, s2
	s_mul_i32 s4, s1, s6
	s_waitcnt lgkmcnt(0)
	s_sub_i32 s3, s3, s28
	s_add_i32 s5, s4, s1
	s_min_u32 s5, s3, s5
	s_lshl_b64 s[6:7], s[28:29], 3
	v_lshrrev_b32_e32 v1, s2, v0
	s_add_u32 s3, s24, s6
	v_add_u32_e32 v2, s4, v1
	s_addc_u32 s19, s25, s7
	v_bfe_u32 v6, v0, 0, s2
	v_cmp_gt_u32_e32 vcc, s5, v2
	s_and_saveexec_b64 s[6:7], vcc
	s_cbranch_execz .LBB111_9
; %bb.6:
	v_mov_b32_e32 v3, v7
	v_lshlrev_b64 v[2:3], 3, v[2:3]
	v_mov_b32_e32 v1, s19
	v_add_co_u32_e32 v2, vcc, s3, v2
	v_addc_co_u32_e32 v3, vcc, v1, v3, vcc
	global_load_dwordx2 v[2:3], v[2:3], off
	v_mov_b32_e32 v1, s9
	s_waitcnt vmcnt(0)
	v_lshlrev_b64 v[2:3], 3, v[2:3]
	v_add_co_u32_e32 v2, vcc, s8, v2
	v_addc_co_u32_e32 v3, vcc, v1, v3, vcc
	global_load_dwordx4 v[2:5], v[2:3], off
	v_mov_b32_e32 v1, v7
	s_waitcnt vmcnt(0)
	v_sub_co_u32_e32 v4, vcc, v4, v2
	v_subb_co_u32_e32 v5, vcc, v5, v3, vcc
	v_cmp_gt_i64_e32 vcc, v[4:5], v[6:7]
	s_and_saveexec_b64 s[22:23], vcc
	s_cbranch_execz .LBB111_8
; %bb.7:
	v_subrev_co_u32_e32 v1, vcc, s20, v2
	v_subbrev_co_u32_e32 v3, vcc, 0, v3, vcc
	v_add_co_u32_e32 v2, vcc, v1, v6
	v_addc_co_u32_e32 v3, vcc, 0, v3, vcc
	v_lshlrev_b64 v[4:5], 3, v[2:3]
	v_mov_b32_e32 v1, s11
	v_add_co_u32_e32 v4, vcc, s10, v4
	v_addc_co_u32_e32 v5, vcc, v1, v5, vcc
	global_load_dwordx2 v[4:5], v[4:5], off
	v_mov_b32_e32 v1, s13
	v_add_co_u32_e32 v2, vcc, s12, v2
	v_addc_co_u32_e32 v3, vcc, v1, v3, vcc
	global_load_sbyte v1, v[2:3], off
	v_mov_b32_e32 v8, s15
	s_waitcnt vmcnt(1)
	v_subrev_co_u32_e32 v2, vcc, s20, v4
	v_subbrev_co_u32_e32 v3, vcc, 0, v5, vcc
	v_add_co_u32_e32 v2, vcc, s14, v2
	v_addc_co_u32_e32 v3, vcc, v8, v3, vcc
	global_load_sbyte v2, v[2:3], off
	s_waitcnt vmcnt(1)
	v_cvt_f32_i32_e32 v1, v1
	v_mul_f32_e32 v1, s18, v1
	s_waitcnt vmcnt(0)
	v_cvt_f32_i32_e32 v2, v2
	v_mul_f32_e32 v1, v1, v2
.LBB111_8:
	s_or_b64 exec, exec, s[22:23]
	v_lshlrev_b32_e32 v2, 2, v0
	ds_write_b32 v2, v1
.LBB111_9:
	s_or_b64 exec, exec, s[6:7]
	v_or_b32_e32 v1, 0x100, v0
	v_lshrrev_b32_e32 v1, s2, v1
	v_add_u32_e32 v8, s4, v1
	v_cmp_gt_u32_e32 vcc, s5, v8
	s_and_saveexec_b64 s[6:7], vcc
	s_cbranch_execz .LBB111_13
; %bb.10:
	v_mov_b32_e32 v9, 0
	v_lshlrev_b64 v[2:3], 3, v[8:9]
	v_mov_b32_e32 v1, s19
	v_add_co_u32_e32 v2, vcc, s3, v2
	v_addc_co_u32_e32 v3, vcc, v1, v3, vcc
	global_load_dwordx2 v[2:3], v[2:3], off
	v_mov_b32_e32 v1, s9
	s_waitcnt vmcnt(0)
	v_lshlrev_b64 v[2:3], 3, v[2:3]
	v_add_co_u32_e32 v2, vcc, s8, v2
	v_addc_co_u32_e32 v3, vcc, v1, v3, vcc
	global_load_dwordx4 v[2:5], v[2:3], off
	s_waitcnt vmcnt(0)
	v_sub_co_u32_e32 v4, vcc, v4, v2
	v_subb_co_u32_e32 v5, vcc, v5, v3, vcc
	v_cmp_gt_i64_e32 vcc, v[4:5], v[6:7]
	s_and_saveexec_b64 s[22:23], vcc
	s_cbranch_execz .LBB111_12
; %bb.11:
	v_subrev_co_u32_e32 v1, vcc, s20, v2
	v_subbrev_co_u32_e32 v3, vcc, 0, v3, vcc
	v_add_co_u32_e32 v2, vcc, v1, v6
	v_addc_co_u32_e32 v3, vcc, 0, v3, vcc
	v_lshlrev_b64 v[4:5], 3, v[2:3]
	v_mov_b32_e32 v1, s11
	v_add_co_u32_e32 v4, vcc, s10, v4
	v_addc_co_u32_e32 v5, vcc, v1, v5, vcc
	global_load_dwordx2 v[4:5], v[4:5], off
	v_mov_b32_e32 v1, s13
	v_add_co_u32_e32 v2, vcc, s12, v2
	v_addc_co_u32_e32 v3, vcc, v1, v3, vcc
	global_load_sbyte v1, v[2:3], off
	v_mov_b32_e32 v8, s15
	s_waitcnt vmcnt(1)
	v_subrev_co_u32_e32 v2, vcc, s20, v4
	v_subbrev_co_u32_e32 v3, vcc, 0, v5, vcc
	v_add_co_u32_e32 v2, vcc, s14, v2
	v_addc_co_u32_e32 v3, vcc, v8, v3, vcc
	global_load_sbyte v2, v[2:3], off
	s_waitcnt vmcnt(1)
	v_cvt_f32_i32_e32 v1, v1
	v_mul_f32_e32 v1, s18, v1
	s_waitcnt vmcnt(0)
	v_cvt_f32_i32_e32 v2, v2
	v_mul_f32_e32 v9, v1, v2
.LBB111_12:
	s_or_b64 exec, exec, s[22:23]
	v_lshlrev_b32_e32 v1, 2, v0
	ds_write_b32 v1, v9 offset:1024
.LBB111_13:
	s_or_b64 exec, exec, s[6:7]
	v_or_b32_e32 v1, 0x200, v0
	v_lshrrev_b32_e32 v1, s2, v1
	v_add_u32_e32 v8, s4, v1
	v_cmp_gt_u32_e32 vcc, s5, v8
	s_and_saveexec_b64 s[6:7], vcc
	s_cbranch_execz .LBB111_17
; %bb.14:
	v_mov_b32_e32 v9, 0
	v_lshlrev_b64 v[2:3], 3, v[8:9]
	v_mov_b32_e32 v1, s19
	v_add_co_u32_e32 v2, vcc, s3, v2
	v_addc_co_u32_e32 v3, vcc, v1, v3, vcc
	global_load_dwordx2 v[2:3], v[2:3], off
	v_mov_b32_e32 v1, s9
	s_waitcnt vmcnt(0)
	v_lshlrev_b64 v[2:3], 3, v[2:3]
	v_add_co_u32_e32 v2, vcc, s8, v2
	v_addc_co_u32_e32 v3, vcc, v1, v3, vcc
	global_load_dwordx4 v[2:5], v[2:3], off
	s_waitcnt vmcnt(0)
	v_sub_co_u32_e32 v4, vcc, v4, v2
	v_subb_co_u32_e32 v5, vcc, v5, v3, vcc
	v_cmp_gt_i64_e32 vcc, v[4:5], v[6:7]
	s_and_saveexec_b64 s[22:23], vcc
	s_cbranch_execz .LBB111_16
; %bb.15:
	v_subrev_co_u32_e32 v1, vcc, s20, v2
	v_subbrev_co_u32_e32 v3, vcc, 0, v3, vcc
	v_add_co_u32_e32 v2, vcc, v1, v6
	v_addc_co_u32_e32 v3, vcc, 0, v3, vcc
	v_lshlrev_b64 v[4:5], 3, v[2:3]
	v_mov_b32_e32 v1, s11
	v_add_co_u32_e32 v4, vcc, s10, v4
	v_addc_co_u32_e32 v5, vcc, v1, v5, vcc
	global_load_dwordx2 v[4:5], v[4:5], off
	v_mov_b32_e32 v1, s13
	v_add_co_u32_e32 v2, vcc, s12, v2
	v_addc_co_u32_e32 v3, vcc, v1, v3, vcc
	global_load_sbyte v1, v[2:3], off
	v_mov_b32_e32 v8, s15
	s_waitcnt vmcnt(1)
	v_subrev_co_u32_e32 v2, vcc, s20, v4
	v_subbrev_co_u32_e32 v3, vcc, 0, v5, vcc
	v_add_co_u32_e32 v2, vcc, s14, v2
	v_addc_co_u32_e32 v3, vcc, v8, v3, vcc
	global_load_sbyte v2, v[2:3], off
	s_waitcnt vmcnt(1)
	v_cvt_f32_i32_e32 v1, v1
	v_mul_f32_e32 v1, s18, v1
	s_waitcnt vmcnt(0)
	v_cvt_f32_i32_e32 v2, v2
	v_mul_f32_e32 v9, v1, v2
.LBB111_16:
	s_or_b64 exec, exec, s[22:23]
	v_lshlrev_b32_e32 v1, 2, v0
	ds_write_b32 v1, v9 offset:2048
.LBB111_17:
	;; [unrolled: 58-line block ×3, first 2 shown]
	s_or_b64 exec, exec, s[6:7]
	s_cmp_lt_u32 s2, 11
	s_waitcnt lgkmcnt(0)
	s_barrier
	s_cbranch_scc0 .LBB111_30
; %bb.22:
	s_sub_i32 s10, s5, s4
	s_mov_b32 s5, 0
	s_lshl_b64 s[6:7], s[4:5], 3
	s_add_u32 s3, s3, s6
	s_addc_u32 s4, s19, s7
	v_cmp_neq_f32_e64 s[6:7], s0, 0
	v_mov_b32_e32 v3, 0
	s_branch .LBB111_25
.LBB111_23:                             ;   in Loop: Header=BB111_25 Depth=1
	v_mov_b32_e32 v2, s17
	v_add_co_u32_e32 v4, vcc, s16, v4
	v_addc_co_u32_e32 v5, vcc, v2, v5, vcc
	global_store_dword v[4:5], v1, off
.LBB111_24:                             ;   in Loop: Header=BB111_25 Depth=1
	s_or_b64 exec, exec, s[8:9]
	s_addk_i32 s5, 0x100
	s_cmp_lt_u32 s5, s1
	s_cbranch_scc0 .LBB111_30
.LBB111_25:                             ; =>This Loop Header: Depth=1
                                        ;     Child Loop BB111_27 Depth 2
	v_add_u32_e32 v2, s5, v0
	v_cmp_gt_u32_e32 vcc, s10, v2
	s_and_saveexec_b64 s[8:9], vcc
	s_cbranch_execz .LBB111_24
; %bb.26:                               ;   in Loop: Header=BB111_25 Depth=1
	v_lshlrev_b64 v[4:5], 3, v[2:3]
	v_mov_b32_e32 v1, s4
	v_add_co_u32_e32 v4, vcc, s3, v4
	v_addc_co_u32_e32 v5, vcc, v1, v5, vcc
	global_load_dwordx2 v[4:5], v[4:5], off
	v_lshlrev_b32_e32 v1, s2, v2
	v_lshlrev_b32_e32 v2, 2, v1
	s_mov_b32 s11, 1
	v_mov_b32_e32 v1, 0
.LBB111_27:                             ;   Parent Loop BB111_25 Depth=1
                                        ; =>  This Inner Loop Header: Depth=2
	ds_read_b32 v6, v2
	s_lshr_b32 s12, s11, s2
	s_add_i32 s11, s11, 1
	v_add_u32_e32 v2, 4, v2
	s_cmp_lg_u32 s12, 0
	s_waitcnt lgkmcnt(0)
	v_add_f32_e32 v1, v1, v6
	s_cbranch_scc0 .LBB111_27
; %bb.28:                               ;   in Loop: Header=BB111_25 Depth=1
	s_and_b64 vcc, exec, s[6:7]
	s_waitcnt vmcnt(0)
	v_lshlrev_b64 v[4:5], 2, v[4:5]
	s_cbranch_vccz .LBB111_23
; %bb.29:                               ;   in Loop: Header=BB111_25 Depth=1
	v_mov_b32_e32 v2, s17
	v_add_co_u32_e32 v6, vcc, s16, v4
	v_addc_co_u32_e32 v7, vcc, v2, v5, vcc
	global_load_dword v2, v[6:7], off
	s_waitcnt vmcnt(0)
	v_fmac_f32_e32 v1, s0, v2
	s_branch .LBB111_23
.LBB111_30:
	s_endpgm
	.section	.rodata,"a",@progbits
	.p2align	6, 0x0
	.amdhsa_kernel _ZN9rocsparseL30csrmvn_lrb_short_rows_2_kernelIllaaffEEvbT_PT0_S3_jNS_24const_host_device_scalarIT4_EEPKS1_PKS2_PKT1_PKT2_S6_PT3_21rocsparse_index_base_b
		.amdhsa_group_segment_fixed_size 4096
		.amdhsa_private_segment_fixed_size 0
		.amdhsa_kernarg_size 104
		.amdhsa_user_sgpr_count 6
		.amdhsa_user_sgpr_private_segment_buffer 1
		.amdhsa_user_sgpr_dispatch_ptr 0
		.amdhsa_user_sgpr_queue_ptr 0
		.amdhsa_user_sgpr_kernarg_segment_ptr 1
		.amdhsa_user_sgpr_dispatch_id 0
		.amdhsa_user_sgpr_flat_scratch_init 0
		.amdhsa_user_sgpr_kernarg_preload_length 0
		.amdhsa_user_sgpr_kernarg_preload_offset 0
		.amdhsa_user_sgpr_private_segment_size 0
		.amdhsa_uses_dynamic_stack 0
		.amdhsa_system_sgpr_private_segment_wavefront_offset 0
		.amdhsa_system_sgpr_workgroup_id_x 1
		.amdhsa_system_sgpr_workgroup_id_y 0
		.amdhsa_system_sgpr_workgroup_id_z 0
		.amdhsa_system_sgpr_workgroup_info 0
		.amdhsa_system_vgpr_workitem_id 0
		.amdhsa_next_free_vgpr 10
		.amdhsa_next_free_sgpr 30
		.amdhsa_accum_offset 12
		.amdhsa_reserve_vcc 1
		.amdhsa_reserve_flat_scratch 0
		.amdhsa_float_round_mode_32 0
		.amdhsa_float_round_mode_16_64 0
		.amdhsa_float_denorm_mode_32 3
		.amdhsa_float_denorm_mode_16_64 3
		.amdhsa_dx10_clamp 1
		.amdhsa_ieee_mode 1
		.amdhsa_fp16_overflow 0
		.amdhsa_tg_split 0
		.amdhsa_exception_fp_ieee_invalid_op 0
		.amdhsa_exception_fp_denorm_src 0
		.amdhsa_exception_fp_ieee_div_zero 0
		.amdhsa_exception_fp_ieee_overflow 0
		.amdhsa_exception_fp_ieee_underflow 0
		.amdhsa_exception_fp_ieee_inexact 0
		.amdhsa_exception_int_div_zero 0
	.end_amdhsa_kernel
	.section	.text._ZN9rocsparseL30csrmvn_lrb_short_rows_2_kernelIllaaffEEvbT_PT0_S3_jNS_24const_host_device_scalarIT4_EEPKS1_PKS2_PKT1_PKT2_S6_PT3_21rocsparse_index_base_b,"axG",@progbits,_ZN9rocsparseL30csrmvn_lrb_short_rows_2_kernelIllaaffEEvbT_PT0_S3_jNS_24const_host_device_scalarIT4_EEPKS1_PKS2_PKT1_PKT2_S6_PT3_21rocsparse_index_base_b,comdat
.Lfunc_end111:
	.size	_ZN9rocsparseL30csrmvn_lrb_short_rows_2_kernelIllaaffEEvbT_PT0_S3_jNS_24const_host_device_scalarIT4_EEPKS1_PKS2_PKT1_PKT2_S6_PT3_21rocsparse_index_base_b, .Lfunc_end111-_ZN9rocsparseL30csrmvn_lrb_short_rows_2_kernelIllaaffEEvbT_PT0_S3_jNS_24const_host_device_scalarIT4_EEPKS1_PKS2_PKT1_PKT2_S6_PT3_21rocsparse_index_base_b
                                        ; -- End function
	.section	.AMDGPU.csdata,"",@progbits
; Kernel info:
; codeLenInByte = 1504
; NumSgprs: 34
; NumVgprs: 10
; NumAgprs: 0
; TotalNumVgprs: 10
; ScratchSize: 0
; MemoryBound: 0
; FloatMode: 240
; IeeeMode: 1
; LDSByteSize: 4096 bytes/workgroup (compile time only)
; SGPRBlocks: 4
; VGPRBlocks: 1
; NumSGPRsForWavesPerEU: 34
; NumVGPRsForWavesPerEU: 10
; AccumOffset: 12
; Occupancy: 8
; WaveLimiterHint : 1
; COMPUTE_PGM_RSRC2:SCRATCH_EN: 0
; COMPUTE_PGM_RSRC2:USER_SGPR: 6
; COMPUTE_PGM_RSRC2:TRAP_HANDLER: 0
; COMPUTE_PGM_RSRC2:TGID_X_EN: 1
; COMPUTE_PGM_RSRC2:TGID_Y_EN: 0
; COMPUTE_PGM_RSRC2:TGID_Z_EN: 0
; COMPUTE_PGM_RSRC2:TIDIG_COMP_CNT: 0
; COMPUTE_PGM_RSRC3_GFX90A:ACCUM_OFFSET: 2
; COMPUTE_PGM_RSRC3_GFX90A:TG_SPLIT: 0
	.section	.text._ZN9rocsparseL41csrmvn_lrb_medium_rows_warp_reduce_kernelILj256ELj32EllaaffEEvbT1_lPT2_S3_jNS_24const_host_device_scalarIT6_EEPKS1_PKS2_PKT3_PKT4_S6_PT5_21rocsparse_index_base_b,"axG",@progbits,_ZN9rocsparseL41csrmvn_lrb_medium_rows_warp_reduce_kernelILj256ELj32EllaaffEEvbT1_lPT2_S3_jNS_24const_host_device_scalarIT6_EEPKS1_PKS2_PKT3_PKT4_S6_PT5_21rocsparse_index_base_b,comdat
	.globl	_ZN9rocsparseL41csrmvn_lrb_medium_rows_warp_reduce_kernelILj256ELj32EllaaffEEvbT1_lPT2_S3_jNS_24const_host_device_scalarIT6_EEPKS1_PKS2_PKT3_PKT4_S6_PT5_21rocsparse_index_base_b ; -- Begin function _ZN9rocsparseL41csrmvn_lrb_medium_rows_warp_reduce_kernelILj256ELj32EllaaffEEvbT1_lPT2_S3_jNS_24const_host_device_scalarIT6_EEPKS1_PKS2_PKT3_PKT4_S6_PT5_21rocsparse_index_base_b
	.p2align	8
	.type	_ZN9rocsparseL41csrmvn_lrb_medium_rows_warp_reduce_kernelILj256ELj32EllaaffEEvbT1_lPT2_S3_jNS_24const_host_device_scalarIT6_EEPKS1_PKS2_PKT3_PKT4_S6_PT5_21rocsparse_index_base_b,@function
_ZN9rocsparseL41csrmvn_lrb_medium_rows_warp_reduce_kernelILj256ELj32EllaaffEEvbT1_lPT2_S3_jNS_24const_host_device_scalarIT6_EEPKS1_PKS2_PKT3_PKT4_S6_PT5_21rocsparse_index_base_b: ; @_ZN9rocsparseL41csrmvn_lrb_medium_rows_warp_reduce_kernelILj256ELj32EllaaffEEvbT1_lPT2_S3_jNS_24const_host_device_scalarIT6_EEPKS1_PKS2_PKT3_PKT4_S6_PT5_21rocsparse_index_base_b
; %bb.0:
	s_load_dwordx2 s[10:11], s[4:5], 0x68
	s_load_dwordx2 s[12:13], s[4:5], 0x30
	;; [unrolled: 1-line block ×3, first 2 shown]
	s_waitcnt lgkmcnt(0)
	s_bitcmp1_b32 s11, 0
	s_cselect_b64 s[2:3], -1, 0
	s_xor_b64 s[0:1], s[2:3], -1
	s_and_b64 vcc, exec, s[2:3]
	s_cbranch_vccnz .LBB112_2
; %bb.1:
	s_load_dword s12, s[12:13], 0x0
.LBB112_2:
	s_andn2_b64 vcc, exec, s[0:1]
	s_cbranch_vccnz .LBB112_4
; %bb.3:
	s_load_dword s8, s[8:9], 0x0
.LBB112_4:
	s_waitcnt lgkmcnt(0)
	v_cmp_neq_f32_e64 s[0:1], s12, 0
	v_cmp_neq_f32_e64 s[2:3], s8, 1.0
	s_or_b64 s[0:1], s[0:1], s[2:3]
	s_andn2_b64 vcc, exec, s[0:1]
	s_cbranch_vccnz .LBB112_14
; %bb.5:
	s_load_dwordx2 s[0:1], s[4:5], 0x10
	v_lshrrev_b32_e32 v1, 5, v0
	v_lshl_or_b32 v2, s6, 3, v1
	v_ashrrev_i32_e32 v3, 31, v2
	s_waitcnt lgkmcnt(0)
	v_cmp_gt_i64_e32 vcc, s[0:1], v[2:3]
	s_and_saveexec_b64 s[0:1], vcc
	s_cbranch_execz .LBB112_14
; %bb.6:
	s_load_dword s14, s[4:5], 0x28
	s_load_dwordx4 s[0:3], s[4:5], 0x18
	s_mov_b32 s15, 0
	v_lshlrev_b64 v[2:3], 3, v[2:3]
	v_and_b32_e32 v8, 31, v0
	s_waitcnt lgkmcnt(0)
	s_lshl_b64 s[6:7], s[14:15], 3
	s_add_u32 s2, s2, s6
	s_addc_u32 s3, s3, s7
	s_load_dwordx2 s[2:3], s[2:3], 0x0
	s_mov_b32 s9, s15
	s_load_dwordx2 s[6:7], s[4:5], 0x60
	s_waitcnt lgkmcnt(0)
	s_lshl_b64 s[2:3], s[2:3], 3
	s_add_u32 s0, s0, s2
	s_addc_u32 s1, s1, s3
	v_mov_b32_e32 v1, s1
	v_add_co_u32_e32 v2, vcc, s0, v2
	v_addc_co_u32_e32 v3, vcc, v1, v3, vcc
	global_load_dwordx2 v[2:3], v[2:3], off
	s_load_dwordx2 s[0:1], s[4:5], 0x38
	s_waitcnt lgkmcnt(0)
	v_mov_b32_e32 v1, s1
	s_waitcnt vmcnt(0)
	v_lshlrev_b64 v[4:5], 3, v[2:3]
	v_add_co_u32_e32 v4, vcc, s0, v4
	v_addc_co_u32_e32 v5, vcc, v1, v5, vcc
	global_load_dwordx4 v[4:7], v[4:5], off
	v_subrev_co_u32_e32 v9, vcc, s10, v8
	v_subb_co_u32_e64 v10, s[0:1], 0, 0, vcc
	s_waitcnt vmcnt(0)
	v_subrev_co_u32_e32 v0, vcc, s10, v6
	v_subbrev_co_u32_e32 v1, vcc, 0, v7, vcc
	v_add_co_u32_e32 v4, vcc, v4, v9
	v_addc_co_u32_e32 v5, vcc, v5, v10, vcc
	v_cmp_lt_i64_e32 vcc, v[4:5], v[0:1]
	v_mov_b32_e32 v9, 0
	s_and_saveexec_b64 s[14:15], vcc
	s_cbranch_execz .LBB112_10
; %bb.7:
	s_load_dwordx4 s[0:3], s[4:5], 0x40
	s_load_dwordx2 s[16:17], s[4:5], 0x50
	v_lshlrev_b64 v[6:7], 3, v[4:5]
	v_mov_b32_e32 v11, s9
	s_waitcnt lgkmcnt(0)
	v_mov_b32_e32 v9, s1
	v_add_co_u32_e32 v6, vcc, s0, v6
	v_addc_co_u32_e32 v7, vcc, v9, v7, vcc
	s_mov_b64 s[0:1], 0
	v_mov_b32_e32 v9, 0
	v_mov_b32_e32 v10, s3
	;; [unrolled: 1-line block ×3, first 2 shown]
.LBB112_8:                              ; =>This Inner Loop Header: Depth=1
	global_load_dwordx2 v[14:15], v[6:7], off
	v_add_co_u32_e32 v16, vcc, s2, v4
	v_addc_co_u32_e32 v17, vcc, v10, v5, vcc
	global_load_sbyte v13, v[16:17], off
	s_waitcnt vmcnt(1)
	v_subrev_co_u32_e32 v14, vcc, s10, v14
	v_subb_co_u32_e32 v15, vcc, v15, v11, vcc
	v_add_co_u32_e32 v14, vcc, s16, v14
	v_addc_co_u32_e32 v15, vcc, v12, v15, vcc
	global_load_sbyte v14, v[14:15], off
	v_add_co_u32_e32 v4, vcc, 32, v4
	s_waitcnt vmcnt(1)
	v_cvt_f32_i32_e32 v13, v13
	v_addc_co_u32_e32 v5, vcc, 0, v5, vcc
	v_add_co_u32_e32 v6, vcc, 0x100, v6
	v_addc_co_u32_e32 v7, vcc, 0, v7, vcc
	v_cmp_ge_i64_e32 vcc, v[4:5], v[0:1]
	v_mul_f32_e32 v13, s12, v13
	s_or_b64 s[0:1], vcc, s[0:1]
	s_waitcnt vmcnt(0)
	v_cvt_f32_i32_e32 v14, v14
	v_fmac_f32_e32 v9, v13, v14
	s_andn2_b64 exec, exec, s[0:1]
	s_cbranch_execnz .LBB112_8
; %bb.9:
	s_or_b64 exec, exec, s[0:1]
.LBB112_10:
	s_or_b64 exec, exec, s[14:15]
	v_mov_b32_dpp v0, v9 row_shr:1 row_mask:0xf bank_mask:0xf
	v_add_f32_e32 v0, v9, v0
	v_cmp_eq_u32_e32 vcc, 31, v8
	s_nop 0
	v_mov_b32_dpp v1, v0 row_shr:2 row_mask:0xf bank_mask:0xf
	v_add_f32_e32 v0, v0, v1
	s_nop 1
	v_mov_b32_dpp v1, v0 row_shr:4 row_mask:0xf bank_mask:0xe
	v_add_f32_e32 v0, v0, v1
	;; [unrolled: 3-line block ×3, first 2 shown]
	s_nop 1
	v_mov_b32_dpp v1, v0 row_bcast:15 row_mask:0xa bank_mask:0xf
	s_and_b64 exec, exec, vcc
	s_cbranch_execz .LBB112_14
; %bb.11:
	v_cmp_eq_f32_e64 s[0:1], s8, 0
	v_add_f32_e32 v4, v0, v1
	s_and_b64 vcc, exec, s[0:1]
	v_lshlrev_b64 v[0:1], 2, v[2:3]
	s_cbranch_vccnz .LBB112_13
; %bb.12:
	v_mov_b32_e32 v3, s7
	v_add_co_u32_e32 v2, vcc, s6, v0
	v_addc_co_u32_e32 v3, vcc, v3, v1, vcc
	global_load_dword v2, v[2:3], off
	s_waitcnt vmcnt(0)
	v_fmac_f32_e32 v4, s8, v2
.LBB112_13:
	v_mov_b32_e32 v2, s7
	v_add_co_u32_e32 v0, vcc, s6, v0
	v_addc_co_u32_e32 v1, vcc, v2, v1, vcc
	global_store_dword v[0:1], v4, off
.LBB112_14:
	s_endpgm
	.section	.rodata,"a",@progbits
	.p2align	6, 0x0
	.amdhsa_kernel _ZN9rocsparseL41csrmvn_lrb_medium_rows_warp_reduce_kernelILj256ELj32EllaaffEEvbT1_lPT2_S3_jNS_24const_host_device_scalarIT6_EEPKS1_PKS2_PKT3_PKT4_S6_PT5_21rocsparse_index_base_b
		.amdhsa_group_segment_fixed_size 0
		.amdhsa_private_segment_fixed_size 0
		.amdhsa_kernarg_size 112
		.amdhsa_user_sgpr_count 6
		.amdhsa_user_sgpr_private_segment_buffer 1
		.amdhsa_user_sgpr_dispatch_ptr 0
		.amdhsa_user_sgpr_queue_ptr 0
		.amdhsa_user_sgpr_kernarg_segment_ptr 1
		.amdhsa_user_sgpr_dispatch_id 0
		.amdhsa_user_sgpr_flat_scratch_init 0
		.amdhsa_user_sgpr_kernarg_preload_length 0
		.amdhsa_user_sgpr_kernarg_preload_offset 0
		.amdhsa_user_sgpr_private_segment_size 0
		.amdhsa_uses_dynamic_stack 0
		.amdhsa_system_sgpr_private_segment_wavefront_offset 0
		.amdhsa_system_sgpr_workgroup_id_x 1
		.amdhsa_system_sgpr_workgroup_id_y 0
		.amdhsa_system_sgpr_workgroup_id_z 0
		.amdhsa_system_sgpr_workgroup_info 0
		.amdhsa_system_vgpr_workitem_id 0
		.amdhsa_next_free_vgpr 18
		.amdhsa_next_free_sgpr 18
		.amdhsa_accum_offset 20
		.amdhsa_reserve_vcc 1
		.amdhsa_reserve_flat_scratch 0
		.amdhsa_float_round_mode_32 0
		.amdhsa_float_round_mode_16_64 0
		.amdhsa_float_denorm_mode_32 3
		.amdhsa_float_denorm_mode_16_64 3
		.amdhsa_dx10_clamp 1
		.amdhsa_ieee_mode 1
		.amdhsa_fp16_overflow 0
		.amdhsa_tg_split 0
		.amdhsa_exception_fp_ieee_invalid_op 0
		.amdhsa_exception_fp_denorm_src 0
		.amdhsa_exception_fp_ieee_div_zero 0
		.amdhsa_exception_fp_ieee_overflow 0
		.amdhsa_exception_fp_ieee_underflow 0
		.amdhsa_exception_fp_ieee_inexact 0
		.amdhsa_exception_int_div_zero 0
	.end_amdhsa_kernel
	.section	.text._ZN9rocsparseL41csrmvn_lrb_medium_rows_warp_reduce_kernelILj256ELj32EllaaffEEvbT1_lPT2_S3_jNS_24const_host_device_scalarIT6_EEPKS1_PKS2_PKT3_PKT4_S6_PT5_21rocsparse_index_base_b,"axG",@progbits,_ZN9rocsparseL41csrmvn_lrb_medium_rows_warp_reduce_kernelILj256ELj32EllaaffEEvbT1_lPT2_S3_jNS_24const_host_device_scalarIT6_EEPKS1_PKS2_PKT3_PKT4_S6_PT5_21rocsparse_index_base_b,comdat
.Lfunc_end112:
	.size	_ZN9rocsparseL41csrmvn_lrb_medium_rows_warp_reduce_kernelILj256ELj32EllaaffEEvbT1_lPT2_S3_jNS_24const_host_device_scalarIT6_EEPKS1_PKS2_PKT3_PKT4_S6_PT5_21rocsparse_index_base_b, .Lfunc_end112-_ZN9rocsparseL41csrmvn_lrb_medium_rows_warp_reduce_kernelILj256ELj32EllaaffEEvbT1_lPT2_S3_jNS_24const_host_device_scalarIT6_EEPKS1_PKS2_PKT3_PKT4_S6_PT5_21rocsparse_index_base_b
                                        ; -- End function
	.section	.AMDGPU.csdata,"",@progbits
; Kernel info:
; codeLenInByte = 684
; NumSgprs: 22
; NumVgprs: 18
; NumAgprs: 0
; TotalNumVgprs: 18
; ScratchSize: 0
; MemoryBound: 0
; FloatMode: 240
; IeeeMode: 1
; LDSByteSize: 0 bytes/workgroup (compile time only)
; SGPRBlocks: 2
; VGPRBlocks: 2
; NumSGPRsForWavesPerEU: 22
; NumVGPRsForWavesPerEU: 18
; AccumOffset: 20
; Occupancy: 8
; WaveLimiterHint : 1
; COMPUTE_PGM_RSRC2:SCRATCH_EN: 0
; COMPUTE_PGM_RSRC2:USER_SGPR: 6
; COMPUTE_PGM_RSRC2:TRAP_HANDLER: 0
; COMPUTE_PGM_RSRC2:TGID_X_EN: 1
; COMPUTE_PGM_RSRC2:TGID_Y_EN: 0
; COMPUTE_PGM_RSRC2:TGID_Z_EN: 0
; COMPUTE_PGM_RSRC2:TIDIG_COMP_CNT: 0
; COMPUTE_PGM_RSRC3_GFX90A:ACCUM_OFFSET: 4
; COMPUTE_PGM_RSRC3_GFX90A:TG_SPLIT: 0
	.section	.text._ZN9rocsparseL41csrmvn_lrb_medium_rows_warp_reduce_kernelILj256ELj64EllaaffEEvbT1_lPT2_S3_jNS_24const_host_device_scalarIT6_EEPKS1_PKS2_PKT3_PKT4_S6_PT5_21rocsparse_index_base_b,"axG",@progbits,_ZN9rocsparseL41csrmvn_lrb_medium_rows_warp_reduce_kernelILj256ELj64EllaaffEEvbT1_lPT2_S3_jNS_24const_host_device_scalarIT6_EEPKS1_PKS2_PKT3_PKT4_S6_PT5_21rocsparse_index_base_b,comdat
	.globl	_ZN9rocsparseL41csrmvn_lrb_medium_rows_warp_reduce_kernelILj256ELj64EllaaffEEvbT1_lPT2_S3_jNS_24const_host_device_scalarIT6_EEPKS1_PKS2_PKT3_PKT4_S6_PT5_21rocsparse_index_base_b ; -- Begin function _ZN9rocsparseL41csrmvn_lrb_medium_rows_warp_reduce_kernelILj256ELj64EllaaffEEvbT1_lPT2_S3_jNS_24const_host_device_scalarIT6_EEPKS1_PKS2_PKT3_PKT4_S6_PT5_21rocsparse_index_base_b
	.p2align	8
	.type	_ZN9rocsparseL41csrmvn_lrb_medium_rows_warp_reduce_kernelILj256ELj64EllaaffEEvbT1_lPT2_S3_jNS_24const_host_device_scalarIT6_EEPKS1_PKS2_PKT3_PKT4_S6_PT5_21rocsparse_index_base_b,@function
_ZN9rocsparseL41csrmvn_lrb_medium_rows_warp_reduce_kernelILj256ELj64EllaaffEEvbT1_lPT2_S3_jNS_24const_host_device_scalarIT6_EEPKS1_PKS2_PKT3_PKT4_S6_PT5_21rocsparse_index_base_b: ; @_ZN9rocsparseL41csrmvn_lrb_medium_rows_warp_reduce_kernelILj256ELj64EllaaffEEvbT1_lPT2_S3_jNS_24const_host_device_scalarIT6_EEPKS1_PKS2_PKT3_PKT4_S6_PT5_21rocsparse_index_base_b
; %bb.0:
	s_load_dwordx2 s[10:11], s[4:5], 0x68
	s_load_dwordx2 s[12:13], s[4:5], 0x30
	;; [unrolled: 1-line block ×3, first 2 shown]
	s_waitcnt lgkmcnt(0)
	s_bitcmp1_b32 s11, 0
	s_cselect_b64 s[2:3], -1, 0
	s_xor_b64 s[0:1], s[2:3], -1
	s_and_b64 vcc, exec, s[2:3]
	s_cbranch_vccnz .LBB113_2
; %bb.1:
	s_load_dword s12, s[12:13], 0x0
.LBB113_2:
	s_andn2_b64 vcc, exec, s[0:1]
	s_cbranch_vccnz .LBB113_4
; %bb.3:
	s_load_dword s8, s[8:9], 0x0
.LBB113_4:
	s_waitcnt lgkmcnt(0)
	v_cmp_neq_f32_e64 s[0:1], s12, 0
	v_cmp_neq_f32_e64 s[2:3], s8, 1.0
	s_or_b64 s[0:1], s[0:1], s[2:3]
	s_andn2_b64 vcc, exec, s[0:1]
	s_cbranch_vccnz .LBB113_14
; %bb.5:
	s_load_dwordx2 s[0:1], s[4:5], 0x10
	v_lshrrev_b32_e32 v1, 6, v0
	v_lshl_or_b32 v2, s6, 2, v1
	v_ashrrev_i32_e32 v3, 31, v2
	s_waitcnt lgkmcnt(0)
	v_cmp_gt_i64_e32 vcc, s[0:1], v[2:3]
	s_and_saveexec_b64 s[0:1], vcc
	s_cbranch_execz .LBB113_14
; %bb.6:
	s_load_dword s14, s[4:5], 0x28
	s_load_dwordx4 s[0:3], s[4:5], 0x18
	s_mov_b32 s15, 0
	v_lshlrev_b64 v[2:3], 3, v[2:3]
	v_and_b32_e32 v8, 63, v0
	s_waitcnt lgkmcnt(0)
	s_lshl_b64 s[6:7], s[14:15], 3
	s_add_u32 s2, s2, s6
	s_addc_u32 s3, s3, s7
	s_load_dwordx2 s[2:3], s[2:3], 0x0
	s_mov_b32 s9, s15
	s_load_dwordx2 s[6:7], s[4:5], 0x60
	s_waitcnt lgkmcnt(0)
	s_lshl_b64 s[2:3], s[2:3], 3
	s_add_u32 s0, s0, s2
	s_addc_u32 s1, s1, s3
	v_mov_b32_e32 v1, s1
	v_add_co_u32_e32 v2, vcc, s0, v2
	v_addc_co_u32_e32 v3, vcc, v1, v3, vcc
	global_load_dwordx2 v[2:3], v[2:3], off
	s_load_dwordx2 s[0:1], s[4:5], 0x38
	s_waitcnt lgkmcnt(0)
	v_mov_b32_e32 v1, s1
	s_waitcnt vmcnt(0)
	v_lshlrev_b64 v[4:5], 3, v[2:3]
	v_add_co_u32_e32 v4, vcc, s0, v4
	v_addc_co_u32_e32 v5, vcc, v1, v5, vcc
	global_load_dwordx4 v[4:7], v[4:5], off
	v_subrev_co_u32_e32 v9, vcc, s10, v8
	v_subb_co_u32_e64 v10, s[0:1], 0, 0, vcc
	s_waitcnt vmcnt(0)
	v_subrev_co_u32_e32 v0, vcc, s10, v6
	v_subbrev_co_u32_e32 v1, vcc, 0, v7, vcc
	v_add_co_u32_e32 v4, vcc, v4, v9
	v_addc_co_u32_e32 v5, vcc, v5, v10, vcc
	v_cmp_lt_i64_e32 vcc, v[4:5], v[0:1]
	v_mov_b32_e32 v9, 0
	s_and_saveexec_b64 s[14:15], vcc
	s_cbranch_execz .LBB113_10
; %bb.7:
	s_load_dwordx4 s[0:3], s[4:5], 0x40
	s_load_dwordx2 s[16:17], s[4:5], 0x50
	v_lshlrev_b64 v[6:7], 3, v[4:5]
	v_mov_b32_e32 v11, s9
	s_waitcnt lgkmcnt(0)
	v_mov_b32_e32 v9, s1
	v_add_co_u32_e32 v6, vcc, s0, v6
	v_addc_co_u32_e32 v7, vcc, v9, v7, vcc
	s_mov_b64 s[0:1], 0
	v_mov_b32_e32 v9, 0
	v_mov_b32_e32 v10, s3
	;; [unrolled: 1-line block ×3, first 2 shown]
.LBB113_8:                              ; =>This Inner Loop Header: Depth=1
	global_load_dwordx2 v[14:15], v[6:7], off
	v_add_co_u32_e32 v16, vcc, s2, v4
	v_addc_co_u32_e32 v17, vcc, v10, v5, vcc
	global_load_sbyte v13, v[16:17], off
	s_waitcnt vmcnt(1)
	v_subrev_co_u32_e32 v14, vcc, s10, v14
	v_subb_co_u32_e32 v15, vcc, v15, v11, vcc
	v_add_co_u32_e32 v14, vcc, s16, v14
	v_addc_co_u32_e32 v15, vcc, v12, v15, vcc
	global_load_sbyte v14, v[14:15], off
	v_add_co_u32_e32 v4, vcc, 64, v4
	s_waitcnt vmcnt(1)
	v_cvt_f32_i32_e32 v13, v13
	v_addc_co_u32_e32 v5, vcc, 0, v5, vcc
	v_add_co_u32_e32 v6, vcc, 0x200, v6
	v_addc_co_u32_e32 v7, vcc, 0, v7, vcc
	v_cmp_ge_i64_e32 vcc, v[4:5], v[0:1]
	v_mul_f32_e32 v13, s12, v13
	s_or_b64 s[0:1], vcc, s[0:1]
	s_waitcnt vmcnt(0)
	v_cvt_f32_i32_e32 v14, v14
	v_fmac_f32_e32 v9, v13, v14
	s_andn2_b64 exec, exec, s[0:1]
	s_cbranch_execnz .LBB113_8
; %bb.9:
	s_or_b64 exec, exec, s[0:1]
.LBB113_10:
	s_or_b64 exec, exec, s[14:15]
	v_mov_b32_dpp v0, v9 row_shr:1 row_mask:0xf bank_mask:0xf
	v_add_f32_e32 v0, v9, v0
	v_cmp_eq_u32_e32 vcc, 63, v8
	s_nop 0
	v_mov_b32_dpp v1, v0 row_shr:2 row_mask:0xf bank_mask:0xf
	v_add_f32_e32 v0, v0, v1
	s_nop 1
	v_mov_b32_dpp v1, v0 row_shr:4 row_mask:0xf bank_mask:0xe
	v_add_f32_e32 v0, v0, v1
	;; [unrolled: 3-line block ×3, first 2 shown]
	s_nop 1
	v_mov_b32_dpp v1, v0 row_bcast:15 row_mask:0xa bank_mask:0xf
	v_add_f32_e32 v0, v0, v1
	s_nop 1
	v_mov_b32_dpp v1, v0 row_bcast:31 row_mask:0xc bank_mask:0xf
	s_and_b64 exec, exec, vcc
	s_cbranch_execz .LBB113_14
; %bb.11:
	v_cmp_eq_f32_e64 s[0:1], s8, 0
	v_add_f32_e32 v4, v0, v1
	s_and_b64 vcc, exec, s[0:1]
	v_lshlrev_b64 v[0:1], 2, v[2:3]
	s_cbranch_vccnz .LBB113_13
; %bb.12:
	v_mov_b32_e32 v3, s7
	v_add_co_u32_e32 v2, vcc, s6, v0
	v_addc_co_u32_e32 v3, vcc, v3, v1, vcc
	global_load_dword v2, v[2:3], off
	s_waitcnt vmcnt(0)
	v_fmac_f32_e32 v4, s8, v2
.LBB113_13:
	v_mov_b32_e32 v2, s7
	v_add_co_u32_e32 v0, vcc, s6, v0
	v_addc_co_u32_e32 v1, vcc, v2, v1, vcc
	global_store_dword v[0:1], v4, off
.LBB113_14:
	s_endpgm
	.section	.rodata,"a",@progbits
	.p2align	6, 0x0
	.amdhsa_kernel _ZN9rocsparseL41csrmvn_lrb_medium_rows_warp_reduce_kernelILj256ELj64EllaaffEEvbT1_lPT2_S3_jNS_24const_host_device_scalarIT6_EEPKS1_PKS2_PKT3_PKT4_S6_PT5_21rocsparse_index_base_b
		.amdhsa_group_segment_fixed_size 0
		.amdhsa_private_segment_fixed_size 0
		.amdhsa_kernarg_size 112
		.amdhsa_user_sgpr_count 6
		.amdhsa_user_sgpr_private_segment_buffer 1
		.amdhsa_user_sgpr_dispatch_ptr 0
		.amdhsa_user_sgpr_queue_ptr 0
		.amdhsa_user_sgpr_kernarg_segment_ptr 1
		.amdhsa_user_sgpr_dispatch_id 0
		.amdhsa_user_sgpr_flat_scratch_init 0
		.amdhsa_user_sgpr_kernarg_preload_length 0
		.amdhsa_user_sgpr_kernarg_preload_offset 0
		.amdhsa_user_sgpr_private_segment_size 0
		.amdhsa_uses_dynamic_stack 0
		.amdhsa_system_sgpr_private_segment_wavefront_offset 0
		.amdhsa_system_sgpr_workgroup_id_x 1
		.amdhsa_system_sgpr_workgroup_id_y 0
		.amdhsa_system_sgpr_workgroup_id_z 0
		.amdhsa_system_sgpr_workgroup_info 0
		.amdhsa_system_vgpr_workitem_id 0
		.amdhsa_next_free_vgpr 18
		.amdhsa_next_free_sgpr 18
		.amdhsa_accum_offset 20
		.amdhsa_reserve_vcc 1
		.amdhsa_reserve_flat_scratch 0
		.amdhsa_float_round_mode_32 0
		.amdhsa_float_round_mode_16_64 0
		.amdhsa_float_denorm_mode_32 3
		.amdhsa_float_denorm_mode_16_64 3
		.amdhsa_dx10_clamp 1
		.amdhsa_ieee_mode 1
		.amdhsa_fp16_overflow 0
		.amdhsa_tg_split 0
		.amdhsa_exception_fp_ieee_invalid_op 0
		.amdhsa_exception_fp_denorm_src 0
		.amdhsa_exception_fp_ieee_div_zero 0
		.amdhsa_exception_fp_ieee_overflow 0
		.amdhsa_exception_fp_ieee_underflow 0
		.amdhsa_exception_fp_ieee_inexact 0
		.amdhsa_exception_int_div_zero 0
	.end_amdhsa_kernel
	.section	.text._ZN9rocsparseL41csrmvn_lrb_medium_rows_warp_reduce_kernelILj256ELj64EllaaffEEvbT1_lPT2_S3_jNS_24const_host_device_scalarIT6_EEPKS1_PKS2_PKT3_PKT4_S6_PT5_21rocsparse_index_base_b,"axG",@progbits,_ZN9rocsparseL41csrmvn_lrb_medium_rows_warp_reduce_kernelILj256ELj64EllaaffEEvbT1_lPT2_S3_jNS_24const_host_device_scalarIT6_EEPKS1_PKS2_PKT3_PKT4_S6_PT5_21rocsparse_index_base_b,comdat
.Lfunc_end113:
	.size	_ZN9rocsparseL41csrmvn_lrb_medium_rows_warp_reduce_kernelILj256ELj64EllaaffEEvbT1_lPT2_S3_jNS_24const_host_device_scalarIT6_EEPKS1_PKS2_PKT3_PKT4_S6_PT5_21rocsparse_index_base_b, .Lfunc_end113-_ZN9rocsparseL41csrmvn_lrb_medium_rows_warp_reduce_kernelILj256ELj64EllaaffEEvbT1_lPT2_S3_jNS_24const_host_device_scalarIT6_EEPKS1_PKS2_PKT3_PKT4_S6_PT5_21rocsparse_index_base_b
                                        ; -- End function
	.section	.AMDGPU.csdata,"",@progbits
; Kernel info:
; codeLenInByte = 700
; NumSgprs: 22
; NumVgprs: 18
; NumAgprs: 0
; TotalNumVgprs: 18
; ScratchSize: 0
; MemoryBound: 0
; FloatMode: 240
; IeeeMode: 1
; LDSByteSize: 0 bytes/workgroup (compile time only)
; SGPRBlocks: 2
; VGPRBlocks: 2
; NumSGPRsForWavesPerEU: 22
; NumVGPRsForWavesPerEU: 18
; AccumOffset: 20
; Occupancy: 8
; WaveLimiterHint : 1
; COMPUTE_PGM_RSRC2:SCRATCH_EN: 0
; COMPUTE_PGM_RSRC2:USER_SGPR: 6
; COMPUTE_PGM_RSRC2:TRAP_HANDLER: 0
; COMPUTE_PGM_RSRC2:TGID_X_EN: 1
; COMPUTE_PGM_RSRC2:TGID_Y_EN: 0
; COMPUTE_PGM_RSRC2:TGID_Z_EN: 0
; COMPUTE_PGM_RSRC2:TIDIG_COMP_CNT: 0
; COMPUTE_PGM_RSRC3_GFX90A:ACCUM_OFFSET: 4
; COMPUTE_PGM_RSRC3_GFX90A:TG_SPLIT: 0
	.section	.text._ZN9rocsparseL29csrmvn_lrb_medium_rows_kernelILj256EllaaffEEvbT0_PT1_S3_jNS_24const_host_device_scalarIT5_EEPKS1_PKS2_PKT2_PKT3_S6_PT4_21rocsparse_index_base_b,"axG",@progbits,_ZN9rocsparseL29csrmvn_lrb_medium_rows_kernelILj256EllaaffEEvbT0_PT1_S3_jNS_24const_host_device_scalarIT5_EEPKS1_PKS2_PKT2_PKT3_S6_PT4_21rocsparse_index_base_b,comdat
	.globl	_ZN9rocsparseL29csrmvn_lrb_medium_rows_kernelILj256EllaaffEEvbT0_PT1_S3_jNS_24const_host_device_scalarIT5_EEPKS1_PKS2_PKT2_PKT3_S6_PT4_21rocsparse_index_base_b ; -- Begin function _ZN9rocsparseL29csrmvn_lrb_medium_rows_kernelILj256EllaaffEEvbT0_PT1_S3_jNS_24const_host_device_scalarIT5_EEPKS1_PKS2_PKT2_PKT3_S6_PT4_21rocsparse_index_base_b
	.p2align	8
	.type	_ZN9rocsparseL29csrmvn_lrb_medium_rows_kernelILj256EllaaffEEvbT0_PT1_S3_jNS_24const_host_device_scalarIT5_EEPKS1_PKS2_PKT2_PKT3_S6_PT4_21rocsparse_index_base_b,@function
_ZN9rocsparseL29csrmvn_lrb_medium_rows_kernelILj256EllaaffEEvbT0_PT1_S3_jNS_24const_host_device_scalarIT5_EEPKS1_PKS2_PKT2_PKT3_S6_PT4_21rocsparse_index_base_b: ; @_ZN9rocsparseL29csrmvn_lrb_medium_rows_kernelILj256EllaaffEEvbT0_PT1_S3_jNS_24const_host_device_scalarIT5_EEPKS1_PKS2_PKT2_PKT3_S6_PT4_21rocsparse_index_base_b
; %bb.0:
	s_load_dwordx2 s[12:13], s[4:5], 0x60
	s_load_dwordx2 s[14:15], s[4:5], 0x28
	;; [unrolled: 1-line block ×3, first 2 shown]
	s_waitcnt lgkmcnt(0)
	s_bitcmp1_b32 s13, 0
	s_cselect_b64 s[2:3], -1, 0
	s_xor_b64 s[0:1], s[2:3], -1
	s_and_b64 vcc, exec, s[2:3]
	s_cbranch_vccnz .LBB114_2
; %bb.1:
	s_load_dword s14, s[14:15], 0x0
.LBB114_2:
	s_andn2_b64 vcc, exec, s[0:1]
	s_cbranch_vccnz .LBB114_4
; %bb.3:
	s_load_dword s8, s[8:9], 0x0
.LBB114_4:
	s_waitcnt lgkmcnt(0)
	v_cmp_neq_f32_e64 s[0:1], s14, 0
	v_cmp_neq_f32_e64 s[2:3], s8, 1.0
	s_or_b64 s[0:1], s[0:1], s[2:3]
	s_andn2_b64 vcc, exec, s[0:1]
	s_mov_b32 s9, 0
	s_cbranch_vccnz .LBB114_29
; %bb.5:
	s_load_dword s10, s[4:5], 0x20
	s_load_dwordx4 s[0:3], s[4:5], 0x10
	s_mov_b32 s11, s9
	v_subrev_co_u32_e32 v1, vcc, s12, v0
	s_waitcnt lgkmcnt(0)
	s_lshl_b64 s[10:11], s[10:11], 3
	s_add_u32 s2, s2, s10
	s_addc_u32 s3, s3, s11
	s_load_dwordx2 s[2:3], s[2:3], 0x0
	s_ashr_i32 s7, s6, 31
	v_subb_co_u32_e64 v3, s[16:17], 0, 0, vcc
	v_mov_b32_e32 v6, 0
	s_waitcnt lgkmcnt(0)
	s_lshl_b64 s[2:3], s[2:3], 3
	s_add_u32 s2, s0, s2
	s_addc_u32 s3, s1, s3
	s_lshl_b64 s[0:1], s[6:7], 3
	s_add_u32 s0, s2, s0
	s_addc_u32 s1, s3, s1
	s_load_dwordx2 s[10:11], s[0:1], 0x0
	s_load_dwordx2 s[2:3], s[4:5], 0x30
	;; [unrolled: 1-line block ×3, first 2 shown]
	s_waitcnt lgkmcnt(0)
	s_lshl_b64 s[0:1], s[10:11], 3
	s_add_u32 s0, s2, s0
	s_addc_u32 s1, s3, s1
	s_load_dwordx4 s[0:3], s[0:1], 0x0
	s_waitcnt lgkmcnt(0)
	s_sub_u32 s16, s2, s12
	v_mov_b32_e32 v4, s1
	v_add_co_u32_e32 v2, vcc, s0, v1
	s_subb_u32 s17, s3, 0
	v_addc_co_u32_e32 v3, vcc, v4, v3, vcc
	v_cmp_gt_i64_e32 vcc, s[16:17], v[2:3]
	s_and_saveexec_b64 s[18:19], vcc
	s_cbranch_execz .LBB114_9
; %bb.6:
	s_load_dwordx4 s[0:3], s[4:5], 0x38
	s_load_dwordx2 s[20:21], s[4:5], 0x48
	v_lshlrev_b64 v[4:5], 3, v[2:3]
	v_mov_b32_e32 v6, 0
	v_mov_b32_e32 v7, s9
	s_waitcnt lgkmcnt(0)
	v_mov_b32_e32 v1, s1
	v_add_co_u32_e32 v4, vcc, s0, v4
	v_addc_co_u32_e32 v5, vcc, v1, v5, vcc
	s_mov_b64 s[0:1], 0
	v_mov_b32_e32 v1, s3
	v_mov_b32_e32 v8, s21
.LBB114_7:                              ; =>This Inner Loop Header: Depth=1
	global_load_dwordx2 v[10:11], v[4:5], off
	v_add_co_u32_e32 v12, vcc, s2, v2
	v_addc_co_u32_e32 v13, vcc, v1, v3, vcc
	global_load_sbyte v9, v[12:13], off
	s_waitcnt vmcnt(1)
	v_subrev_co_u32_e32 v10, vcc, s12, v10
	v_subb_co_u32_e32 v11, vcc, v11, v7, vcc
	v_add_co_u32_e32 v10, vcc, s20, v10
	v_addc_co_u32_e32 v11, vcc, v8, v11, vcc
	global_load_sbyte v10, v[10:11], off
	v_add_co_u32_e32 v2, vcc, 0x100, v2
	s_waitcnt vmcnt(1)
	v_cvt_f32_i32_e32 v9, v9
	v_addc_co_u32_e32 v3, vcc, 0, v3, vcc
	v_add_co_u32_e32 v4, vcc, 0x800, v4
	v_addc_co_u32_e32 v5, vcc, 0, v5, vcc
	v_cmp_le_i64_e32 vcc, s[16:17], v[2:3]
	v_mul_f32_e32 v9, s14, v9
	s_or_b64 s[0:1], vcc, s[0:1]
	s_waitcnt vmcnt(0)
	v_cvt_f32_i32_e32 v10, v10
	v_fmac_f32_e32 v6, v9, v10
	s_andn2_b64 exec, exec, s[0:1]
	s_cbranch_execnz .LBB114_7
; %bb.8:
	s_or_b64 exec, exec, s[0:1]
.LBB114_9:
	s_or_b64 exec, exec, s[18:19]
	s_movk_i32 s0, 0x80
	v_lshlrev_b32_e32 v1, 2, v0
	v_cmp_gt_u32_e32 vcc, s0, v0
	ds_write_b32 v1, v6
	s_waitcnt lgkmcnt(0)
	s_barrier
	s_and_saveexec_b64 s[0:1], vcc
	s_cbranch_execz .LBB114_11
; %bb.10:
	ds_read2st64_b32 v[2:3], v1 offset1:2
	s_waitcnt lgkmcnt(0)
	v_add_f32_e32 v2, v2, v3
	ds_write_b32 v1, v2
.LBB114_11:
	s_or_b64 exec, exec, s[0:1]
	v_cmp_gt_u32_e32 vcc, 64, v0
	s_waitcnt lgkmcnt(0)
	s_barrier
	s_and_saveexec_b64 s[0:1], vcc
	s_cbranch_execz .LBB114_13
; %bb.12:
	ds_read2st64_b32 v[2:3], v1 offset1:1
	s_waitcnt lgkmcnt(0)
	v_add_f32_e32 v2, v2, v3
	ds_write_b32 v1, v2
.LBB114_13:
	s_or_b64 exec, exec, s[0:1]
	v_cmp_gt_u32_e32 vcc, 32, v0
	s_waitcnt lgkmcnt(0)
	s_barrier
	s_and_saveexec_b64 s[0:1], vcc
	s_cbranch_execz .LBB114_15
; %bb.14:
	ds_read2_b32 v[2:3], v1 offset1:32
	s_waitcnt lgkmcnt(0)
	v_add_f32_e32 v2, v2, v3
	ds_write_b32 v1, v2
.LBB114_15:
	s_or_b64 exec, exec, s[0:1]
	v_cmp_gt_u32_e32 vcc, 16, v0
	s_waitcnt lgkmcnt(0)
	s_barrier
	s_and_saveexec_b64 s[0:1], vcc
	s_cbranch_execz .LBB114_17
; %bb.16:
	ds_read2_b32 v[2:3], v1 offset1:16
	s_waitcnt lgkmcnt(0)
	v_add_f32_e32 v2, v2, v3
	ds_write_b32 v1, v2
.LBB114_17:
	;; [unrolled: 12-line block ×5, first 2 shown]
	s_or_b64 exec, exec, s[0:1]
	v_cmp_eq_u32_e32 vcc, 0, v0
	s_waitcnt lgkmcnt(0)
	s_barrier
	s_and_saveexec_b64 s[0:1], vcc
	s_cbranch_execz .LBB114_25
; %bb.24:
	v_mov_b32_e32 v2, 0
	ds_read_b64 v[0:1], v2
	s_waitcnt lgkmcnt(0)
	v_add_f32_e32 v0, v0, v1
	ds_write_b32 v2, v0
.LBB114_25:
	s_or_b64 exec, exec, s[0:1]
	s_waitcnt lgkmcnt(0)
	s_barrier
	s_and_saveexec_b64 s[0:1], vcc
	s_cbranch_execz .LBB114_29
; %bb.26:
	v_mov_b32_e32 v0, 0
	ds_read_b32 v1, v0
	v_cmp_eq_f32_e64 s[0:1], s8, 0
	s_and_b64 vcc, exec, s[0:1]
	s_cbranch_vccnz .LBB114_28
; %bb.27:
	s_lshl_b64 s[0:1], s[10:11], 2
	s_add_u32 s0, s6, s0
	s_addc_u32 s1, s7, s1
	s_load_dword s0, s[0:1], 0x0
	s_waitcnt lgkmcnt(0)
	v_mov_b32_e32 v2, s0
	v_fmac_f32_e32 v1, s8, v2
.LBB114_28:
	s_lshl_b64 s[0:1], s[10:11], 2
	s_add_u32 s0, s6, s0
	s_addc_u32 s1, s7, s1
	s_waitcnt lgkmcnt(0)
	global_store_dword v0, v1, s[0:1]
.LBB114_29:
	s_endpgm
	.section	.rodata,"a",@progbits
	.p2align	6, 0x0
	.amdhsa_kernel _ZN9rocsparseL29csrmvn_lrb_medium_rows_kernelILj256EllaaffEEvbT0_PT1_S3_jNS_24const_host_device_scalarIT5_EEPKS1_PKS2_PKT2_PKT3_S6_PT4_21rocsparse_index_base_b
		.amdhsa_group_segment_fixed_size 1024
		.amdhsa_private_segment_fixed_size 0
		.amdhsa_kernarg_size 104
		.amdhsa_user_sgpr_count 6
		.amdhsa_user_sgpr_private_segment_buffer 1
		.amdhsa_user_sgpr_dispatch_ptr 0
		.amdhsa_user_sgpr_queue_ptr 0
		.amdhsa_user_sgpr_kernarg_segment_ptr 1
		.amdhsa_user_sgpr_dispatch_id 0
		.amdhsa_user_sgpr_flat_scratch_init 0
		.amdhsa_user_sgpr_kernarg_preload_length 0
		.amdhsa_user_sgpr_kernarg_preload_offset 0
		.amdhsa_user_sgpr_private_segment_size 0
		.amdhsa_uses_dynamic_stack 0
		.amdhsa_system_sgpr_private_segment_wavefront_offset 0
		.amdhsa_system_sgpr_workgroup_id_x 1
		.amdhsa_system_sgpr_workgroup_id_y 0
		.amdhsa_system_sgpr_workgroup_id_z 0
		.amdhsa_system_sgpr_workgroup_info 0
		.amdhsa_system_vgpr_workitem_id 0
		.amdhsa_next_free_vgpr 14
		.amdhsa_next_free_sgpr 22
		.amdhsa_accum_offset 16
		.amdhsa_reserve_vcc 1
		.amdhsa_reserve_flat_scratch 0
		.amdhsa_float_round_mode_32 0
		.amdhsa_float_round_mode_16_64 0
		.amdhsa_float_denorm_mode_32 3
		.amdhsa_float_denorm_mode_16_64 3
		.amdhsa_dx10_clamp 1
		.amdhsa_ieee_mode 1
		.amdhsa_fp16_overflow 0
		.amdhsa_tg_split 0
		.amdhsa_exception_fp_ieee_invalid_op 0
		.amdhsa_exception_fp_denorm_src 0
		.amdhsa_exception_fp_ieee_div_zero 0
		.amdhsa_exception_fp_ieee_overflow 0
		.amdhsa_exception_fp_ieee_underflow 0
		.amdhsa_exception_fp_ieee_inexact 0
		.amdhsa_exception_int_div_zero 0
	.end_amdhsa_kernel
	.section	.text._ZN9rocsparseL29csrmvn_lrb_medium_rows_kernelILj256EllaaffEEvbT0_PT1_S3_jNS_24const_host_device_scalarIT5_EEPKS1_PKS2_PKT2_PKT3_S6_PT4_21rocsparse_index_base_b,"axG",@progbits,_ZN9rocsparseL29csrmvn_lrb_medium_rows_kernelILj256EllaaffEEvbT0_PT1_S3_jNS_24const_host_device_scalarIT5_EEPKS1_PKS2_PKT2_PKT3_S6_PT4_21rocsparse_index_base_b,comdat
.Lfunc_end114:
	.size	_ZN9rocsparseL29csrmvn_lrb_medium_rows_kernelILj256EllaaffEEvbT0_PT1_S3_jNS_24const_host_device_scalarIT5_EEPKS1_PKS2_PKT2_PKT3_S6_PT4_21rocsparse_index_base_b, .Lfunc_end114-_ZN9rocsparseL29csrmvn_lrb_medium_rows_kernelILj256EllaaffEEvbT0_PT1_S3_jNS_24const_host_device_scalarIT5_EEPKS1_PKS2_PKT2_PKT3_S6_PT4_21rocsparse_index_base_b
                                        ; -- End function
	.section	.AMDGPU.csdata,"",@progbits
; Kernel info:
; codeLenInByte = 976
; NumSgprs: 26
; NumVgprs: 14
; NumAgprs: 0
; TotalNumVgprs: 14
; ScratchSize: 0
; MemoryBound: 0
; FloatMode: 240
; IeeeMode: 1
; LDSByteSize: 1024 bytes/workgroup (compile time only)
; SGPRBlocks: 3
; VGPRBlocks: 1
; NumSGPRsForWavesPerEU: 26
; NumVGPRsForWavesPerEU: 14
; AccumOffset: 16
; Occupancy: 8
; WaveLimiterHint : 1
; COMPUTE_PGM_RSRC2:SCRATCH_EN: 0
; COMPUTE_PGM_RSRC2:USER_SGPR: 6
; COMPUTE_PGM_RSRC2:TRAP_HANDLER: 0
; COMPUTE_PGM_RSRC2:TGID_X_EN: 1
; COMPUTE_PGM_RSRC2:TGID_Y_EN: 0
; COMPUTE_PGM_RSRC2:TGID_Z_EN: 0
; COMPUTE_PGM_RSRC2:TIDIG_COMP_CNT: 0
; COMPUTE_PGM_RSRC3_GFX90A:ACCUM_OFFSET: 3
; COMPUTE_PGM_RSRC3_GFX90A:TG_SPLIT: 0
	.section	.text._ZN9rocsparseL27csrmvn_lrb_long_rows_kernelIllaaffEEvbT_PjPT0_S4_jNS_24const_host_device_scalarIT4_EEPKS1_PKS3_PKT1_PKT2_S7_PT3_21rocsparse_index_base_b,"axG",@progbits,_ZN9rocsparseL27csrmvn_lrb_long_rows_kernelIllaaffEEvbT_PjPT0_S4_jNS_24const_host_device_scalarIT4_EEPKS1_PKS3_PKT1_PKT2_S7_PT3_21rocsparse_index_base_b,comdat
	.globl	_ZN9rocsparseL27csrmvn_lrb_long_rows_kernelIllaaffEEvbT_PjPT0_S4_jNS_24const_host_device_scalarIT4_EEPKS1_PKS3_PKT1_PKT2_S7_PT3_21rocsparse_index_base_b ; -- Begin function _ZN9rocsparseL27csrmvn_lrb_long_rows_kernelIllaaffEEvbT_PjPT0_S4_jNS_24const_host_device_scalarIT4_EEPKS1_PKS3_PKT1_PKT2_S7_PT3_21rocsparse_index_base_b
	.p2align	8
	.type	_ZN9rocsparseL27csrmvn_lrb_long_rows_kernelIllaaffEEvbT_PjPT0_S4_jNS_24const_host_device_scalarIT4_EEPKS1_PKS3_PKT1_PKT2_S7_PT3_21rocsparse_index_base_b,@function
_ZN9rocsparseL27csrmvn_lrb_long_rows_kernelIllaaffEEvbT_PjPT0_S4_jNS_24const_host_device_scalarIT4_EEPKS1_PKS3_PKT1_PKT2_S7_PT3_21rocsparse_index_base_b: ; @_ZN9rocsparseL27csrmvn_lrb_long_rows_kernelIllaaffEEvbT_PjPT0_S4_jNS_24const_host_device_scalarIT4_EEPKS1_PKS3_PKT1_PKT2_S7_PT3_21rocsparse_index_base_b
; %bb.0:
	s_load_dwordx2 s[16:17], s[4:5], 0x68
	s_load_dwordx2 s[18:19], s[4:5], 0x30
	;; [unrolled: 1-line block ×3, first 2 shown]
	s_waitcnt lgkmcnt(0)
	s_bitcmp1_b32 s17, 0
	s_cselect_b64 s[2:3], -1, 0
	s_xor_b64 s[0:1], s[2:3], -1
	s_and_b64 vcc, exec, s[2:3]
	s_cbranch_vccnz .LBB115_2
; %bb.1:
	s_load_dword s18, s[18:19], 0x0
.LBB115_2:
	s_andn2_b64 vcc, exec, s[0:1]
	s_cbranch_vccnz .LBB115_4
; %bb.3:
	s_load_dword s20, s[20:21], 0x0
.LBB115_4:
	s_waitcnt lgkmcnt(0)
	v_cmp_neq_f32_e64 s[0:1], s18, 0
	v_cmp_neq_f32_e64 s[2:3], s20, 1.0
	s_or_b64 s[0:1], s[0:1], s[2:3]
	s_andn2_b64 vcc, exec, s[0:1]
	s_mov_b32 s9, 0
	s_cbranch_vccnz .LBB115_39
; %bb.5:
	s_load_dword s8, s[4:5], 0x28
	s_load_dwordx2 s[0:1], s[4:5], 0x20
	s_waitcnt lgkmcnt(0)
	s_lshl_b64 s[2:3], s[8:9], 3
	s_add_u32 s10, s0, s2
	s_addc_u32 s11, s1, s3
	s_lshl_b32 s0, -1, s8
	s_not_b32 s0, s0
	s_mul_hi_u32 s0, s0, 0x2aaaaaab
	s_lshr_b32 s7, s0, 7
	s_add_i32 s14, s7, 1
	v_cvt_f32_u32_e32 v1, s14
	s_not_b32 s7, s7
	s_load_dwordx4 s[0:3], s[4:5], 0x10
	s_load_dwordx2 s[12:13], s[10:11], 0x0
	v_rcp_iflag_f32_e32 v1, v1
	v_mul_f32_e32 v1, 0x4f7ffffe, v1
	v_cvt_u32_f32_e32 v1, v1
	v_readfirstlane_b32 s8, v1
	s_mul_i32 s7, s7, s8
	s_mul_hi_u32 s7, s8, s7
	s_add_i32 s8, s8, s7
	s_mul_hi_u32 s7, s6, s8
	s_mul_i32 s8, s7, s14
	s_sub_i32 s8, s6, s8
	s_add_i32 s10, s7, 1
	s_sub_i32 s11, s8, s14
	s_cmp_ge_u32 s8, s14
	s_cselect_b32 s7, s10, s7
	s_cselect_b32 s8, s11, s8
	s_add_i32 s10, s7, 1
	s_cmp_ge_u32 s8, s14
	s_cselect_b32 s8, s10, s7
	s_mul_i32 s7, s8, s14
	s_waitcnt lgkmcnt(0)
	s_lshl_b64 s[10:11], s[12:13], 3
	s_sub_i32 s17, s6, s7
	s_add_u32 s7, s2, s10
	s_addc_u32 s10, s3, s11
	s_lshl_b64 s[2:3], s[8:9], 3
	s_add_u32 s8, s7, s2
	s_addc_u32 s9, s10, s3
	s_load_dwordx2 s[12:13], s[8:9], 0x0
	s_load_dwordx2 s[10:11], s[4:5], 0x38
	;; [unrolled: 1-line block ×3, first 2 shown]
	v_or_b32_e32 v1, s17, v0
	v_cmp_eq_u32_e32 vcc, 0, v1
	s_waitcnt lgkmcnt(0)
	s_lshl_b64 s[8:9], s[12:13], 3
	s_add_u32 s8, s10, s8
	s_addc_u32 s9, s11, s9
	s_ashr_i32 s7, s6, 31
	s_sub_u32 s14, s6, s17
	s_subb_u32 s15, s7, 0
	s_lshl_b64 s[6:7], s[6:7], 2
	s_add_u32 s6, s0, s6
	s_addc_u32 s7, s1, s7
	s_load_dwordx4 s[8:11], s[8:9], 0x0
	v_mov_b32_e32 v1, 0
	s_load_dword s19, s[6:7], 0x0
	s_and_saveexec_b64 s[22:23], vcc
	s_cbranch_execz .LBB115_9
; %bb.6:
	s_lshl_b64 s[26:27], s[12:13], 2
	s_add_u32 s26, s2, s26
	s_addc_u32 s27, s3, s27
	s_load_dword s26, s[26:27], 0x0
	s_mov_b64 s[24:25], exec
	v_mbcnt_lo_u32_b32 v2, s24, 0
	v_mbcnt_hi_u32_b32 v2, s25, v2
	v_add_f32_e64 v1, s20, -1.0
	v_cmp_eq_u32_e32 vcc, 0, v2
	s_waitcnt vmcnt(0) expcnt(0) lgkmcnt(0)
	s_and_saveexec_b64 s[20:21], vcc
	s_cbranch_execz .LBB115_8
; %bb.7:
	s_lshl_b64 s[28:29], s[14:15], 2
	s_add_u32 s28, s0, s28
	s_addc_u32 s29, s1, s29
	s_bcnt1_i32_b64 s24, s[24:25]
	s_and_b32 s24, s24, 1
	v_mov_b32_e32 v2, 0
	v_mov_b32_e32 v3, s24
	global_atomic_xor v2, v3, s[28:29]
.LBB115_8:
	s_or_b64 exec, exec, s[20:21]
	v_mul_f32_e32 v1, s26, v1
.LBB115_9:
	s_or_b64 exec, exec, s[22:23]
	s_waitcnt lgkmcnt(0)
	s_sub_u32 s8, s8, s16
	s_mul_i32 s21, s17, 0x300
	s_subb_u32 s9, s9, 0
	s_mul_hi_u32 s20, s17, 0x300
	s_add_u32 s22, s8, s21
	s_addc_u32 s23, s9, s20
	s_sub_u32 s8, s10, s16
	s_subb_u32 s9, s11, 0
	s_add_u32 s10, s22, 0x300
	s_addc_u32 s11, s23, 0
	v_pk_mov_b32 v[2:3], s[8:9], s[8:9] op_sel:[0,1]
	v_cmp_lt_i64_e32 vcc, s[10:11], v[2:3]
	s_and_b64 s[20:21], vcc, exec
	v_mov_b32_e32 v3, s23
	v_add_co_u32_e32 v2, vcc, s22, v0
	s_cselect_b32 s21, s11, s9
	s_cselect_b32 s20, s10, s8
	v_addc_co_u32_e32 v3, vcc, 0, v3, vcc
	s_mov_b32 s26, 0
	v_cmp_gt_i64_e32 vcc, s[20:21], v[2:3]
	s_and_saveexec_b64 s[22:23], vcc
	s_cbranch_execz .LBB115_13
; %bb.10:
	s_load_dwordx4 s[8:11], s[4:5], 0x40
	s_load_dwordx2 s[24:25], s[4:5], 0x50
	v_lshlrev_b64 v[4:5], 3, v[2:3]
	s_mov_b64 s[4:5], 0
	v_mov_b32_e32 v7, s26
	s_waitcnt lgkmcnt(0)
	v_mov_b32_e32 v6, s9
	v_add_co_u32_e32 v4, vcc, s8, v4
	v_addc_co_u32_e32 v5, vcc, v6, v5, vcc
	v_mov_b32_e32 v6, s11
	v_mov_b32_e32 v8, s25
.LBB115_11:                             ; =>This Inner Loop Header: Depth=1
	global_load_dwordx2 v[10:11], v[4:5], off
	v_add_co_u32_e32 v12, vcc, s10, v2
	v_addc_co_u32_e32 v13, vcc, v6, v3, vcc
	global_load_sbyte v9, v[12:13], off
	s_waitcnt vmcnt(1)
	v_subrev_co_u32_e32 v10, vcc, s16, v10
	v_subb_co_u32_e32 v11, vcc, v11, v7, vcc
	v_add_co_u32_e32 v10, vcc, s24, v10
	v_addc_co_u32_e32 v11, vcc, v8, v11, vcc
	global_load_sbyte v10, v[10:11], off
	v_add_co_u32_e32 v2, vcc, 0x100, v2
	s_waitcnt vmcnt(1)
	v_cvt_f32_i32_e32 v9, v9
	v_addc_co_u32_e32 v3, vcc, 0, v3, vcc
	v_add_co_u32_e32 v4, vcc, 0x800, v4
	v_addc_co_u32_e32 v5, vcc, 0, v5, vcc
	v_cmp_le_i64_e32 vcc, s[20:21], v[2:3]
	v_mul_f32_e32 v9, s18, v9
	s_or_b64 s[4:5], vcc, s[4:5]
	s_waitcnt vmcnt(0)
	v_cvt_f32_i32_e32 v10, v10
	v_fmac_f32_e32 v1, v9, v10
	s_andn2_b64 exec, exec, s[4:5]
	s_cbranch_execnz .LBB115_11
; %bb.12:
	s_or_b64 exec, exec, s[4:5]
.LBB115_13:
	s_or_b64 exec, exec, s[22:23]
	s_movk_i32 s4, 0x80
	v_lshlrev_b32_e32 v2, 2, v0
	v_cmp_gt_u32_e32 vcc, s4, v0
	ds_write_b32 v2, v1
	s_waitcnt lgkmcnt(0)
	s_barrier
	s_and_saveexec_b64 s[4:5], vcc
	s_cbranch_execz .LBB115_15
; %bb.14:
	ds_read2st64_b32 v[4:5], v2 offset1:2
	s_waitcnt lgkmcnt(0)
	v_add_f32_e32 v1, v4, v5
	ds_write_b32 v2, v1
.LBB115_15:
	s_or_b64 exec, exec, s[4:5]
	v_cmp_gt_u32_e32 vcc, 64, v0
	s_waitcnt lgkmcnt(0)
	s_barrier
	s_and_saveexec_b64 s[4:5], vcc
	s_cbranch_execz .LBB115_17
; %bb.16:
	ds_read2st64_b32 v[4:5], v2 offset1:1
	s_waitcnt lgkmcnt(0)
	v_add_f32_e32 v1, v4, v5
	ds_write_b32 v2, v1
.LBB115_17:
	s_or_b64 exec, exec, s[4:5]
	v_cmp_gt_u32_e32 vcc, 32, v0
	s_waitcnt lgkmcnt(0)
	s_barrier
	s_and_saveexec_b64 s[4:5], vcc
	s_cbranch_execz .LBB115_19
; %bb.18:
	ds_read2_b32 v[4:5], v2 offset1:32
	s_waitcnt lgkmcnt(0)
	v_add_f32_e32 v1, v4, v5
	ds_write_b32 v2, v1
.LBB115_19:
	s_or_b64 exec, exec, s[4:5]
	v_cmp_gt_u32_e32 vcc, 16, v0
	s_waitcnt lgkmcnt(0)
	s_barrier
	s_and_saveexec_b64 s[4:5], vcc
	s_cbranch_execz .LBB115_21
; %bb.20:
	ds_read2_b32 v[4:5], v2 offset1:16
	s_waitcnt lgkmcnt(0)
	v_add_f32_e32 v1, v4, v5
	ds_write_b32 v2, v1
.LBB115_21:
	;; [unrolled: 12-line block ×5, first 2 shown]
	s_or_b64 exec, exec, s[4:5]
	v_cmp_eq_u32_e32 vcc, 0, v0
	s_waitcnt lgkmcnt(0)
	s_barrier
	s_and_saveexec_b64 s[4:5], vcc
	s_cbranch_execz .LBB115_29
; %bb.28:
	v_mov_b32_e32 v2, 0
	ds_read_b64 v[0:1], v2
	s_waitcnt lgkmcnt(0)
	v_add_f32_e32 v0, v0, v1
	ds_write_b32 v2, v0
.LBB115_29:
	s_or_b64 exec, exec, s[4:5]
	s_waitcnt lgkmcnt(0)
	s_barrier
	s_and_saveexec_b64 s[4:5], vcc
	s_cbranch_execz .LBB115_39
; %bb.30:
	s_cmp_eq_u32 s17, 0
	s_cbranch_scc1 .LBB115_36
; %bb.31:
	s_lshl_b64 s[4:5], s[14:15], 2
	s_add_u32 s0, s0, s4
	s_addc_u32 s1, s1, s5
	v_mov_b32_e32 v0, 0
	s_branch .LBB115_33
.LBB115_32:                             ;   in Loop: Header=BB115_33 Depth=1
	s_or_b64 exec, exec, s[4:5]
	s_waitcnt vmcnt(0)
	v_readfirstlane_b32 s4, v1
	s_cmp_eq_u32 s4, s19
	s_cbranch_scc0 .LBB115_35
.LBB115_33:                             ; =>This Inner Loop Header: Depth=1
	v_mbcnt_lo_u32_b32 v1, exec_lo, 0
	v_mbcnt_hi_u32_b32 v1, exec_hi, v1
	v_cmp_eq_u32_e32 vcc, 0, v1
                                        ; implicit-def: $vgpr1
	s_and_saveexec_b64 s[4:5], vcc
	s_cbranch_execz .LBB115_32
; %bb.34:                               ;   in Loop: Header=BB115_33 Depth=1
	global_load_dword v1, v0, s[0:1] glc
	s_branch .LBB115_32
.LBB115_35:
	v_mov_b32_e32 v0, 0
	global_load_dword v1, v0, s[6:7]
	s_waitcnt vmcnt(0)
	v_xor_b32_e32 v1, 1, v1
	global_store_dword v0, v1, s[6:7]
.LBB115_36:
	s_mov_b64 s[4:5], exec
	v_mbcnt_lo_u32_b32 v0, s4, 0
	v_mbcnt_hi_u32_b32 v0, s5, v0
	v_cmp_eq_u32_e32 vcc, 0, v0
	s_and_b64 s[0:1], exec, vcc
	s_mov_b64 exec, s[0:1]
	s_cbranch_execz .LBB115_39
; %bb.37:
	s_lshl_b64 s[0:1], s[12:13], 2
	s_add_u32 s0, s2, s0
	s_addc_u32 s1, s3, s1
	v_mov_b32_e32 v2, 0
	global_load_dword v1, v2, s[0:1]
	ds_read_b32 v0, v2
	s_bcnt1_i32_b64 s2, s[4:5]
	v_cvt_f32_ubyte0_e32 v3, s2
	s_mov_b64 s[2:3], 0
	s_waitcnt lgkmcnt(0)
	v_mul_f32_e32 v3, v0, v3
.LBB115_38:                             ; =>This Inner Loop Header: Depth=1
	s_waitcnt vmcnt(0)
	v_add_f32_e32 v0, v1, v3
	global_atomic_cmpswap v0, v2, v[0:1], s[0:1] glc
	s_waitcnt vmcnt(0)
	v_cmp_eq_u32_e32 vcc, v0, v1
	s_or_b64 s[2:3], vcc, s[2:3]
	v_mov_b32_e32 v1, v0
	s_andn2_b64 exec, exec, s[2:3]
	s_cbranch_execnz .LBB115_38
.LBB115_39:
	s_endpgm
	.section	.rodata,"a",@progbits
	.p2align	6, 0x0
	.amdhsa_kernel _ZN9rocsparseL27csrmvn_lrb_long_rows_kernelIllaaffEEvbT_PjPT0_S4_jNS_24const_host_device_scalarIT4_EEPKS1_PKS3_PKT1_PKT2_S7_PT3_21rocsparse_index_base_b
		.amdhsa_group_segment_fixed_size 1024
		.amdhsa_private_segment_fixed_size 0
		.amdhsa_kernarg_size 112
		.amdhsa_user_sgpr_count 6
		.amdhsa_user_sgpr_private_segment_buffer 1
		.amdhsa_user_sgpr_dispatch_ptr 0
		.amdhsa_user_sgpr_queue_ptr 0
		.amdhsa_user_sgpr_kernarg_segment_ptr 1
		.amdhsa_user_sgpr_dispatch_id 0
		.amdhsa_user_sgpr_flat_scratch_init 0
		.amdhsa_user_sgpr_kernarg_preload_length 0
		.amdhsa_user_sgpr_kernarg_preload_offset 0
		.amdhsa_user_sgpr_private_segment_size 0
		.amdhsa_uses_dynamic_stack 0
		.amdhsa_system_sgpr_private_segment_wavefront_offset 0
		.amdhsa_system_sgpr_workgroup_id_x 1
		.amdhsa_system_sgpr_workgroup_id_y 0
		.amdhsa_system_sgpr_workgroup_id_z 0
		.amdhsa_system_sgpr_workgroup_info 0
		.amdhsa_system_vgpr_workitem_id 0
		.amdhsa_next_free_vgpr 14
		.amdhsa_next_free_sgpr 30
		.amdhsa_accum_offset 16
		.amdhsa_reserve_vcc 1
		.amdhsa_reserve_flat_scratch 0
		.amdhsa_float_round_mode_32 0
		.amdhsa_float_round_mode_16_64 0
		.amdhsa_float_denorm_mode_32 3
		.amdhsa_float_denorm_mode_16_64 3
		.amdhsa_dx10_clamp 1
		.amdhsa_ieee_mode 1
		.amdhsa_fp16_overflow 0
		.amdhsa_tg_split 0
		.amdhsa_exception_fp_ieee_invalid_op 0
		.amdhsa_exception_fp_denorm_src 0
		.amdhsa_exception_fp_ieee_div_zero 0
		.amdhsa_exception_fp_ieee_overflow 0
		.amdhsa_exception_fp_ieee_underflow 0
		.amdhsa_exception_fp_ieee_inexact 0
		.amdhsa_exception_int_div_zero 0
	.end_amdhsa_kernel
	.section	.text._ZN9rocsparseL27csrmvn_lrb_long_rows_kernelIllaaffEEvbT_PjPT0_S4_jNS_24const_host_device_scalarIT4_EEPKS1_PKS3_PKT1_PKT2_S7_PT3_21rocsparse_index_base_b,"axG",@progbits,_ZN9rocsparseL27csrmvn_lrb_long_rows_kernelIllaaffEEvbT_PjPT0_S4_jNS_24const_host_device_scalarIT4_EEPKS1_PKS3_PKT1_PKT2_S7_PT3_21rocsparse_index_base_b,comdat
.Lfunc_end115:
	.size	_ZN9rocsparseL27csrmvn_lrb_long_rows_kernelIllaaffEEvbT_PjPT0_S4_jNS_24const_host_device_scalarIT4_EEPKS1_PKS3_PKT1_PKT2_S7_PT3_21rocsparse_index_base_b, .Lfunc_end115-_ZN9rocsparseL27csrmvn_lrb_long_rows_kernelIllaaffEEvbT_PjPT0_S4_jNS_24const_host_device_scalarIT4_EEPKS1_PKS3_PKT1_PKT2_S7_PT3_21rocsparse_index_base_b
                                        ; -- End function
	.section	.AMDGPU.csdata,"",@progbits
; Kernel info:
; codeLenInByte = 1468
; NumSgprs: 34
; NumVgprs: 14
; NumAgprs: 0
; TotalNumVgprs: 14
; ScratchSize: 0
; MemoryBound: 0
; FloatMode: 240
; IeeeMode: 1
; LDSByteSize: 1024 bytes/workgroup (compile time only)
; SGPRBlocks: 4
; VGPRBlocks: 1
; NumSGPRsForWavesPerEU: 34
; NumVGPRsForWavesPerEU: 14
; AccumOffset: 16
; Occupancy: 8
; WaveLimiterHint : 1
; COMPUTE_PGM_RSRC2:SCRATCH_EN: 0
; COMPUTE_PGM_RSRC2:USER_SGPR: 6
; COMPUTE_PGM_RSRC2:TRAP_HANDLER: 0
; COMPUTE_PGM_RSRC2:TGID_X_EN: 1
; COMPUTE_PGM_RSRC2:TGID_Y_EN: 0
; COMPUTE_PGM_RSRC2:TGID_Z_EN: 0
; COMPUTE_PGM_RSRC2:TIDIG_COMP_CNT: 0
; COMPUTE_PGM_RSRC3_GFX90A:ACCUM_OFFSET: 3
; COMPUTE_PGM_RSRC3_GFX90A:TG_SPLIT: 0
	.section	.text._ZN9rocsparseL28csrmvn_lrb_short_rows_kernelIiiDF16_DF16_ffEEvbT_PT0_S3_jNS_24const_host_device_scalarIT4_EEPKS1_PKS2_PKT1_PKT2_S6_PT3_21rocsparse_index_base_b,"axG",@progbits,_ZN9rocsparseL28csrmvn_lrb_short_rows_kernelIiiDF16_DF16_ffEEvbT_PT0_S3_jNS_24const_host_device_scalarIT4_EEPKS1_PKS2_PKT1_PKT2_S6_PT3_21rocsparse_index_base_b,comdat
	.globl	_ZN9rocsparseL28csrmvn_lrb_short_rows_kernelIiiDF16_DF16_ffEEvbT_PT0_S3_jNS_24const_host_device_scalarIT4_EEPKS1_PKS2_PKT1_PKT2_S6_PT3_21rocsparse_index_base_b ; -- Begin function _ZN9rocsparseL28csrmvn_lrb_short_rows_kernelIiiDF16_DF16_ffEEvbT_PT0_S3_jNS_24const_host_device_scalarIT4_EEPKS1_PKS2_PKT1_PKT2_S6_PT3_21rocsparse_index_base_b
	.p2align	8
	.type	_ZN9rocsparseL28csrmvn_lrb_short_rows_kernelIiiDF16_DF16_ffEEvbT_PT0_S3_jNS_24const_host_device_scalarIT4_EEPKS1_PKS2_PKT1_PKT2_S6_PT3_21rocsparse_index_base_b,@function
_ZN9rocsparseL28csrmvn_lrb_short_rows_kernelIiiDF16_DF16_ffEEvbT_PT0_S3_jNS_24const_host_device_scalarIT4_EEPKS1_PKS2_PKT1_PKT2_S6_PT3_21rocsparse_index_base_b: ; @_ZN9rocsparseL28csrmvn_lrb_short_rows_kernelIiiDF16_DF16_ffEEvbT_PT0_S3_jNS_24const_host_device_scalarIT4_EEPKS1_PKS2_PKT1_PKT2_S6_PT3_21rocsparse_index_base_b
; %bb.0:
	s_load_dwordx2 s[20:21], s[4:5], 0x58
	s_load_dwordx2 s[22:23], s[4:5], 0x20
	;; [unrolled: 1-line block ×3, first 2 shown]
	s_waitcnt lgkmcnt(0)
	s_bitcmp1_b32 s21, 0
	s_cselect_b64 s[2:3], -1, 0
	s_xor_b64 s[0:1], s[2:3], -1
	s_and_b64 vcc, exec, s[2:3]
	s_cbranch_vccnz .LBB116_2
; %bb.1:
	s_load_dword s22, s[22:23], 0x0
.LBB116_2:
	s_andn2_b64 vcc, exec, s[0:1]
	s_cbranch_vccnz .LBB116_4
; %bb.3:
	s_load_dword s16, s[16:17], 0x0
.LBB116_4:
	s_waitcnt lgkmcnt(0)
	v_cmp_neq_f32_e64 s[0:1], s22, 0
	v_cmp_neq_f32_e64 s[2:3], s16, 1.0
	s_or_b64 s[0:1], s[0:1], s[2:3]
	s_andn2_b64 vcc, exec, s[0:1]
	s_mov_b32 s19, 0
	s_cbranch_vccnz .LBB116_18
; %bb.5:
	s_load_dword s18, s[4:5], 0x18
	s_load_dwordx4 s[0:3], s[4:5], 0x8
	s_mov_b32 s9, s19
	s_waitcnt lgkmcnt(0)
	s_lshl_b64 s[10:11], s[18:19], 2
	s_add_u32 s10, s2, s10
	s_addc_u32 s11, s3, s11
	s_add_i32 s8, s18, 1
	s_lshl_b64 s[8:9], s[8:9], 2
	s_add_u32 s2, s2, s8
	s_addc_u32 s3, s3, s9
	s_load_dword s17, s[10:11], 0x0
	s_load_dword s7, s[2:3], 0x0
	s_lshl_b32 s19, s6, 8
	s_add_i32 s3, s19, 0x100
	s_waitcnt lgkmcnt(0)
	s_sub_i32 s2, s7, s17
	s_min_u32 s21, s2, s3
	s_cmp_gt_u32 s18, 23
	s_cbranch_scc1 .LBB116_12
; %bb.6:
	s_load_dwordx8 s[8:15], s[4:5], 0x28
	v_bfe_u32 v1, v0, 0, s18
	s_lshl_b32 s23, 0x100, s18
	v_subrev_u32_e32 v6, s20, v1
	s_mov_b32 s24, 0
	v_lshl_add_u32 v7, v0, 2, 0
	v_mov_b32_e32 v3, 0
	s_branch .LBB116_9
.LBB116_7:                              ;   in Loop: Header=BB116_9 Depth=1
	s_or_b64 exec, exec, s[6:7]
	ds_write_b32 v7, v2
.LBB116_8:                              ;   in Loop: Header=BB116_9 Depth=1
	s_or_b64 exec, exec, s[2:3]
	s_addk_i32 s24, 0x100
	s_cmp_ge_u32 s24, s23
	v_add_u32_e32 v7, 0x400, v7
	s_cbranch_scc1 .LBB116_12
.LBB116_9:                              ; =>This Inner Loop Header: Depth=1
	v_add_u32_e32 v2, s24, v0
	v_lshrrev_b32_e32 v2, s18, v2
	v_add_u32_e32 v2, s19, v2
	v_cmp_gt_u32_e32 vcc, s21, v2
	s_and_saveexec_b64 s[2:3], vcc
	s_cbranch_execz .LBB116_8
; %bb.10:                               ;   in Loop: Header=BB116_9 Depth=1
	v_add_u32_e32 v2, s17, v2
	v_lshlrev_b64 v[4:5], 2, v[2:3]
	v_mov_b32_e32 v2, s1
	v_add_co_u32_e32 v4, vcc, s0, v4
	v_addc_co_u32_e32 v5, vcc, v2, v5, vcc
	global_load_dword v4, v[4:5], off
	s_waitcnt lgkmcnt(0)
	v_mov_b32_e32 v2, s9
	s_waitcnt vmcnt(0)
	v_ashrrev_i32_e32 v5, 31, v4
	v_lshlrev_b64 v[4:5], 2, v[4:5]
	v_add_co_u32_e32 v4, vcc, s8, v4
	v_addc_co_u32_e32 v5, vcc, v2, v5, vcc
	global_load_dwordx2 v[4:5], v[4:5], off
	s_waitcnt vmcnt(0)
	v_sub_u32_e32 v2, v5, v4
	v_cmp_lt_u32_e32 vcc, v1, v2
	v_mov_b32_e32 v2, 0
	s_and_saveexec_b64 s[6:7], vcc
	s_cbranch_execz .LBB116_7
; %bb.11:                               ;   in Loop: Header=BB116_9 Depth=1
	v_add_u32_e32 v2, v6, v4
	v_lshlrev_b64 v[4:5], 2, v[2:3]
	v_mov_b32_e32 v8, s11
	v_add_co_u32_e32 v4, vcc, s10, v4
	v_addc_co_u32_e32 v5, vcc, v8, v5, vcc
	global_load_dword v8, v[4:5], off
	v_lshlrev_b64 v[4:5], 1, v[2:3]
	v_mov_b32_e32 v9, s13
	v_add_co_u32_e32 v4, vcc, s12, v4
	v_addc_co_u32_e32 v5, vcc, v9, v5, vcc
	global_load_ushort v2, v[4:5], off
	v_mov_b32_e32 v10, s15
	s_waitcnt vmcnt(1)
	v_subrev_u32_e32 v4, s20, v8
	v_ashrrev_i32_e32 v5, 31, v4
	v_lshlrev_b64 v[4:5], 1, v[4:5]
	v_add_co_u32_e32 v4, vcc, s14, v4
	v_addc_co_u32_e32 v5, vcc, v10, v5, vcc
	global_load_ushort v4, v[4:5], off
	s_waitcnt vmcnt(1)
	v_cvt_f32_f16_e32 v2, v2
	v_mul_f32_e32 v2, s22, v2
	s_waitcnt vmcnt(0)
	v_cvt_f32_f16_e32 v4, v4
	v_mul_f32_e32 v2, v2, v4
	s_branch .LBB116_7
.LBB116_12:
	s_sub_i32 s2, s21, s19
	v_cmp_gt_u32_e32 vcc, s2, v0
	s_waitcnt lgkmcnt(0)
	s_barrier
	s_and_saveexec_b64 s[2:3], vcc
	s_cbranch_execz .LBB116_18
; %bb.13:
	s_add_i32 s17, s17, s19
	v_add_u32_e32 v2, s17, v0
	v_mov_b32_e32 v3, 0
	v_lshlrev_b64 v[4:5], 2, v[2:3]
	v_mov_b32_e32 v1, s1
	v_add_co_u32_e32 v4, vcc, s0, v4
	v_addc_co_u32_e32 v5, vcc, v1, v5, vcc
	global_load_dword v4, v[4:5], off
	s_load_dwordx2 s[0:1], s[4:5], 0x50
	v_lshlrev_b32_e32 v0, s18, v0
	v_lshl_add_u32 v0, v0, 2, 0
	s_mov_b32 s2, 1
.LBB116_14:                             ; =>This Inner Loop Header: Depth=1
	ds_read_b32 v1, v0
	s_lshr_b32 s3, s2, s18
	s_add_i32 s2, s2, 1
	v_add_u32_e32 v0, 4, v0
	s_cmp_lg_u32 s3, 0
	s_waitcnt lgkmcnt(0)
	v_add_f32_e32 v3, v3, v1
	s_cbranch_scc0 .LBB116_14
; %bb.15:
	v_cmp_neq_f32_e64 s[2:3], s16, 0
	s_waitcnt vmcnt(0)
	v_ashrrev_i32_e32 v5, 31, v4
	s_and_b64 vcc, exec, s[2:3]
	v_lshlrev_b64 v[0:1], 2, v[4:5]
	s_cbranch_vccz .LBB116_17
; %bb.16:
	v_mov_b32_e32 v2, s1
	v_add_co_u32_e32 v4, vcc, s0, v0
	v_addc_co_u32_e32 v5, vcc, v2, v1, vcc
	global_load_dword v2, v[4:5], off
	s_waitcnt vmcnt(0)
	v_fmac_f32_e32 v3, s16, v2
.LBB116_17:
	v_mov_b32_e32 v2, s1
	v_add_co_u32_e32 v0, vcc, s0, v0
	v_addc_co_u32_e32 v1, vcc, v2, v1, vcc
	global_store_dword v[0:1], v3, off
.LBB116_18:
	s_endpgm
	.section	.rodata,"a",@progbits
	.p2align	6, 0x0
	.amdhsa_kernel _ZN9rocsparseL28csrmvn_lrb_short_rows_kernelIiiDF16_DF16_ffEEvbT_PT0_S3_jNS_24const_host_device_scalarIT4_EEPKS1_PKS2_PKT1_PKT2_S6_PT3_21rocsparse_index_base_b
		.amdhsa_group_segment_fixed_size 0
		.amdhsa_private_segment_fixed_size 0
		.amdhsa_kernarg_size 96
		.amdhsa_user_sgpr_count 6
		.amdhsa_user_sgpr_private_segment_buffer 1
		.amdhsa_user_sgpr_dispatch_ptr 0
		.amdhsa_user_sgpr_queue_ptr 0
		.amdhsa_user_sgpr_kernarg_segment_ptr 1
		.amdhsa_user_sgpr_dispatch_id 0
		.amdhsa_user_sgpr_flat_scratch_init 0
		.amdhsa_user_sgpr_kernarg_preload_length 0
		.amdhsa_user_sgpr_kernarg_preload_offset 0
		.amdhsa_user_sgpr_private_segment_size 0
		.amdhsa_uses_dynamic_stack 0
		.amdhsa_system_sgpr_private_segment_wavefront_offset 0
		.amdhsa_system_sgpr_workgroup_id_x 1
		.amdhsa_system_sgpr_workgroup_id_y 0
		.amdhsa_system_sgpr_workgroup_id_z 0
		.amdhsa_system_sgpr_workgroup_info 0
		.amdhsa_system_vgpr_workitem_id 0
		.amdhsa_next_free_vgpr 11
		.amdhsa_next_free_sgpr 25
		.amdhsa_accum_offset 12
		.amdhsa_reserve_vcc 1
		.amdhsa_reserve_flat_scratch 0
		.amdhsa_float_round_mode_32 0
		.amdhsa_float_round_mode_16_64 0
		.amdhsa_float_denorm_mode_32 3
		.amdhsa_float_denorm_mode_16_64 3
		.amdhsa_dx10_clamp 1
		.amdhsa_ieee_mode 1
		.amdhsa_fp16_overflow 0
		.amdhsa_tg_split 0
		.amdhsa_exception_fp_ieee_invalid_op 0
		.amdhsa_exception_fp_denorm_src 0
		.amdhsa_exception_fp_ieee_div_zero 0
		.amdhsa_exception_fp_ieee_overflow 0
		.amdhsa_exception_fp_ieee_underflow 0
		.amdhsa_exception_fp_ieee_inexact 0
		.amdhsa_exception_int_div_zero 0
	.end_amdhsa_kernel
	.section	.text._ZN9rocsparseL28csrmvn_lrb_short_rows_kernelIiiDF16_DF16_ffEEvbT_PT0_S3_jNS_24const_host_device_scalarIT4_EEPKS1_PKS2_PKT1_PKT2_S6_PT3_21rocsparse_index_base_b,"axG",@progbits,_ZN9rocsparseL28csrmvn_lrb_short_rows_kernelIiiDF16_DF16_ffEEvbT_PT0_S3_jNS_24const_host_device_scalarIT4_EEPKS1_PKS2_PKT1_PKT2_S6_PT3_21rocsparse_index_base_b,comdat
.Lfunc_end116:
	.size	_ZN9rocsparseL28csrmvn_lrb_short_rows_kernelIiiDF16_DF16_ffEEvbT_PT0_S3_jNS_24const_host_device_scalarIT4_EEPKS1_PKS2_PKT1_PKT2_S6_PT3_21rocsparse_index_base_b, .Lfunc_end116-_ZN9rocsparseL28csrmvn_lrb_short_rows_kernelIiiDF16_DF16_ffEEvbT_PT0_S3_jNS_24const_host_device_scalarIT4_EEPKS1_PKS2_PKT1_PKT2_S6_PT3_21rocsparse_index_base_b
                                        ; -- End function
	.section	.AMDGPU.csdata,"",@progbits
; Kernel info:
; codeLenInByte = 748
; NumSgprs: 29
; NumVgprs: 11
; NumAgprs: 0
; TotalNumVgprs: 11
; ScratchSize: 0
; MemoryBound: 0
; FloatMode: 240
; IeeeMode: 1
; LDSByteSize: 0 bytes/workgroup (compile time only)
; SGPRBlocks: 3
; VGPRBlocks: 1
; NumSGPRsForWavesPerEU: 29
; NumVGPRsForWavesPerEU: 11
; AccumOffset: 12
; Occupancy: 8
; WaveLimiterHint : 1
; COMPUTE_PGM_RSRC2:SCRATCH_EN: 0
; COMPUTE_PGM_RSRC2:USER_SGPR: 6
; COMPUTE_PGM_RSRC2:TRAP_HANDLER: 0
; COMPUTE_PGM_RSRC2:TGID_X_EN: 1
; COMPUTE_PGM_RSRC2:TGID_Y_EN: 0
; COMPUTE_PGM_RSRC2:TGID_Z_EN: 0
; COMPUTE_PGM_RSRC2:TIDIG_COMP_CNT: 0
; COMPUTE_PGM_RSRC3_GFX90A:ACCUM_OFFSET: 2
; COMPUTE_PGM_RSRC3_GFX90A:TG_SPLIT: 0
	.section	.text._ZN9rocsparseL30csrmvn_lrb_short_rows_2_kernelIiiDF16_DF16_ffEEvbT_PT0_S3_jNS_24const_host_device_scalarIT4_EEPKS1_PKS2_PKT1_PKT2_S6_PT3_21rocsparse_index_base_b,"axG",@progbits,_ZN9rocsparseL30csrmvn_lrb_short_rows_2_kernelIiiDF16_DF16_ffEEvbT_PT0_S3_jNS_24const_host_device_scalarIT4_EEPKS1_PKS2_PKT1_PKT2_S6_PT3_21rocsparse_index_base_b,comdat
	.globl	_ZN9rocsparseL30csrmvn_lrb_short_rows_2_kernelIiiDF16_DF16_ffEEvbT_PT0_S3_jNS_24const_host_device_scalarIT4_EEPKS1_PKS2_PKT1_PKT2_S6_PT3_21rocsparse_index_base_b ; -- Begin function _ZN9rocsparseL30csrmvn_lrb_short_rows_2_kernelIiiDF16_DF16_ffEEvbT_PT0_S3_jNS_24const_host_device_scalarIT4_EEPKS1_PKS2_PKT1_PKT2_S6_PT3_21rocsparse_index_base_b
	.p2align	8
	.type	_ZN9rocsparseL30csrmvn_lrb_short_rows_2_kernelIiiDF16_DF16_ffEEvbT_PT0_S3_jNS_24const_host_device_scalarIT4_EEPKS1_PKS2_PKT1_PKT2_S6_PT3_21rocsparse_index_base_b,@function
_ZN9rocsparseL30csrmvn_lrb_short_rows_2_kernelIiiDF16_DF16_ffEEvbT_PT0_S3_jNS_24const_host_device_scalarIT4_EEPKS1_PKS2_PKT1_PKT2_S6_PT3_21rocsparse_index_base_b: ; @_ZN9rocsparseL30csrmvn_lrb_short_rows_2_kernelIiiDF16_DF16_ffEEvbT_PT0_S3_jNS_24const_host_device_scalarIT4_EEPKS1_PKS2_PKT1_PKT2_S6_PT3_21rocsparse_index_base_b
; %bb.0:
	s_load_dwordx2 s[22:23], s[4:5], 0x58
	s_load_dwordx2 s[20:21], s[4:5], 0x20
	s_load_dwordx2 s[16:17], s[4:5], 0x48
	s_waitcnt lgkmcnt(0)
	s_bitcmp1_b32 s23, 0
	s_cselect_b64 s[2:3], -1, 0
	s_xor_b64 s[0:1], s[2:3], -1
	s_and_b64 vcc, exec, s[2:3]
	s_cbranch_vccnz .LBB117_2
; %bb.1:
	s_load_dword s20, s[20:21], 0x0
.LBB117_2:
	s_andn2_b64 vcc, exec, s[0:1]
	s_cbranch_vccnz .LBB117_4
; %bb.3:
	s_load_dword s16, s[16:17], 0x0
.LBB117_4:
	s_waitcnt lgkmcnt(0)
	v_cmp_neq_f32_e64 s[0:1], s20, 0
	v_cmp_neq_f32_e64 s[2:3], s16, 1.0
	s_or_b64 s[0:1], s[0:1], s[2:3]
	s_andn2_b64 vcc, exec, s[0:1]
	s_mov_b32 s19, 0
	s_cbranch_vccnz .LBB117_30
; %bb.5:
	s_load_dword s18, s[4:5], 0x18
	s_load_dwordx4 s[0:3], s[4:5], 0x8
	s_mov_b32 s9, s19
	s_waitcnt lgkmcnt(0)
	s_lshl_b64 s[10:11], s[18:19], 2
	s_add_u32 s24, s2, s10
	s_addc_u32 s25, s3, s11
	s_add_i32 s8, s18, 1
	s_lshl_b64 s[8:9], s[8:9], 2
	s_add_u32 s26, s2, s8
	s_addc_u32 s27, s3, s9
	s_load_dword s19, s[24:25], 0x0
	s_load_dword s7, s[26:27], 0x0
	s_load_dwordx2 s[2:3], s[4:5], 0x50
	s_load_dwordx8 s[8:15], s[4:5], 0x28
	s_lshr_b32 s17, 0x400, s18
	s_mul_i32 s21, s17, s6
	s_waitcnt lgkmcnt(0)
	s_sub_i32 s4, s7, s19
	s_add_i32 s5, s21, s17
	v_lshrrev_b32_e32 v2, s18, v0
	s_min_u32 s23, s4, s5
	v_bfe_u32 v6, v0, 0, s18
	v_add_u32_e32 v2, s21, v2
	v_subrev_u32_e32 v1, s22, v6
	v_cmp_gt_u32_e32 vcc, s23, v2
	s_and_saveexec_b64 s[4:5], vcc
	s_cbranch_execz .LBB117_9
; %bb.6:
	v_add_u32_e32 v2, s19, v2
	v_mov_b32_e32 v3, 0
	v_lshlrev_b64 v[4:5], 2, v[2:3]
	v_mov_b32_e32 v2, s1
	v_add_co_u32_e32 v4, vcc, s0, v4
	v_addc_co_u32_e32 v5, vcc, v2, v5, vcc
	global_load_dword v4, v[4:5], off
	v_mov_b32_e32 v2, s9
	s_waitcnt vmcnt(0)
	v_ashrrev_i32_e32 v5, 31, v4
	v_lshlrev_b64 v[4:5], 2, v[4:5]
	v_add_co_u32_e32 v4, vcc, s8, v4
	v_addc_co_u32_e32 v5, vcc, v2, v5, vcc
	global_load_dwordx2 v[4:5], v[4:5], off
	s_waitcnt vmcnt(0)
	v_sub_u32_e32 v2, v5, v4
	v_cmp_lt_u32_e32 vcc, v6, v2
	s_and_saveexec_b64 s[6:7], vcc
	s_cbranch_execz .LBB117_8
; %bb.7:
	v_add_u32_e32 v2, v4, v1
	v_mov_b32_e32 v3, 0
	v_lshlrev_b64 v[4:5], 2, v[2:3]
	v_mov_b32_e32 v7, s11
	v_add_co_u32_e32 v4, vcc, s10, v4
	v_addc_co_u32_e32 v5, vcc, v7, v5, vcc
	global_load_dword v4, v[4:5], off
	v_lshlrev_b64 v[2:3], 1, v[2:3]
	v_mov_b32_e32 v5, s13
	v_add_co_u32_e32 v2, vcc, s12, v2
	v_addc_co_u32_e32 v3, vcc, v5, v3, vcc
	global_load_ushort v5, v[2:3], off
	v_mov_b32_e32 v7, s15
	s_waitcnt vmcnt(1)
	v_subrev_u32_e32 v2, s22, v4
	v_ashrrev_i32_e32 v3, 31, v2
	v_lshlrev_b64 v[2:3], 1, v[2:3]
	v_add_co_u32_e32 v2, vcc, s14, v2
	v_addc_co_u32_e32 v3, vcc, v7, v3, vcc
	global_load_ushort v2, v[2:3], off
	s_waitcnt vmcnt(1)
	v_cvt_f32_f16_e32 v3, v5
	v_mul_f32_e32 v3, s20, v3
	s_waitcnt vmcnt(0)
	v_cvt_f32_f16_e32 v2, v2
	v_mul_f32_e32 v3, v3, v2
.LBB117_8:
	s_or_b64 exec, exec, s[6:7]
	v_lshlrev_b32_e32 v2, 2, v0
	ds_write_b32 v2, v3
.LBB117_9:
	s_or_b64 exec, exec, s[4:5]
	v_or_b32_e32 v2, 0x100, v0
	v_lshrrev_b32_e32 v2, s18, v2
	v_add_u32_e32 v2, s21, v2
	v_cmp_gt_u32_e32 vcc, s23, v2
	s_and_saveexec_b64 s[4:5], vcc
	s_cbranch_execz .LBB117_13
; %bb.10:
	v_add_u32_e32 v2, s19, v2
	v_mov_b32_e32 v3, 0
	v_lshlrev_b64 v[4:5], 2, v[2:3]
	v_mov_b32_e32 v2, s1
	v_add_co_u32_e32 v4, vcc, s0, v4
	v_addc_co_u32_e32 v5, vcc, v2, v5, vcc
	global_load_dword v4, v[4:5], off
	v_mov_b32_e32 v2, s9
	s_waitcnt vmcnt(0)
	v_ashrrev_i32_e32 v5, 31, v4
	v_lshlrev_b64 v[4:5], 2, v[4:5]
	v_add_co_u32_e32 v4, vcc, s8, v4
	v_addc_co_u32_e32 v5, vcc, v2, v5, vcc
	global_load_dwordx2 v[4:5], v[4:5], off
	s_waitcnt vmcnt(0)
	v_sub_u32_e32 v2, v5, v4
	v_cmp_lt_u32_e32 vcc, v6, v2
	s_and_saveexec_b64 s[6:7], vcc
	s_cbranch_execz .LBB117_12
; %bb.11:
	v_add_u32_e32 v2, v4, v1
	v_mov_b32_e32 v3, 0
	v_lshlrev_b64 v[4:5], 2, v[2:3]
	v_mov_b32_e32 v7, s11
	v_add_co_u32_e32 v4, vcc, s10, v4
	v_addc_co_u32_e32 v5, vcc, v7, v5, vcc
	global_load_dword v4, v[4:5], off
	v_lshlrev_b64 v[2:3], 1, v[2:3]
	v_mov_b32_e32 v5, s13
	v_add_co_u32_e32 v2, vcc, s12, v2
	v_addc_co_u32_e32 v3, vcc, v5, v3, vcc
	global_load_ushort v5, v[2:3], off
	v_mov_b32_e32 v7, s15
	s_waitcnt vmcnt(1)
	v_subrev_u32_e32 v2, s22, v4
	v_ashrrev_i32_e32 v3, 31, v2
	v_lshlrev_b64 v[2:3], 1, v[2:3]
	v_add_co_u32_e32 v2, vcc, s14, v2
	v_addc_co_u32_e32 v3, vcc, v7, v3, vcc
	global_load_ushort v2, v[2:3], off
	s_waitcnt vmcnt(1)
	v_cvt_f32_f16_e32 v3, v5
	v_mul_f32_e32 v3, s20, v3
	s_waitcnt vmcnt(0)
	v_cvt_f32_f16_e32 v2, v2
	v_mul_f32_e32 v3, v3, v2
.LBB117_12:
	s_or_b64 exec, exec, s[6:7]
	v_lshlrev_b32_e32 v2, 2, v0
	ds_write_b32 v2, v3 offset:1024
.LBB117_13:
	s_or_b64 exec, exec, s[4:5]
	v_or_b32_e32 v2, 0x200, v0
	v_lshrrev_b32_e32 v2, s18, v2
	v_add_u32_e32 v2, s21, v2
	v_cmp_gt_u32_e32 vcc, s23, v2
	s_and_saveexec_b64 s[4:5], vcc
	s_cbranch_execz .LBB117_17
; %bb.14:
	v_add_u32_e32 v2, s19, v2
	v_mov_b32_e32 v3, 0
	v_lshlrev_b64 v[4:5], 2, v[2:3]
	v_mov_b32_e32 v2, s1
	v_add_co_u32_e32 v4, vcc, s0, v4
	v_addc_co_u32_e32 v5, vcc, v2, v5, vcc
	global_load_dword v4, v[4:5], off
	v_mov_b32_e32 v2, s9
	s_waitcnt vmcnt(0)
	v_ashrrev_i32_e32 v5, 31, v4
	v_lshlrev_b64 v[4:5], 2, v[4:5]
	v_add_co_u32_e32 v4, vcc, s8, v4
	v_addc_co_u32_e32 v5, vcc, v2, v5, vcc
	global_load_dwordx2 v[4:5], v[4:5], off
	s_waitcnt vmcnt(0)
	v_sub_u32_e32 v2, v5, v4
	v_cmp_lt_u32_e32 vcc, v6, v2
	s_and_saveexec_b64 s[6:7], vcc
	s_cbranch_execz .LBB117_16
; %bb.15:
	v_add_u32_e32 v2, v4, v1
	v_mov_b32_e32 v3, 0
	v_lshlrev_b64 v[4:5], 2, v[2:3]
	v_mov_b32_e32 v7, s11
	v_add_co_u32_e32 v4, vcc, s10, v4
	v_addc_co_u32_e32 v5, vcc, v7, v5, vcc
	global_load_dword v4, v[4:5], off
	v_lshlrev_b64 v[2:3], 1, v[2:3]
	v_mov_b32_e32 v5, s13
	v_add_co_u32_e32 v2, vcc, s12, v2
	v_addc_co_u32_e32 v3, vcc, v5, v3, vcc
	global_load_ushort v5, v[2:3], off
	v_mov_b32_e32 v7, s15
	s_waitcnt vmcnt(1)
	v_subrev_u32_e32 v2, s22, v4
	v_ashrrev_i32_e32 v3, 31, v2
	v_lshlrev_b64 v[2:3], 1, v[2:3]
	v_add_co_u32_e32 v2, vcc, s14, v2
	v_addc_co_u32_e32 v3, vcc, v7, v3, vcc
	global_load_ushort v2, v[2:3], off
	s_waitcnt vmcnt(1)
	v_cvt_f32_f16_e32 v3, v5
	v_mul_f32_e32 v3, s20, v3
	s_waitcnt vmcnt(0)
	v_cvt_f32_f16_e32 v2, v2
	v_mul_f32_e32 v3, v3, v2
.LBB117_16:
	s_or_b64 exec, exec, s[6:7]
	v_lshlrev_b32_e32 v2, 2, v0
	ds_write_b32 v2, v3 offset:2048
.LBB117_17:
	;; [unrolled: 59-line block ×3, first 2 shown]
	s_or_b64 exec, exec, s[4:5]
	s_cmp_lt_u32 s18, 11
	s_waitcnt lgkmcnt(0)
	s_barrier
	s_cbranch_scc0 .LBB117_30
; %bb.22:
	s_sub_i32 s8, s23, s21
	s_add_i32 s19, s19, s21
	s_mov_b32 s9, 0
	v_cmp_neq_f32_e64 s[4:5], s16, 0
	v_mov_b32_e32 v3, 0
	s_branch .LBB117_25
.LBB117_23:                             ;   in Loop: Header=BB117_25 Depth=1
	v_mov_b32_e32 v2, s3
	v_add_co_u32_e32 v4, vcc, s2, v4
	v_addc_co_u32_e32 v5, vcc, v2, v5, vcc
	global_store_dword v[4:5], v1, off
.LBB117_24:                             ;   in Loop: Header=BB117_25 Depth=1
	s_or_b64 exec, exec, s[6:7]
	s_addk_i32 s9, 0x100
	s_cmp_lt_u32 s9, s17
	s_cbranch_scc0 .LBB117_30
.LBB117_25:                             ; =>This Loop Header: Depth=1
                                        ;     Child Loop BB117_27 Depth 2
	v_add_u32_e32 v1, s9, v0
	v_cmp_gt_u32_e32 vcc, s8, v1
	s_and_saveexec_b64 s[6:7], vcc
	s_cbranch_execz .LBB117_24
; %bb.26:                               ;   in Loop: Header=BB117_25 Depth=1
	v_add_u32_e32 v2, s19, v1
	v_lshlrev_b64 v[4:5], 2, v[2:3]
	v_mov_b32_e32 v2, s1
	v_add_co_u32_e32 v4, vcc, s0, v4
	v_addc_co_u32_e32 v5, vcc, v2, v5, vcc
	global_load_dword v4, v[4:5], off
	v_lshlrev_b32_e32 v1, s18, v1
	v_lshlrev_b32_e32 v2, 2, v1
	s_mov_b32 s10, 1
	v_mov_b32_e32 v1, 0
.LBB117_27:                             ;   Parent Loop BB117_25 Depth=1
                                        ; =>  This Inner Loop Header: Depth=2
	ds_read_b32 v5, v2
	s_lshr_b32 s11, s10, s18
	s_add_i32 s10, s10, 1
	v_add_u32_e32 v2, 4, v2
	s_cmp_lg_u32 s11, 0
	s_waitcnt lgkmcnt(0)
	v_add_f32_e32 v1, v1, v5
	s_cbranch_scc0 .LBB117_27
; %bb.28:                               ;   in Loop: Header=BB117_25 Depth=1
	s_waitcnt vmcnt(0)
	v_ashrrev_i32_e32 v5, 31, v4
	s_and_b64 vcc, exec, s[4:5]
	v_lshlrev_b64 v[4:5], 2, v[4:5]
	s_cbranch_vccz .LBB117_23
; %bb.29:                               ;   in Loop: Header=BB117_25 Depth=1
	v_mov_b32_e32 v2, s3
	v_add_co_u32_e32 v6, vcc, s2, v4
	v_addc_co_u32_e32 v7, vcc, v2, v5, vcc
	global_load_dword v2, v[6:7], off
	s_waitcnt vmcnt(0)
	v_fmac_f32_e32 v1, s16, v2
	s_branch .LBB117_23
.LBB117_30:
	s_endpgm
	.section	.rodata,"a",@progbits
	.p2align	6, 0x0
	.amdhsa_kernel _ZN9rocsparseL30csrmvn_lrb_short_rows_2_kernelIiiDF16_DF16_ffEEvbT_PT0_S3_jNS_24const_host_device_scalarIT4_EEPKS1_PKS2_PKT1_PKT2_S6_PT3_21rocsparse_index_base_b
		.amdhsa_group_segment_fixed_size 4096
		.amdhsa_private_segment_fixed_size 0
		.amdhsa_kernarg_size 96
		.amdhsa_user_sgpr_count 6
		.amdhsa_user_sgpr_private_segment_buffer 1
		.amdhsa_user_sgpr_dispatch_ptr 0
		.amdhsa_user_sgpr_queue_ptr 0
		.amdhsa_user_sgpr_kernarg_segment_ptr 1
		.amdhsa_user_sgpr_dispatch_id 0
		.amdhsa_user_sgpr_flat_scratch_init 0
		.amdhsa_user_sgpr_kernarg_preload_length 0
		.amdhsa_user_sgpr_kernarg_preload_offset 0
		.amdhsa_user_sgpr_private_segment_size 0
		.amdhsa_uses_dynamic_stack 0
		.amdhsa_system_sgpr_private_segment_wavefront_offset 0
		.amdhsa_system_sgpr_workgroup_id_x 1
		.amdhsa_system_sgpr_workgroup_id_y 0
		.amdhsa_system_sgpr_workgroup_id_z 0
		.amdhsa_system_sgpr_workgroup_info 0
		.amdhsa_system_vgpr_workitem_id 0
		.amdhsa_next_free_vgpr 8
		.amdhsa_next_free_sgpr 28
		.amdhsa_accum_offset 8
		.amdhsa_reserve_vcc 1
		.amdhsa_reserve_flat_scratch 0
		.amdhsa_float_round_mode_32 0
		.amdhsa_float_round_mode_16_64 0
		.amdhsa_float_denorm_mode_32 3
		.amdhsa_float_denorm_mode_16_64 3
		.amdhsa_dx10_clamp 1
		.amdhsa_ieee_mode 1
		.amdhsa_fp16_overflow 0
		.amdhsa_tg_split 0
		.amdhsa_exception_fp_ieee_invalid_op 0
		.amdhsa_exception_fp_denorm_src 0
		.amdhsa_exception_fp_ieee_div_zero 0
		.amdhsa_exception_fp_ieee_overflow 0
		.amdhsa_exception_fp_ieee_underflow 0
		.amdhsa_exception_fp_ieee_inexact 0
		.amdhsa_exception_int_div_zero 0
	.end_amdhsa_kernel
	.section	.text._ZN9rocsparseL30csrmvn_lrb_short_rows_2_kernelIiiDF16_DF16_ffEEvbT_PT0_S3_jNS_24const_host_device_scalarIT4_EEPKS1_PKS2_PKT1_PKT2_S6_PT3_21rocsparse_index_base_b,"axG",@progbits,_ZN9rocsparseL30csrmvn_lrb_short_rows_2_kernelIiiDF16_DF16_ffEEvbT_PT0_S3_jNS_24const_host_device_scalarIT4_EEPKS1_PKS2_PKT1_PKT2_S6_PT3_21rocsparse_index_base_b,comdat
.Lfunc_end117:
	.size	_ZN9rocsparseL30csrmvn_lrb_short_rows_2_kernelIiiDF16_DF16_ffEEvbT_PT0_S3_jNS_24const_host_device_scalarIT4_EEPKS1_PKS2_PKT1_PKT2_S6_PT3_21rocsparse_index_base_b, .Lfunc_end117-_ZN9rocsparseL30csrmvn_lrb_short_rows_2_kernelIiiDF16_DF16_ffEEvbT_PT0_S3_jNS_24const_host_device_scalarIT4_EEPKS1_PKS2_PKT1_PKT2_S6_PT3_21rocsparse_index_base_b
                                        ; -- End function
	.section	.AMDGPU.csdata,"",@progbits
; Kernel info:
; codeLenInByte = 1536
; NumSgprs: 32
; NumVgprs: 8
; NumAgprs: 0
; TotalNumVgprs: 8
; ScratchSize: 0
; MemoryBound: 0
; FloatMode: 240
; IeeeMode: 1
; LDSByteSize: 4096 bytes/workgroup (compile time only)
; SGPRBlocks: 3
; VGPRBlocks: 0
; NumSGPRsForWavesPerEU: 32
; NumVGPRsForWavesPerEU: 8
; AccumOffset: 8
; Occupancy: 8
; WaveLimiterHint : 1
; COMPUTE_PGM_RSRC2:SCRATCH_EN: 0
; COMPUTE_PGM_RSRC2:USER_SGPR: 6
; COMPUTE_PGM_RSRC2:TRAP_HANDLER: 0
; COMPUTE_PGM_RSRC2:TGID_X_EN: 1
; COMPUTE_PGM_RSRC2:TGID_Y_EN: 0
; COMPUTE_PGM_RSRC2:TGID_Z_EN: 0
; COMPUTE_PGM_RSRC2:TIDIG_COMP_CNT: 0
; COMPUTE_PGM_RSRC3_GFX90A:ACCUM_OFFSET: 1
; COMPUTE_PGM_RSRC3_GFX90A:TG_SPLIT: 0
	.section	.text._ZN9rocsparseL41csrmvn_lrb_medium_rows_warp_reduce_kernelILj256ELj32EiiDF16_DF16_ffEEvbT1_lPT2_S3_jNS_24const_host_device_scalarIT6_EEPKS1_PKS2_PKT3_PKT4_S6_PT5_21rocsparse_index_base_b,"axG",@progbits,_ZN9rocsparseL41csrmvn_lrb_medium_rows_warp_reduce_kernelILj256ELj32EiiDF16_DF16_ffEEvbT1_lPT2_S3_jNS_24const_host_device_scalarIT6_EEPKS1_PKS2_PKT3_PKT4_S6_PT5_21rocsparse_index_base_b,comdat
	.globl	_ZN9rocsparseL41csrmvn_lrb_medium_rows_warp_reduce_kernelILj256ELj32EiiDF16_DF16_ffEEvbT1_lPT2_S3_jNS_24const_host_device_scalarIT6_EEPKS1_PKS2_PKT3_PKT4_S6_PT5_21rocsparse_index_base_b ; -- Begin function _ZN9rocsparseL41csrmvn_lrb_medium_rows_warp_reduce_kernelILj256ELj32EiiDF16_DF16_ffEEvbT1_lPT2_S3_jNS_24const_host_device_scalarIT6_EEPKS1_PKS2_PKT3_PKT4_S6_PT5_21rocsparse_index_base_b
	.p2align	8
	.type	_ZN9rocsparseL41csrmvn_lrb_medium_rows_warp_reduce_kernelILj256ELj32EiiDF16_DF16_ffEEvbT1_lPT2_S3_jNS_24const_host_device_scalarIT6_EEPKS1_PKS2_PKT3_PKT4_S6_PT5_21rocsparse_index_base_b,@function
_ZN9rocsparseL41csrmvn_lrb_medium_rows_warp_reduce_kernelILj256ELj32EiiDF16_DF16_ffEEvbT1_lPT2_S3_jNS_24const_host_device_scalarIT6_EEPKS1_PKS2_PKT3_PKT4_S6_PT5_21rocsparse_index_base_b: ; @_ZN9rocsparseL41csrmvn_lrb_medium_rows_warp_reduce_kernelILj256ELj32EiiDF16_DF16_ffEEvbT1_lPT2_S3_jNS_24const_host_device_scalarIT6_EEPKS1_PKS2_PKT3_PKT4_S6_PT5_21rocsparse_index_base_b
; %bb.0:
	s_load_dwordx2 s[10:11], s[4:5], 0x60
	s_load_dwordx2 s[12:13], s[4:5], 0x28
	;; [unrolled: 1-line block ×3, first 2 shown]
	s_waitcnt lgkmcnt(0)
	s_bitcmp1_b32 s11, 0
	s_cselect_b64 s[2:3], -1, 0
	s_xor_b64 s[0:1], s[2:3], -1
	s_and_b64 vcc, exec, s[2:3]
	s_cbranch_vccnz .LBB118_2
; %bb.1:
	s_load_dword s12, s[12:13], 0x0
.LBB118_2:
	s_andn2_b64 vcc, exec, s[0:1]
	s_cbranch_vccnz .LBB118_4
; %bb.3:
	s_load_dword s8, s[8:9], 0x0
.LBB118_4:
	s_waitcnt lgkmcnt(0)
	v_cmp_neq_f32_e64 s[0:1], s12, 0
	v_cmp_neq_f32_e64 s[2:3], s8, 1.0
	s_or_b64 s[0:1], s[0:1], s[2:3]
	s_andn2_b64 vcc, exec, s[0:1]
	s_cbranch_vccnz .LBB118_14
; %bb.5:
	s_load_dwordx2 s[0:1], s[4:5], 0x8
	v_lshrrev_b32_e32 v1, 5, v0
	v_lshl_or_b32 v2, s6, 3, v1
	v_ashrrev_i32_e32 v3, 31, v2
	s_waitcnt lgkmcnt(0)
	v_cmp_gt_i64_e32 vcc, s[0:1], v[2:3]
	s_and_saveexec_b64 s[0:1], vcc
	s_cbranch_execz .LBB118_14
; %bb.6:
	s_load_dword s6, s[4:5], 0x20
	s_load_dwordx4 s[0:3], s[4:5], 0x10
	s_mov_b32 s7, 0
	s_waitcnt lgkmcnt(0)
	s_lshl_b64 s[6:7], s[6:7], 2
	s_add_u32 s2, s2, s6
	s_addc_u32 s3, s3, s7
	s_load_dword s2, s[2:3], 0x0
	v_mov_b32_e32 v1, s1
	s_load_dwordx2 s[6:7], s[4:5], 0x58
	s_waitcnt lgkmcnt(0)
	v_add_u32_e32 v2, s2, v2
	v_ashrrev_i32_e32 v3, 31, v2
	v_lshlrev_b64 v[2:3], 2, v[2:3]
	v_add_co_u32_e32 v2, vcc, s0, v2
	v_addc_co_u32_e32 v3, vcc, v1, v3, vcc
	global_load_dword v2, v[2:3], off
	s_load_dwordx2 s[0:1], s[4:5], 0x30
	s_waitcnt lgkmcnt(0)
	v_mov_b32_e32 v1, s1
	s_waitcnt vmcnt(0)
	v_ashrrev_i32_e32 v3, 31, v2
	v_lshlrev_b64 v[2:3], 2, v[2:3]
	v_add_co_u32_e32 v4, vcc, s0, v2
	v_addc_co_u32_e32 v5, vcc, v1, v3, vcc
	global_load_dwordx2 v[6:7], v[4:5], off
	v_and_b32_e32 v4, 31, v0
	v_subrev_u32_e32 v0, s10, v4
	s_waitcnt vmcnt(0)
	v_subrev_u32_e32 v5, s10, v7
	v_add_u32_e32 v0, v6, v0
	v_cmp_lt_i32_e32 vcc, v0, v5
	v_mov_b32_e32 v6, 0
	s_and_saveexec_b64 s[14:15], vcc
	s_cbranch_execz .LBB118_10
; %bb.7:
	s_load_dwordx4 s[0:3], s[4:5], 0x38
	s_load_dwordx2 s[16:17], s[4:5], 0x48
	s_mov_b64 s[4:5], 0
	v_mov_b32_e32 v6, 0
	s_waitcnt lgkmcnt(0)
	v_mov_b32_e32 v7, s3
	v_mov_b32_e32 v8, s1
	v_mov_b32_e32 v9, s17
.LBB118_8:                              ; =>This Inner Loop Header: Depth=1
	v_ashrrev_i32_e32 v1, 31, v0
	v_lshlrev_b64 v[10:11], 2, v[0:1]
	v_add_co_u32_e32 v10, vcc, s0, v10
	v_addc_co_u32_e32 v11, vcc, v8, v11, vcc
	global_load_dword v12, v[10:11], off
	v_lshlrev_b64 v[10:11], 1, v[0:1]
	v_add_co_u32_e32 v10, vcc, s2, v10
	v_addc_co_u32_e32 v11, vcc, v7, v11, vcc
	global_load_ushort v1, v[10:11], off
	v_add_u32_e32 v0, 32, v0
	s_waitcnt vmcnt(1)
	v_subrev_u32_e32 v10, s10, v12
	v_ashrrev_i32_e32 v11, 31, v10
	v_lshlrev_b64 v[10:11], 1, v[10:11]
	v_add_co_u32_e32 v10, vcc, s16, v10
	v_addc_co_u32_e32 v11, vcc, v9, v11, vcc
	global_load_ushort v10, v[10:11], off
	s_waitcnt vmcnt(1)
	v_cvt_f32_f16_e32 v1, v1
	v_cmp_ge_i32_e32 vcc, v0, v5
	s_or_b64 s[4:5], vcc, s[4:5]
	v_mul_f32_e32 v1, s12, v1
	s_waitcnt vmcnt(0)
	v_fma_mix_f32 v6, v1, v10, v6 op_sel_hi:[0,1,0]
	s_andn2_b64 exec, exec, s[4:5]
	s_cbranch_execnz .LBB118_8
; %bb.9:
	s_or_b64 exec, exec, s[4:5]
.LBB118_10:
	s_or_b64 exec, exec, s[14:15]
	v_mov_b32_dpp v0, v6 row_shr:1 row_mask:0xf bank_mask:0xf
	v_add_f32_e32 v0, v6, v0
	v_cmp_eq_u32_e32 vcc, 31, v4
	s_nop 0
	v_mov_b32_dpp v1, v0 row_shr:2 row_mask:0xf bank_mask:0xf
	v_add_f32_e32 v0, v0, v1
	s_nop 1
	v_mov_b32_dpp v1, v0 row_shr:4 row_mask:0xf bank_mask:0xe
	v_add_f32_e32 v0, v0, v1
	;; [unrolled: 3-line block ×3, first 2 shown]
	s_nop 1
	v_mov_b32_dpp v1, v0 row_bcast:15 row_mask:0xa bank_mask:0xf
	s_and_b64 exec, exec, vcc
	s_cbranch_execz .LBB118_14
; %bb.11:
	v_cmp_eq_f32_e64 s[0:1], s8, 0
	v_add_f32_e32 v0, v0, v1
	s_and_b64 vcc, exec, s[0:1]
	s_cbranch_vccnz .LBB118_13
; %bb.12:
	v_mov_b32_e32 v1, s7
	v_add_co_u32_e32 v4, vcc, s6, v2
	v_addc_co_u32_e32 v5, vcc, v1, v3, vcc
	global_load_dword v1, v[4:5], off
	s_waitcnt vmcnt(0)
	v_fmac_f32_e32 v0, s8, v1
.LBB118_13:
	v_mov_b32_e32 v1, s7
	v_add_co_u32_e32 v2, vcc, s6, v2
	v_addc_co_u32_e32 v3, vcc, v1, v3, vcc
	global_store_dword v[2:3], v0, off
.LBB118_14:
	s_endpgm
	.section	.rodata,"a",@progbits
	.p2align	6, 0x0
	.amdhsa_kernel _ZN9rocsparseL41csrmvn_lrb_medium_rows_warp_reduce_kernelILj256ELj32EiiDF16_DF16_ffEEvbT1_lPT2_S3_jNS_24const_host_device_scalarIT6_EEPKS1_PKS2_PKT3_PKT4_S6_PT5_21rocsparse_index_base_b
		.amdhsa_group_segment_fixed_size 0
		.amdhsa_private_segment_fixed_size 0
		.amdhsa_kernarg_size 104
		.amdhsa_user_sgpr_count 6
		.amdhsa_user_sgpr_private_segment_buffer 1
		.amdhsa_user_sgpr_dispatch_ptr 0
		.amdhsa_user_sgpr_queue_ptr 0
		.amdhsa_user_sgpr_kernarg_segment_ptr 1
		.amdhsa_user_sgpr_dispatch_id 0
		.amdhsa_user_sgpr_flat_scratch_init 0
		.amdhsa_user_sgpr_kernarg_preload_length 0
		.amdhsa_user_sgpr_kernarg_preload_offset 0
		.amdhsa_user_sgpr_private_segment_size 0
		.amdhsa_uses_dynamic_stack 0
		.amdhsa_system_sgpr_private_segment_wavefront_offset 0
		.amdhsa_system_sgpr_workgroup_id_x 1
		.amdhsa_system_sgpr_workgroup_id_y 0
		.amdhsa_system_sgpr_workgroup_id_z 0
		.amdhsa_system_sgpr_workgroup_info 0
		.amdhsa_system_vgpr_workitem_id 0
		.amdhsa_next_free_vgpr 13
		.amdhsa_next_free_sgpr 18
		.amdhsa_accum_offset 16
		.amdhsa_reserve_vcc 1
		.amdhsa_reserve_flat_scratch 0
		.amdhsa_float_round_mode_32 0
		.amdhsa_float_round_mode_16_64 0
		.amdhsa_float_denorm_mode_32 3
		.amdhsa_float_denorm_mode_16_64 3
		.amdhsa_dx10_clamp 1
		.amdhsa_ieee_mode 1
		.amdhsa_fp16_overflow 0
		.amdhsa_tg_split 0
		.amdhsa_exception_fp_ieee_invalid_op 0
		.amdhsa_exception_fp_denorm_src 0
		.amdhsa_exception_fp_ieee_div_zero 0
		.amdhsa_exception_fp_ieee_overflow 0
		.amdhsa_exception_fp_ieee_underflow 0
		.amdhsa_exception_fp_ieee_inexact 0
		.amdhsa_exception_int_div_zero 0
	.end_amdhsa_kernel
	.section	.text._ZN9rocsparseL41csrmvn_lrb_medium_rows_warp_reduce_kernelILj256ELj32EiiDF16_DF16_ffEEvbT1_lPT2_S3_jNS_24const_host_device_scalarIT6_EEPKS1_PKS2_PKT3_PKT4_S6_PT5_21rocsparse_index_base_b,"axG",@progbits,_ZN9rocsparseL41csrmvn_lrb_medium_rows_warp_reduce_kernelILj256ELj32EiiDF16_DF16_ffEEvbT1_lPT2_S3_jNS_24const_host_device_scalarIT6_EEPKS1_PKS2_PKT3_PKT4_S6_PT5_21rocsparse_index_base_b,comdat
.Lfunc_end118:
	.size	_ZN9rocsparseL41csrmvn_lrb_medium_rows_warp_reduce_kernelILj256ELj32EiiDF16_DF16_ffEEvbT1_lPT2_S3_jNS_24const_host_device_scalarIT6_EEPKS1_PKS2_PKT3_PKT4_S6_PT5_21rocsparse_index_base_b, .Lfunc_end118-_ZN9rocsparseL41csrmvn_lrb_medium_rows_warp_reduce_kernelILj256ELj32EiiDF16_DF16_ffEEvbT1_lPT2_S3_jNS_24const_host_device_scalarIT6_EEPKS1_PKS2_PKT3_PKT4_S6_PT5_21rocsparse_index_base_b
                                        ; -- End function
	.section	.AMDGPU.csdata,"",@progbits
; Kernel info:
; codeLenInByte = 656
; NumSgprs: 22
; NumVgprs: 13
; NumAgprs: 0
; TotalNumVgprs: 13
; ScratchSize: 0
; MemoryBound: 0
; FloatMode: 240
; IeeeMode: 1
; LDSByteSize: 0 bytes/workgroup (compile time only)
; SGPRBlocks: 2
; VGPRBlocks: 1
; NumSGPRsForWavesPerEU: 22
; NumVGPRsForWavesPerEU: 13
; AccumOffset: 16
; Occupancy: 8
; WaveLimiterHint : 1
; COMPUTE_PGM_RSRC2:SCRATCH_EN: 0
; COMPUTE_PGM_RSRC2:USER_SGPR: 6
; COMPUTE_PGM_RSRC2:TRAP_HANDLER: 0
; COMPUTE_PGM_RSRC2:TGID_X_EN: 1
; COMPUTE_PGM_RSRC2:TGID_Y_EN: 0
; COMPUTE_PGM_RSRC2:TGID_Z_EN: 0
; COMPUTE_PGM_RSRC2:TIDIG_COMP_CNT: 0
; COMPUTE_PGM_RSRC3_GFX90A:ACCUM_OFFSET: 3
; COMPUTE_PGM_RSRC3_GFX90A:TG_SPLIT: 0
	.section	.text._ZN9rocsparseL41csrmvn_lrb_medium_rows_warp_reduce_kernelILj256ELj64EiiDF16_DF16_ffEEvbT1_lPT2_S3_jNS_24const_host_device_scalarIT6_EEPKS1_PKS2_PKT3_PKT4_S6_PT5_21rocsparse_index_base_b,"axG",@progbits,_ZN9rocsparseL41csrmvn_lrb_medium_rows_warp_reduce_kernelILj256ELj64EiiDF16_DF16_ffEEvbT1_lPT2_S3_jNS_24const_host_device_scalarIT6_EEPKS1_PKS2_PKT3_PKT4_S6_PT5_21rocsparse_index_base_b,comdat
	.globl	_ZN9rocsparseL41csrmvn_lrb_medium_rows_warp_reduce_kernelILj256ELj64EiiDF16_DF16_ffEEvbT1_lPT2_S3_jNS_24const_host_device_scalarIT6_EEPKS1_PKS2_PKT3_PKT4_S6_PT5_21rocsparse_index_base_b ; -- Begin function _ZN9rocsparseL41csrmvn_lrb_medium_rows_warp_reduce_kernelILj256ELj64EiiDF16_DF16_ffEEvbT1_lPT2_S3_jNS_24const_host_device_scalarIT6_EEPKS1_PKS2_PKT3_PKT4_S6_PT5_21rocsparse_index_base_b
	.p2align	8
	.type	_ZN9rocsparseL41csrmvn_lrb_medium_rows_warp_reduce_kernelILj256ELj64EiiDF16_DF16_ffEEvbT1_lPT2_S3_jNS_24const_host_device_scalarIT6_EEPKS1_PKS2_PKT3_PKT4_S6_PT5_21rocsparse_index_base_b,@function
_ZN9rocsparseL41csrmvn_lrb_medium_rows_warp_reduce_kernelILj256ELj64EiiDF16_DF16_ffEEvbT1_lPT2_S3_jNS_24const_host_device_scalarIT6_EEPKS1_PKS2_PKT3_PKT4_S6_PT5_21rocsparse_index_base_b: ; @_ZN9rocsparseL41csrmvn_lrb_medium_rows_warp_reduce_kernelILj256ELj64EiiDF16_DF16_ffEEvbT1_lPT2_S3_jNS_24const_host_device_scalarIT6_EEPKS1_PKS2_PKT3_PKT4_S6_PT5_21rocsparse_index_base_b
; %bb.0:
	s_load_dwordx2 s[10:11], s[4:5], 0x60
	s_load_dwordx2 s[12:13], s[4:5], 0x28
	;; [unrolled: 1-line block ×3, first 2 shown]
	s_waitcnt lgkmcnt(0)
	s_bitcmp1_b32 s11, 0
	s_cselect_b64 s[2:3], -1, 0
	s_xor_b64 s[0:1], s[2:3], -1
	s_and_b64 vcc, exec, s[2:3]
	s_cbranch_vccnz .LBB119_2
; %bb.1:
	s_load_dword s12, s[12:13], 0x0
.LBB119_2:
	s_andn2_b64 vcc, exec, s[0:1]
	s_cbranch_vccnz .LBB119_4
; %bb.3:
	s_load_dword s8, s[8:9], 0x0
.LBB119_4:
	s_waitcnt lgkmcnt(0)
	v_cmp_neq_f32_e64 s[0:1], s12, 0
	v_cmp_neq_f32_e64 s[2:3], s8, 1.0
	s_or_b64 s[0:1], s[0:1], s[2:3]
	s_andn2_b64 vcc, exec, s[0:1]
	s_cbranch_vccnz .LBB119_14
; %bb.5:
	s_load_dwordx2 s[0:1], s[4:5], 0x8
	v_lshrrev_b32_e32 v1, 6, v0
	v_lshl_or_b32 v2, s6, 2, v1
	v_ashrrev_i32_e32 v3, 31, v2
	s_waitcnt lgkmcnt(0)
	v_cmp_gt_i64_e32 vcc, s[0:1], v[2:3]
	s_and_saveexec_b64 s[0:1], vcc
	s_cbranch_execz .LBB119_14
; %bb.6:
	s_load_dword s6, s[4:5], 0x20
	s_load_dwordx4 s[0:3], s[4:5], 0x10
	s_mov_b32 s7, 0
	s_waitcnt lgkmcnt(0)
	s_lshl_b64 s[6:7], s[6:7], 2
	s_add_u32 s2, s2, s6
	s_addc_u32 s3, s3, s7
	s_load_dword s2, s[2:3], 0x0
	v_mov_b32_e32 v1, s1
	s_load_dwordx2 s[6:7], s[4:5], 0x58
	s_waitcnt lgkmcnt(0)
	v_add_u32_e32 v2, s2, v2
	v_ashrrev_i32_e32 v3, 31, v2
	v_lshlrev_b64 v[2:3], 2, v[2:3]
	v_add_co_u32_e32 v2, vcc, s0, v2
	v_addc_co_u32_e32 v3, vcc, v1, v3, vcc
	global_load_dword v2, v[2:3], off
	s_load_dwordx2 s[0:1], s[4:5], 0x30
	s_waitcnt lgkmcnt(0)
	v_mov_b32_e32 v1, s1
	s_waitcnt vmcnt(0)
	v_ashrrev_i32_e32 v3, 31, v2
	v_lshlrev_b64 v[2:3], 2, v[2:3]
	v_add_co_u32_e32 v4, vcc, s0, v2
	v_addc_co_u32_e32 v5, vcc, v1, v3, vcc
	global_load_dwordx2 v[6:7], v[4:5], off
	v_and_b32_e32 v4, 63, v0
	v_subrev_u32_e32 v0, s10, v4
	s_waitcnt vmcnt(0)
	v_subrev_u32_e32 v5, s10, v7
	v_add_u32_e32 v0, v6, v0
	v_cmp_lt_i32_e32 vcc, v0, v5
	v_mov_b32_e32 v6, 0
	s_and_saveexec_b64 s[14:15], vcc
	s_cbranch_execz .LBB119_10
; %bb.7:
	s_load_dwordx4 s[0:3], s[4:5], 0x38
	s_load_dwordx2 s[16:17], s[4:5], 0x48
	s_mov_b64 s[4:5], 0
	v_mov_b32_e32 v6, 0
	s_waitcnt lgkmcnt(0)
	v_mov_b32_e32 v7, s3
	v_mov_b32_e32 v8, s1
	;; [unrolled: 1-line block ×3, first 2 shown]
.LBB119_8:                              ; =>This Inner Loop Header: Depth=1
	v_ashrrev_i32_e32 v1, 31, v0
	v_lshlrev_b64 v[10:11], 2, v[0:1]
	v_add_co_u32_e32 v10, vcc, s0, v10
	v_addc_co_u32_e32 v11, vcc, v8, v11, vcc
	global_load_dword v12, v[10:11], off
	v_lshlrev_b64 v[10:11], 1, v[0:1]
	v_add_co_u32_e32 v10, vcc, s2, v10
	v_addc_co_u32_e32 v11, vcc, v7, v11, vcc
	global_load_ushort v1, v[10:11], off
	v_add_u32_e32 v0, 64, v0
	s_waitcnt vmcnt(1)
	v_subrev_u32_e32 v10, s10, v12
	v_ashrrev_i32_e32 v11, 31, v10
	v_lshlrev_b64 v[10:11], 1, v[10:11]
	v_add_co_u32_e32 v10, vcc, s16, v10
	v_addc_co_u32_e32 v11, vcc, v9, v11, vcc
	global_load_ushort v10, v[10:11], off
	s_waitcnt vmcnt(1)
	v_cvt_f32_f16_e32 v1, v1
	v_cmp_ge_i32_e32 vcc, v0, v5
	s_or_b64 s[4:5], vcc, s[4:5]
	v_mul_f32_e32 v1, s12, v1
	s_waitcnt vmcnt(0)
	v_fma_mix_f32 v6, v1, v10, v6 op_sel_hi:[0,1,0]
	s_andn2_b64 exec, exec, s[4:5]
	s_cbranch_execnz .LBB119_8
; %bb.9:
	s_or_b64 exec, exec, s[4:5]
.LBB119_10:
	s_or_b64 exec, exec, s[14:15]
	v_mov_b32_dpp v0, v6 row_shr:1 row_mask:0xf bank_mask:0xf
	v_add_f32_e32 v0, v6, v0
	v_cmp_eq_u32_e32 vcc, 63, v4
	s_nop 0
	v_mov_b32_dpp v1, v0 row_shr:2 row_mask:0xf bank_mask:0xf
	v_add_f32_e32 v0, v0, v1
	s_nop 1
	v_mov_b32_dpp v1, v0 row_shr:4 row_mask:0xf bank_mask:0xe
	v_add_f32_e32 v0, v0, v1
	;; [unrolled: 3-line block ×3, first 2 shown]
	s_nop 1
	v_mov_b32_dpp v1, v0 row_bcast:15 row_mask:0xa bank_mask:0xf
	v_add_f32_e32 v0, v0, v1
	s_nop 1
	v_mov_b32_dpp v1, v0 row_bcast:31 row_mask:0xc bank_mask:0xf
	s_and_b64 exec, exec, vcc
	s_cbranch_execz .LBB119_14
; %bb.11:
	v_cmp_eq_f32_e64 s[0:1], s8, 0
	v_add_f32_e32 v0, v0, v1
	s_and_b64 vcc, exec, s[0:1]
	s_cbranch_vccnz .LBB119_13
; %bb.12:
	v_mov_b32_e32 v1, s7
	v_add_co_u32_e32 v4, vcc, s6, v2
	v_addc_co_u32_e32 v5, vcc, v1, v3, vcc
	global_load_dword v1, v[4:5], off
	s_waitcnt vmcnt(0)
	v_fmac_f32_e32 v0, s8, v1
.LBB119_13:
	v_mov_b32_e32 v1, s7
	v_add_co_u32_e32 v2, vcc, s6, v2
	v_addc_co_u32_e32 v3, vcc, v1, v3, vcc
	global_store_dword v[2:3], v0, off
.LBB119_14:
	s_endpgm
	.section	.rodata,"a",@progbits
	.p2align	6, 0x0
	.amdhsa_kernel _ZN9rocsparseL41csrmvn_lrb_medium_rows_warp_reduce_kernelILj256ELj64EiiDF16_DF16_ffEEvbT1_lPT2_S3_jNS_24const_host_device_scalarIT6_EEPKS1_PKS2_PKT3_PKT4_S6_PT5_21rocsparse_index_base_b
		.amdhsa_group_segment_fixed_size 0
		.amdhsa_private_segment_fixed_size 0
		.amdhsa_kernarg_size 104
		.amdhsa_user_sgpr_count 6
		.amdhsa_user_sgpr_private_segment_buffer 1
		.amdhsa_user_sgpr_dispatch_ptr 0
		.amdhsa_user_sgpr_queue_ptr 0
		.amdhsa_user_sgpr_kernarg_segment_ptr 1
		.amdhsa_user_sgpr_dispatch_id 0
		.amdhsa_user_sgpr_flat_scratch_init 0
		.amdhsa_user_sgpr_kernarg_preload_length 0
		.amdhsa_user_sgpr_kernarg_preload_offset 0
		.amdhsa_user_sgpr_private_segment_size 0
		.amdhsa_uses_dynamic_stack 0
		.amdhsa_system_sgpr_private_segment_wavefront_offset 0
		.amdhsa_system_sgpr_workgroup_id_x 1
		.amdhsa_system_sgpr_workgroup_id_y 0
		.amdhsa_system_sgpr_workgroup_id_z 0
		.amdhsa_system_sgpr_workgroup_info 0
		.amdhsa_system_vgpr_workitem_id 0
		.amdhsa_next_free_vgpr 13
		.amdhsa_next_free_sgpr 18
		.amdhsa_accum_offset 16
		.amdhsa_reserve_vcc 1
		.amdhsa_reserve_flat_scratch 0
		.amdhsa_float_round_mode_32 0
		.amdhsa_float_round_mode_16_64 0
		.amdhsa_float_denorm_mode_32 3
		.amdhsa_float_denorm_mode_16_64 3
		.amdhsa_dx10_clamp 1
		.amdhsa_ieee_mode 1
		.amdhsa_fp16_overflow 0
		.amdhsa_tg_split 0
		.amdhsa_exception_fp_ieee_invalid_op 0
		.amdhsa_exception_fp_denorm_src 0
		.amdhsa_exception_fp_ieee_div_zero 0
		.amdhsa_exception_fp_ieee_overflow 0
		.amdhsa_exception_fp_ieee_underflow 0
		.amdhsa_exception_fp_ieee_inexact 0
		.amdhsa_exception_int_div_zero 0
	.end_amdhsa_kernel
	.section	.text._ZN9rocsparseL41csrmvn_lrb_medium_rows_warp_reduce_kernelILj256ELj64EiiDF16_DF16_ffEEvbT1_lPT2_S3_jNS_24const_host_device_scalarIT6_EEPKS1_PKS2_PKT3_PKT4_S6_PT5_21rocsparse_index_base_b,"axG",@progbits,_ZN9rocsparseL41csrmvn_lrb_medium_rows_warp_reduce_kernelILj256ELj64EiiDF16_DF16_ffEEvbT1_lPT2_S3_jNS_24const_host_device_scalarIT6_EEPKS1_PKS2_PKT3_PKT4_S6_PT5_21rocsparse_index_base_b,comdat
.Lfunc_end119:
	.size	_ZN9rocsparseL41csrmvn_lrb_medium_rows_warp_reduce_kernelILj256ELj64EiiDF16_DF16_ffEEvbT1_lPT2_S3_jNS_24const_host_device_scalarIT6_EEPKS1_PKS2_PKT3_PKT4_S6_PT5_21rocsparse_index_base_b, .Lfunc_end119-_ZN9rocsparseL41csrmvn_lrb_medium_rows_warp_reduce_kernelILj256ELj64EiiDF16_DF16_ffEEvbT1_lPT2_S3_jNS_24const_host_device_scalarIT6_EEPKS1_PKS2_PKT3_PKT4_S6_PT5_21rocsparse_index_base_b
                                        ; -- End function
	.section	.AMDGPU.csdata,"",@progbits
; Kernel info:
; codeLenInByte = 672
; NumSgprs: 22
; NumVgprs: 13
; NumAgprs: 0
; TotalNumVgprs: 13
; ScratchSize: 0
; MemoryBound: 0
; FloatMode: 240
; IeeeMode: 1
; LDSByteSize: 0 bytes/workgroup (compile time only)
; SGPRBlocks: 2
; VGPRBlocks: 1
; NumSGPRsForWavesPerEU: 22
; NumVGPRsForWavesPerEU: 13
; AccumOffset: 16
; Occupancy: 8
; WaveLimiterHint : 1
; COMPUTE_PGM_RSRC2:SCRATCH_EN: 0
; COMPUTE_PGM_RSRC2:USER_SGPR: 6
; COMPUTE_PGM_RSRC2:TRAP_HANDLER: 0
; COMPUTE_PGM_RSRC2:TGID_X_EN: 1
; COMPUTE_PGM_RSRC2:TGID_Y_EN: 0
; COMPUTE_PGM_RSRC2:TGID_Z_EN: 0
; COMPUTE_PGM_RSRC2:TIDIG_COMP_CNT: 0
; COMPUTE_PGM_RSRC3_GFX90A:ACCUM_OFFSET: 3
; COMPUTE_PGM_RSRC3_GFX90A:TG_SPLIT: 0
	.section	.text._ZN9rocsparseL29csrmvn_lrb_medium_rows_kernelILj256EiiDF16_DF16_ffEEvbT0_PT1_S3_jNS_24const_host_device_scalarIT5_EEPKS1_PKS2_PKT2_PKT3_S6_PT4_21rocsparse_index_base_b,"axG",@progbits,_ZN9rocsparseL29csrmvn_lrb_medium_rows_kernelILj256EiiDF16_DF16_ffEEvbT0_PT1_S3_jNS_24const_host_device_scalarIT5_EEPKS1_PKS2_PKT2_PKT3_S6_PT4_21rocsparse_index_base_b,comdat
	.globl	_ZN9rocsparseL29csrmvn_lrb_medium_rows_kernelILj256EiiDF16_DF16_ffEEvbT0_PT1_S3_jNS_24const_host_device_scalarIT5_EEPKS1_PKS2_PKT2_PKT3_S6_PT4_21rocsparse_index_base_b ; -- Begin function _ZN9rocsparseL29csrmvn_lrb_medium_rows_kernelILj256EiiDF16_DF16_ffEEvbT0_PT1_S3_jNS_24const_host_device_scalarIT5_EEPKS1_PKS2_PKT2_PKT3_S6_PT4_21rocsparse_index_base_b
	.p2align	8
	.type	_ZN9rocsparseL29csrmvn_lrb_medium_rows_kernelILj256EiiDF16_DF16_ffEEvbT0_PT1_S3_jNS_24const_host_device_scalarIT5_EEPKS1_PKS2_PKT2_PKT3_S6_PT4_21rocsparse_index_base_b,@function
_ZN9rocsparseL29csrmvn_lrb_medium_rows_kernelILj256EiiDF16_DF16_ffEEvbT0_PT1_S3_jNS_24const_host_device_scalarIT5_EEPKS1_PKS2_PKT2_PKT3_S6_PT4_21rocsparse_index_base_b: ; @_ZN9rocsparseL29csrmvn_lrb_medium_rows_kernelILj256EiiDF16_DF16_ffEEvbT0_PT1_S3_jNS_24const_host_device_scalarIT5_EEPKS1_PKS2_PKT2_PKT3_S6_PT4_21rocsparse_index_base_b
; %bb.0:
	s_load_dwordx2 s[12:13], s[4:5], 0x58
	s_load_dwordx2 s[14:15], s[4:5], 0x20
	;; [unrolled: 1-line block ×3, first 2 shown]
	s_waitcnt lgkmcnt(0)
	s_bitcmp1_b32 s13, 0
	s_cselect_b64 s[2:3], -1, 0
	s_xor_b64 s[0:1], s[2:3], -1
	s_and_b64 vcc, exec, s[2:3]
	s_cbranch_vccnz .LBB120_2
; %bb.1:
	s_load_dword s14, s[14:15], 0x0
.LBB120_2:
	s_andn2_b64 vcc, exec, s[0:1]
	s_cbranch_vccnz .LBB120_4
; %bb.3:
	s_load_dword s8, s[8:9], 0x0
.LBB120_4:
	s_waitcnt lgkmcnt(0)
	v_cmp_neq_f32_e64 s[0:1], s14, 0
	v_cmp_neq_f32_e64 s[2:3], s8, 1.0
	s_or_b64 s[0:1], s[0:1], s[2:3]
	s_andn2_b64 vcc, exec, s[0:1]
	s_mov_b32 s1, 0
	s_cbranch_vccnz .LBB120_29
; %bb.5:
	s_load_dword s0, s[4:5], 0x18
	s_load_dwordx4 s[16:19], s[4:5], 0x8
	v_subrev_u32_e32 v1, s12, v0
	v_mov_b32_e32 v4, 0
	s_waitcnt lgkmcnt(0)
	s_lshl_b64 s[0:1], s[0:1], 2
	s_add_u32 s0, s18, s0
	s_addc_u32 s1, s19, s1
	s_load_dword s0, s[0:1], 0x0
	s_waitcnt lgkmcnt(0)
	s_add_i32 s0, s0, s6
	s_ashr_i32 s1, s0, 31
	s_lshl_b64 s[0:1], s[0:1], 2
	s_add_u32 s0, s16, s0
	s_addc_u32 s1, s17, s1
	s_load_dword s2, s[0:1], 0x0
	s_load_dwordx2 s[10:11], s[4:5], 0x28
	s_waitcnt lgkmcnt(0)
	s_ashr_i32 s3, s2, 31
	s_lshl_b64 s[6:7], s[2:3], 2
	s_add_u32 s0, s10, s6
	s_addc_u32 s1, s11, s7
	s_load_dwordx2 s[2:3], s[0:1], 0x0
	s_load_dwordx2 s[10:11], s[4:5], 0x50
	s_waitcnt lgkmcnt(0)
	s_sub_i32 s9, s3, s12
	v_add_u32_e32 v2, s2, v1
	v_cmp_gt_i32_e32 vcc, s9, v2
	s_and_saveexec_b64 s[16:17], vcc
	s_cbranch_execz .LBB120_9
; %bb.6:
	s_load_dwordx4 s[0:3], s[4:5], 0x30
	s_load_dwordx2 s[18:19], s[4:5], 0x40
	s_mov_b64 s[4:5], 0
	v_mov_b32_e32 v4, 0
	s_waitcnt lgkmcnt(0)
	v_mov_b32_e32 v1, s3
	v_mov_b32_e32 v5, s1
	v_mov_b32_e32 v6, s19
.LBB120_7:                              ; =>This Inner Loop Header: Depth=1
	v_ashrrev_i32_e32 v3, 31, v2
	v_lshlrev_b64 v[8:9], 2, v[2:3]
	v_add_co_u32_e32 v8, vcc, s0, v8
	v_addc_co_u32_e32 v9, vcc, v5, v9, vcc
	global_load_dword v7, v[8:9], off
	v_lshlrev_b64 v[8:9], 1, v[2:3]
	v_add_co_u32_e32 v8, vcc, s2, v8
	v_addc_co_u32_e32 v9, vcc, v1, v9, vcc
	global_load_ushort v3, v[8:9], off
	v_add_u32_e32 v2, 0x100, v2
	s_waitcnt vmcnt(1)
	v_subrev_u32_e32 v8, s12, v7
	v_ashrrev_i32_e32 v9, 31, v8
	v_lshlrev_b64 v[8:9], 1, v[8:9]
	v_add_co_u32_e32 v8, vcc, s18, v8
	v_addc_co_u32_e32 v9, vcc, v6, v9, vcc
	global_load_ushort v7, v[8:9], off
	s_waitcnt vmcnt(1)
	v_cvt_f32_f16_e32 v3, v3
	v_cmp_le_i32_e32 vcc, s9, v2
	s_or_b64 s[4:5], vcc, s[4:5]
	v_mul_f32_e32 v3, s14, v3
	s_waitcnt vmcnt(0)
	v_fma_mix_f32 v4, v3, v7, v4 op_sel_hi:[0,1,0]
	s_andn2_b64 exec, exec, s[4:5]
	s_cbranch_execnz .LBB120_7
; %bb.8:
	s_or_b64 exec, exec, s[4:5]
.LBB120_9:
	s_or_b64 exec, exec, s[16:17]
	s_movk_i32 s0, 0x80
	v_lshlrev_b32_e32 v1, 2, v0
	v_cmp_gt_u32_e32 vcc, s0, v0
	ds_write_b32 v1, v4
	s_waitcnt lgkmcnt(0)
	s_barrier
	s_and_saveexec_b64 s[0:1], vcc
	s_cbranch_execz .LBB120_11
; %bb.10:
	ds_read2st64_b32 v[2:3], v1 offset1:2
	s_waitcnt lgkmcnt(0)
	v_add_f32_e32 v2, v2, v3
	ds_write_b32 v1, v2
.LBB120_11:
	s_or_b64 exec, exec, s[0:1]
	v_cmp_gt_u32_e32 vcc, 64, v0
	s_waitcnt lgkmcnt(0)
	s_barrier
	s_and_saveexec_b64 s[0:1], vcc
	s_cbranch_execz .LBB120_13
; %bb.12:
	ds_read2st64_b32 v[2:3], v1 offset1:1
	s_waitcnt lgkmcnt(0)
	v_add_f32_e32 v2, v2, v3
	ds_write_b32 v1, v2
.LBB120_13:
	s_or_b64 exec, exec, s[0:1]
	v_cmp_gt_u32_e32 vcc, 32, v0
	s_waitcnt lgkmcnt(0)
	s_barrier
	s_and_saveexec_b64 s[0:1], vcc
	s_cbranch_execz .LBB120_15
; %bb.14:
	ds_read2_b32 v[2:3], v1 offset1:32
	s_waitcnt lgkmcnt(0)
	v_add_f32_e32 v2, v2, v3
	ds_write_b32 v1, v2
.LBB120_15:
	s_or_b64 exec, exec, s[0:1]
	v_cmp_gt_u32_e32 vcc, 16, v0
	s_waitcnt lgkmcnt(0)
	s_barrier
	s_and_saveexec_b64 s[0:1], vcc
	s_cbranch_execz .LBB120_17
; %bb.16:
	ds_read2_b32 v[2:3], v1 offset1:16
	s_waitcnt lgkmcnt(0)
	v_add_f32_e32 v2, v2, v3
	ds_write_b32 v1, v2
.LBB120_17:
	s_or_b64 exec, exec, s[0:1]
	v_cmp_gt_u32_e32 vcc, 8, v0
	s_waitcnt lgkmcnt(0)
	s_barrier
	s_and_saveexec_b64 s[0:1], vcc
	s_cbranch_execz .LBB120_19
; %bb.18:
	ds_read2_b32 v[2:3], v1 offset1:8
	s_waitcnt lgkmcnt(0)
	v_add_f32_e32 v2, v2, v3
	ds_write_b32 v1, v2
.LBB120_19:
	s_or_b64 exec, exec, s[0:1]
	v_cmp_gt_u32_e32 vcc, 4, v0
	s_waitcnt lgkmcnt(0)
	s_barrier
	s_and_saveexec_b64 s[0:1], vcc
	s_cbranch_execz .LBB120_21
; %bb.20:
	ds_read2_b32 v[2:3], v1 offset1:4
	s_waitcnt lgkmcnt(0)
	v_add_f32_e32 v2, v2, v3
	ds_write_b32 v1, v2
.LBB120_21:
	s_or_b64 exec, exec, s[0:1]
	v_cmp_gt_u32_e32 vcc, 2, v0
	s_waitcnt lgkmcnt(0)
	s_barrier
	s_and_saveexec_b64 s[0:1], vcc
	s_cbranch_execz .LBB120_23
; %bb.22:
	ds_read2_b32 v[2:3], v1 offset1:2
	s_waitcnt lgkmcnt(0)
	v_add_f32_e32 v2, v2, v3
	ds_write_b32 v1, v2
.LBB120_23:
	s_or_b64 exec, exec, s[0:1]
	v_cmp_eq_u32_e32 vcc, 0, v0
	s_waitcnt lgkmcnt(0)
	s_barrier
	s_and_saveexec_b64 s[0:1], vcc
	s_cbranch_execz .LBB120_25
; %bb.24:
	v_mov_b32_e32 v2, 0
	ds_read_b64 v[0:1], v2
	s_waitcnt lgkmcnt(0)
	v_add_f32_e32 v0, v0, v1
	ds_write_b32 v2, v0
.LBB120_25:
	s_or_b64 exec, exec, s[0:1]
	s_waitcnt lgkmcnt(0)
	s_barrier
	s_and_saveexec_b64 s[0:1], vcc
	s_cbranch_execz .LBB120_29
; %bb.26:
	v_mov_b32_e32 v0, 0
	ds_read_b32 v1, v0
	v_cmp_eq_f32_e64 s[0:1], s8, 0
	s_and_b64 vcc, exec, s[0:1]
	s_cbranch_vccnz .LBB120_28
; %bb.27:
	s_add_u32 s0, s10, s6
	s_addc_u32 s1, s11, s7
	s_load_dword s0, s[0:1], 0x0
	s_waitcnt lgkmcnt(0)
	v_mov_b32_e32 v2, s0
	v_fmac_f32_e32 v1, s8, v2
.LBB120_28:
	s_add_u32 s0, s10, s6
	s_addc_u32 s1, s11, s7
	s_waitcnt lgkmcnt(0)
	global_store_dword v0, v1, s[0:1]
.LBB120_29:
	s_endpgm
	.section	.rodata,"a",@progbits
	.p2align	6, 0x0
	.amdhsa_kernel _ZN9rocsparseL29csrmvn_lrb_medium_rows_kernelILj256EiiDF16_DF16_ffEEvbT0_PT1_S3_jNS_24const_host_device_scalarIT5_EEPKS1_PKS2_PKT2_PKT3_S6_PT4_21rocsparse_index_base_b
		.amdhsa_group_segment_fixed_size 1024
		.amdhsa_private_segment_fixed_size 0
		.amdhsa_kernarg_size 96
		.amdhsa_user_sgpr_count 6
		.amdhsa_user_sgpr_private_segment_buffer 1
		.amdhsa_user_sgpr_dispatch_ptr 0
		.amdhsa_user_sgpr_queue_ptr 0
		.amdhsa_user_sgpr_kernarg_segment_ptr 1
		.amdhsa_user_sgpr_dispatch_id 0
		.amdhsa_user_sgpr_flat_scratch_init 0
		.amdhsa_user_sgpr_kernarg_preload_length 0
		.amdhsa_user_sgpr_kernarg_preload_offset 0
		.amdhsa_user_sgpr_private_segment_size 0
		.amdhsa_uses_dynamic_stack 0
		.amdhsa_system_sgpr_private_segment_wavefront_offset 0
		.amdhsa_system_sgpr_workgroup_id_x 1
		.amdhsa_system_sgpr_workgroup_id_y 0
		.amdhsa_system_sgpr_workgroup_id_z 0
		.amdhsa_system_sgpr_workgroup_info 0
		.amdhsa_system_vgpr_workitem_id 0
		.amdhsa_next_free_vgpr 10
		.amdhsa_next_free_sgpr 20
		.amdhsa_accum_offset 12
		.amdhsa_reserve_vcc 1
		.amdhsa_reserve_flat_scratch 0
		.amdhsa_float_round_mode_32 0
		.amdhsa_float_round_mode_16_64 0
		.amdhsa_float_denorm_mode_32 3
		.amdhsa_float_denorm_mode_16_64 3
		.amdhsa_dx10_clamp 1
		.amdhsa_ieee_mode 1
		.amdhsa_fp16_overflow 0
		.amdhsa_tg_split 0
		.amdhsa_exception_fp_ieee_invalid_op 0
		.amdhsa_exception_fp_denorm_src 0
		.amdhsa_exception_fp_ieee_div_zero 0
		.amdhsa_exception_fp_ieee_overflow 0
		.amdhsa_exception_fp_ieee_underflow 0
		.amdhsa_exception_fp_ieee_inexact 0
		.amdhsa_exception_int_div_zero 0
	.end_amdhsa_kernel
	.section	.text._ZN9rocsparseL29csrmvn_lrb_medium_rows_kernelILj256EiiDF16_DF16_ffEEvbT0_PT1_S3_jNS_24const_host_device_scalarIT5_EEPKS1_PKS2_PKT2_PKT3_S6_PT4_21rocsparse_index_base_b,"axG",@progbits,_ZN9rocsparseL29csrmvn_lrb_medium_rows_kernelILj256EiiDF16_DF16_ffEEvbT0_PT1_S3_jNS_24const_host_device_scalarIT5_EEPKS1_PKS2_PKT2_PKT3_S6_PT4_21rocsparse_index_base_b,comdat
.Lfunc_end120:
	.size	_ZN9rocsparseL29csrmvn_lrb_medium_rows_kernelILj256EiiDF16_DF16_ffEEvbT0_PT1_S3_jNS_24const_host_device_scalarIT5_EEPKS1_PKS2_PKT2_PKT3_S6_PT4_21rocsparse_index_base_b, .Lfunc_end120-_ZN9rocsparseL29csrmvn_lrb_medium_rows_kernelILj256EiiDF16_DF16_ffEEvbT0_PT1_S3_jNS_24const_host_device_scalarIT5_EEPKS1_PKS2_PKT2_PKT3_S6_PT4_21rocsparse_index_base_b
                                        ; -- End function
	.section	.AMDGPU.csdata,"",@progbits
; Kernel info:
; codeLenInByte = 940
; NumSgprs: 24
; NumVgprs: 10
; NumAgprs: 0
; TotalNumVgprs: 10
; ScratchSize: 0
; MemoryBound: 0
; FloatMode: 240
; IeeeMode: 1
; LDSByteSize: 1024 bytes/workgroup (compile time only)
; SGPRBlocks: 2
; VGPRBlocks: 1
; NumSGPRsForWavesPerEU: 24
; NumVGPRsForWavesPerEU: 10
; AccumOffset: 12
; Occupancy: 8
; WaveLimiterHint : 1
; COMPUTE_PGM_RSRC2:SCRATCH_EN: 0
; COMPUTE_PGM_RSRC2:USER_SGPR: 6
; COMPUTE_PGM_RSRC2:TRAP_HANDLER: 0
; COMPUTE_PGM_RSRC2:TGID_X_EN: 1
; COMPUTE_PGM_RSRC2:TGID_Y_EN: 0
; COMPUTE_PGM_RSRC2:TGID_Z_EN: 0
; COMPUTE_PGM_RSRC2:TIDIG_COMP_CNT: 0
; COMPUTE_PGM_RSRC3_GFX90A:ACCUM_OFFSET: 2
; COMPUTE_PGM_RSRC3_GFX90A:TG_SPLIT: 0
	.section	.text._ZN9rocsparseL27csrmvn_lrb_long_rows_kernelIiiDF16_DF16_ffEEvbT_PjPT0_S4_jNS_24const_host_device_scalarIT4_EEPKS1_PKS3_PKT1_PKT2_S7_PT3_21rocsparse_index_base_b,"axG",@progbits,_ZN9rocsparseL27csrmvn_lrb_long_rows_kernelIiiDF16_DF16_ffEEvbT_PjPT0_S4_jNS_24const_host_device_scalarIT4_EEPKS1_PKS3_PKT1_PKT2_S7_PT3_21rocsparse_index_base_b,comdat
	.globl	_ZN9rocsparseL27csrmvn_lrb_long_rows_kernelIiiDF16_DF16_ffEEvbT_PjPT0_S4_jNS_24const_host_device_scalarIT4_EEPKS1_PKS3_PKT1_PKT2_S7_PT3_21rocsparse_index_base_b ; -- Begin function _ZN9rocsparseL27csrmvn_lrb_long_rows_kernelIiiDF16_DF16_ffEEvbT_PjPT0_S4_jNS_24const_host_device_scalarIT4_EEPKS1_PKS3_PKT1_PKT2_S7_PT3_21rocsparse_index_base_b
	.p2align	8
	.type	_ZN9rocsparseL27csrmvn_lrb_long_rows_kernelIiiDF16_DF16_ffEEvbT_PjPT0_S4_jNS_24const_host_device_scalarIT4_EEPKS1_PKS3_PKT1_PKT2_S7_PT3_21rocsparse_index_base_b,@function
_ZN9rocsparseL27csrmvn_lrb_long_rows_kernelIiiDF16_DF16_ffEEvbT_PjPT0_S4_jNS_24const_host_device_scalarIT4_EEPKS1_PKS3_PKT1_PKT2_S7_PT3_21rocsparse_index_base_b: ; @_ZN9rocsparseL27csrmvn_lrb_long_rows_kernelIiiDF16_DF16_ffEEvbT_PjPT0_S4_jNS_24const_host_device_scalarIT4_EEPKS1_PKS3_PKT1_PKT2_S7_PT3_21rocsparse_index_base_b
; %bb.0:
	s_load_dwordx2 s[16:17], s[4:5], 0x60
	s_load_dwordx2 s[18:19], s[4:5], 0x28
	;; [unrolled: 1-line block ×3, first 2 shown]
	s_waitcnt lgkmcnt(0)
	s_bitcmp1_b32 s17, 0
	s_cselect_b64 s[2:3], -1, 0
	s_xor_b64 s[0:1], s[2:3], -1
	s_and_b64 vcc, exec, s[2:3]
	s_cbranch_vccnz .LBB121_2
; %bb.1:
	s_load_dword s18, s[18:19], 0x0
.LBB121_2:
	s_andn2_b64 vcc, exec, s[0:1]
	s_cbranch_vccnz .LBB121_4
; %bb.3:
	s_load_dword s8, s[8:9], 0x0
.LBB121_4:
	s_waitcnt lgkmcnt(0)
	v_cmp_neq_f32_e64 s[0:1], s18, 0
	v_cmp_neq_f32_e64 s[2:3], s8, 1.0
	s_or_b64 s[0:1], s[0:1], s[2:3]
	s_andn2_b64 vcc, exec, s[0:1]
	s_mov_b32 s1, 0
	s_cbranch_vccnz .LBB121_39
; %bb.5:
	s_load_dword s0, s[4:5], 0x20
	s_load_dwordx2 s[2:3], s[4:5], 0x18
	v_mov_b32_e32 v4, 0
	s_waitcnt lgkmcnt(0)
	s_lshl_b64 s[10:11], s[0:1], 2
	s_add_u32 s10, s2, s10
	s_addc_u32 s11, s3, s11
	s_lshl_b32 s0, -1, s0
	s_not_b32 s0, s0
	s_mul_hi_u32 s0, s0, 0x2aaaaaab
	s_lshr_b32 s7, s0, 7
	s_add_i32 s9, s7, 1
	v_cvt_f32_u32_e32 v1, s9
	s_load_dwordx4 s[0:3], s[4:5], 0x8
	s_load_dword s12, s[10:11], 0x0
	s_not_b32 s7, s7
	v_rcp_iflag_f32_e32 v1, v1
	v_mul_f32_e32 v1, 0x4f7ffffe, v1
	v_cvt_u32_f32_e32 v1, v1
	v_readfirstlane_b32 s10, v1
	s_mul_i32 s7, s7, s10
	s_mul_hi_u32 s7, s10, s7
	s_add_i32 s10, s10, s7
	s_mul_hi_u32 s7, s6, s10
	s_mul_i32 s10, s7, s9
	s_sub_i32 s10, s6, s10
	s_add_i32 s11, s7, 1
	s_sub_i32 s13, s10, s9
	s_cmp_ge_u32 s10, s9
	s_cselect_b32 s7, s11, s7
	s_cselect_b32 s10, s13, s10
	s_add_i32 s11, s7, 1
	s_cmp_ge_u32 s10, s9
	s_cselect_b32 s7, s11, s7
	s_waitcnt lgkmcnt(0)
	s_add_i32 s10, s7, s12
	s_mul_i32 s14, s7, s9
	s_ashr_i32 s11, s10, 31
	s_sub_i32 s19, s6, s14
	s_lshl_b64 s[10:11], s[10:11], 2
	s_add_u32 s10, s2, s10
	s_addc_u32 s11, s3, s11
	s_load_dword s12, s[10:11], 0x0
	s_load_dwordx2 s[20:21], s[4:5], 0x30
	s_load_dwordx2 s[2:3], s[4:5], 0x58
	v_or_b32_e32 v1, s19, v0
	v_cmp_eq_u32_e32 vcc, 0, v1
	s_waitcnt lgkmcnt(0)
	s_ashr_i32 s13, s12, 31
	s_lshl_b64 s[12:13], s[12:13], 2
	s_add_u32 s10, s20, s12
	s_addc_u32 s11, s21, s13
	s_ashr_i32 s7, s6, 31
	s_lshl_b64 s[6:7], s[6:7], 2
	s_add_u32 s6, s0, s6
	s_addc_u32 s7, s1, s7
	s_load_dwordx2 s[10:11], s[10:11], 0x0
	s_nop 0
	s_load_dword s17, s[6:7], 0x0
	s_and_saveexec_b64 s[20:21], vcc
	s_cbranch_execz .LBB121_9
; %bb.6:
	s_add_u32 s24, s2, s12
	s_addc_u32 s25, s3, s13
	s_load_dword s24, s[24:25], 0x0
	s_mov_b64 s[22:23], exec
	v_mbcnt_lo_u32_b32 v2, s22, 0
	v_mbcnt_hi_u32_b32 v2, s23, v2
	v_add_f32_e64 v1, s8, -1.0
	v_cmp_eq_u32_e32 vcc, 0, v2
	s_waitcnt vmcnt(0) expcnt(0) lgkmcnt(0)
	s_and_saveexec_b64 s[8:9], vcc
	s_cbranch_execz .LBB121_8
; %bb.7:
	s_ashr_i32 s15, s14, 31
	s_lshl_b64 s[26:27], s[14:15], 2
	s_add_u32 s26, s0, s26
	s_addc_u32 s27, s1, s27
	s_bcnt1_i32_b64 s15, s[22:23]
	s_and_b32 s15, s15, 1
	v_mov_b32_e32 v2, 0
	v_mov_b32_e32 v3, s15
	global_atomic_xor v2, v3, s[26:27]
.LBB121_8:
	s_or_b64 exec, exec, s[8:9]
	v_mul_f32_e32 v4, s24, v1
.LBB121_9:
	s_or_b64 exec, exec, s[20:21]
	s_mul_i32 s8, s19, 0x300
	s_sub_i32 s8, s8, s16
	s_waitcnt lgkmcnt(0)
	s_add_i32 s8, s8, s10
	s_sub_i32 s9, s11, s16
	s_add_i32 s10, s8, 0x300
	s_min_i32 s15, s10, s9
	v_add_u32_e32 v2, s8, v0
	v_cmp_gt_i32_e32 vcc, s15, v2
	s_and_saveexec_b64 s[20:21], vcc
	s_cbranch_execz .LBB121_13
; %bb.10:
	s_load_dwordx4 s[8:11], s[4:5], 0x38
	s_load_dwordx2 s[22:23], s[4:5], 0x48
	s_mov_b64 s[4:5], 0
	s_waitcnt lgkmcnt(0)
	v_mov_b32_e32 v1, s11
	v_mov_b32_e32 v5, s9
	;; [unrolled: 1-line block ×3, first 2 shown]
.LBB121_11:                             ; =>This Inner Loop Header: Depth=1
	v_ashrrev_i32_e32 v3, 31, v2
	v_lshlrev_b64 v[8:9], 2, v[2:3]
	v_add_co_u32_e32 v8, vcc, s8, v8
	v_addc_co_u32_e32 v9, vcc, v5, v9, vcc
	global_load_dword v7, v[8:9], off
	v_lshlrev_b64 v[8:9], 1, v[2:3]
	v_add_co_u32_e32 v8, vcc, s10, v8
	v_addc_co_u32_e32 v9, vcc, v1, v9, vcc
	global_load_ushort v3, v[8:9], off
	v_add_u32_e32 v2, 0x100, v2
	s_waitcnt vmcnt(1)
	v_subrev_u32_e32 v8, s16, v7
	v_ashrrev_i32_e32 v9, 31, v8
	v_lshlrev_b64 v[8:9], 1, v[8:9]
	v_add_co_u32_e32 v8, vcc, s22, v8
	v_addc_co_u32_e32 v9, vcc, v6, v9, vcc
	global_load_ushort v7, v[8:9], off
	s_waitcnt vmcnt(1)
	v_cvt_f32_f16_e32 v3, v3
	v_cmp_le_i32_e32 vcc, s15, v2
	s_or_b64 s[4:5], vcc, s[4:5]
	v_mul_f32_e32 v3, s18, v3
	s_waitcnt vmcnt(0)
	v_fma_mix_f32 v4, v3, v7, v4 op_sel_hi:[0,1,0]
	s_andn2_b64 exec, exec, s[4:5]
	s_cbranch_execnz .LBB121_11
; %bb.12:
	s_or_b64 exec, exec, s[4:5]
.LBB121_13:
	s_or_b64 exec, exec, s[20:21]
	s_movk_i32 s4, 0x80
	v_lshlrev_b32_e32 v1, 2, v0
	v_cmp_gt_u32_e32 vcc, s4, v0
	ds_write_b32 v1, v4
	s_waitcnt lgkmcnt(0)
	s_barrier
	s_and_saveexec_b64 s[4:5], vcc
	s_cbranch_execz .LBB121_15
; %bb.14:
	ds_read2st64_b32 v[2:3], v1 offset1:2
	s_waitcnt lgkmcnt(0)
	v_add_f32_e32 v2, v2, v3
	ds_write_b32 v1, v2
.LBB121_15:
	s_or_b64 exec, exec, s[4:5]
	v_cmp_gt_u32_e32 vcc, 64, v0
	s_waitcnt lgkmcnt(0)
	s_barrier
	s_and_saveexec_b64 s[4:5], vcc
	s_cbranch_execz .LBB121_17
; %bb.16:
	ds_read2st64_b32 v[2:3], v1 offset1:1
	s_waitcnt lgkmcnt(0)
	v_add_f32_e32 v2, v2, v3
	ds_write_b32 v1, v2
.LBB121_17:
	s_or_b64 exec, exec, s[4:5]
	v_cmp_gt_u32_e32 vcc, 32, v0
	s_waitcnt lgkmcnt(0)
	s_barrier
	s_and_saveexec_b64 s[4:5], vcc
	s_cbranch_execz .LBB121_19
; %bb.18:
	ds_read2_b32 v[2:3], v1 offset1:32
	s_waitcnt lgkmcnt(0)
	v_add_f32_e32 v2, v2, v3
	ds_write_b32 v1, v2
.LBB121_19:
	s_or_b64 exec, exec, s[4:5]
	v_cmp_gt_u32_e32 vcc, 16, v0
	s_waitcnt lgkmcnt(0)
	s_barrier
	s_and_saveexec_b64 s[4:5], vcc
	s_cbranch_execz .LBB121_21
; %bb.20:
	ds_read2_b32 v[2:3], v1 offset1:16
	s_waitcnt lgkmcnt(0)
	v_add_f32_e32 v2, v2, v3
	ds_write_b32 v1, v2
.LBB121_21:
	s_or_b64 exec, exec, s[4:5]
	v_cmp_gt_u32_e32 vcc, 8, v0
	s_waitcnt lgkmcnt(0)
	s_barrier
	s_and_saveexec_b64 s[4:5], vcc
	s_cbranch_execz .LBB121_23
; %bb.22:
	ds_read2_b32 v[2:3], v1 offset1:8
	s_waitcnt lgkmcnt(0)
	v_add_f32_e32 v2, v2, v3
	ds_write_b32 v1, v2
.LBB121_23:
	s_or_b64 exec, exec, s[4:5]
	v_cmp_gt_u32_e32 vcc, 4, v0
	s_waitcnt lgkmcnt(0)
	s_barrier
	s_and_saveexec_b64 s[4:5], vcc
	s_cbranch_execz .LBB121_25
; %bb.24:
	ds_read2_b32 v[2:3], v1 offset1:4
	s_waitcnt lgkmcnt(0)
	v_add_f32_e32 v2, v2, v3
	ds_write_b32 v1, v2
.LBB121_25:
	s_or_b64 exec, exec, s[4:5]
	v_cmp_gt_u32_e32 vcc, 2, v0
	s_waitcnt lgkmcnt(0)
	s_barrier
	s_and_saveexec_b64 s[4:5], vcc
	s_cbranch_execz .LBB121_27
; %bb.26:
	ds_read2_b32 v[2:3], v1 offset1:2
	s_waitcnt lgkmcnt(0)
	v_add_f32_e32 v2, v2, v3
	ds_write_b32 v1, v2
.LBB121_27:
	s_or_b64 exec, exec, s[4:5]
	v_cmp_eq_u32_e32 vcc, 0, v0
	s_waitcnt lgkmcnt(0)
	s_barrier
	s_and_saveexec_b64 s[4:5], vcc
	s_cbranch_execz .LBB121_29
; %bb.28:
	v_mov_b32_e32 v2, 0
	ds_read_b64 v[0:1], v2
	s_waitcnt lgkmcnt(0)
	v_add_f32_e32 v0, v0, v1
	ds_write_b32 v2, v0
.LBB121_29:
	s_or_b64 exec, exec, s[4:5]
	s_waitcnt lgkmcnt(0)
	s_barrier
	s_and_saveexec_b64 s[4:5], vcc
	s_cbranch_execz .LBB121_39
; %bb.30:
	s_cmp_eq_u32 s19, 0
	s_cbranch_scc1 .LBB121_36
; %bb.31:
	s_ashr_i32 s15, s14, 31
	s_lshl_b64 s[4:5], s[14:15], 2
	s_add_u32 s0, s0, s4
	s_addc_u32 s1, s1, s5
	v_mov_b32_e32 v0, 0
	s_branch .LBB121_33
.LBB121_32:                             ;   in Loop: Header=BB121_33 Depth=1
	s_or_b64 exec, exec, s[4:5]
	s_waitcnt vmcnt(0)
	v_readfirstlane_b32 s4, v1
	s_cmp_eq_u32 s4, s17
	s_cbranch_scc0 .LBB121_35
.LBB121_33:                             ; =>This Inner Loop Header: Depth=1
	v_mbcnt_lo_u32_b32 v1, exec_lo, 0
	v_mbcnt_hi_u32_b32 v1, exec_hi, v1
	v_cmp_eq_u32_e32 vcc, 0, v1
                                        ; implicit-def: $vgpr1
	s_and_saveexec_b64 s[4:5], vcc
	s_cbranch_execz .LBB121_32
; %bb.34:                               ;   in Loop: Header=BB121_33 Depth=1
	global_load_dword v1, v0, s[0:1] glc
	s_branch .LBB121_32
.LBB121_35:
	v_mov_b32_e32 v0, 0
	global_load_dword v1, v0, s[6:7]
	s_waitcnt vmcnt(0)
	v_xor_b32_e32 v1, 1, v1
	global_store_dword v0, v1, s[6:7]
.LBB121_36:
	s_mov_b64 s[4:5], exec
	v_mbcnt_lo_u32_b32 v0, s4, 0
	v_mbcnt_hi_u32_b32 v0, s5, v0
	v_cmp_eq_u32_e32 vcc, 0, v0
	s_and_b64 s[0:1], exec, vcc
	s_mov_b64 exec, s[0:1]
	s_cbranch_execz .LBB121_39
; %bb.37:
	s_add_u32 s0, s2, s12
	s_addc_u32 s1, s3, s13
	v_mov_b32_e32 v2, 0
	global_load_dword v1, v2, s[0:1]
	ds_read_b32 v0, v2
	s_bcnt1_i32_b64 s2, s[4:5]
	v_cvt_f32_ubyte0_e32 v3, s2
	s_mov_b64 s[2:3], 0
	s_waitcnt lgkmcnt(0)
	v_mul_f32_e32 v3, v0, v3
.LBB121_38:                             ; =>This Inner Loop Header: Depth=1
	s_waitcnt vmcnt(0)
	v_add_f32_e32 v0, v1, v3
	global_atomic_cmpswap v0, v2, v[0:1], s[0:1] glc
	s_waitcnt vmcnt(0)
	v_cmp_eq_u32_e32 vcc, v0, v1
	s_or_b64 s[2:3], vcc, s[2:3]
	v_mov_b32_e32 v1, v0
	s_andn2_b64 exec, exec, s[2:3]
	s_cbranch_execnz .LBB121_38
.LBB121_39:
	s_endpgm
	.section	.rodata,"a",@progbits
	.p2align	6, 0x0
	.amdhsa_kernel _ZN9rocsparseL27csrmvn_lrb_long_rows_kernelIiiDF16_DF16_ffEEvbT_PjPT0_S4_jNS_24const_host_device_scalarIT4_EEPKS1_PKS3_PKT1_PKT2_S7_PT3_21rocsparse_index_base_b
		.amdhsa_group_segment_fixed_size 1024
		.amdhsa_private_segment_fixed_size 0
		.amdhsa_kernarg_size 104
		.amdhsa_user_sgpr_count 6
		.amdhsa_user_sgpr_private_segment_buffer 1
		.amdhsa_user_sgpr_dispatch_ptr 0
		.amdhsa_user_sgpr_queue_ptr 0
		.amdhsa_user_sgpr_kernarg_segment_ptr 1
		.amdhsa_user_sgpr_dispatch_id 0
		.amdhsa_user_sgpr_flat_scratch_init 0
		.amdhsa_user_sgpr_kernarg_preload_length 0
		.amdhsa_user_sgpr_kernarg_preload_offset 0
		.amdhsa_user_sgpr_private_segment_size 0
		.amdhsa_uses_dynamic_stack 0
		.amdhsa_system_sgpr_private_segment_wavefront_offset 0
		.amdhsa_system_sgpr_workgroup_id_x 1
		.amdhsa_system_sgpr_workgroup_id_y 0
		.amdhsa_system_sgpr_workgroup_id_z 0
		.amdhsa_system_sgpr_workgroup_info 0
		.amdhsa_system_vgpr_workitem_id 0
		.amdhsa_next_free_vgpr 10
		.amdhsa_next_free_sgpr 28
		.amdhsa_accum_offset 12
		.amdhsa_reserve_vcc 1
		.amdhsa_reserve_flat_scratch 0
		.amdhsa_float_round_mode_32 0
		.amdhsa_float_round_mode_16_64 0
		.amdhsa_float_denorm_mode_32 3
		.amdhsa_float_denorm_mode_16_64 3
		.amdhsa_dx10_clamp 1
		.amdhsa_ieee_mode 1
		.amdhsa_fp16_overflow 0
		.amdhsa_tg_split 0
		.amdhsa_exception_fp_ieee_invalid_op 0
		.amdhsa_exception_fp_denorm_src 0
		.amdhsa_exception_fp_ieee_div_zero 0
		.amdhsa_exception_fp_ieee_overflow 0
		.amdhsa_exception_fp_ieee_underflow 0
		.amdhsa_exception_fp_ieee_inexact 0
		.amdhsa_exception_int_div_zero 0
	.end_amdhsa_kernel
	.section	.text._ZN9rocsparseL27csrmvn_lrb_long_rows_kernelIiiDF16_DF16_ffEEvbT_PjPT0_S4_jNS_24const_host_device_scalarIT4_EEPKS1_PKS3_PKT1_PKT2_S7_PT3_21rocsparse_index_base_b,"axG",@progbits,_ZN9rocsparseL27csrmvn_lrb_long_rows_kernelIiiDF16_DF16_ffEEvbT_PjPT0_S4_jNS_24const_host_device_scalarIT4_EEPKS1_PKS3_PKT1_PKT2_S7_PT3_21rocsparse_index_base_b,comdat
.Lfunc_end121:
	.size	_ZN9rocsparseL27csrmvn_lrb_long_rows_kernelIiiDF16_DF16_ffEEvbT_PjPT0_S4_jNS_24const_host_device_scalarIT4_EEPKS1_PKS3_PKT1_PKT2_S7_PT3_21rocsparse_index_base_b, .Lfunc_end121-_ZN9rocsparseL27csrmvn_lrb_long_rows_kernelIiiDF16_DF16_ffEEvbT_PjPT0_S4_jNS_24const_host_device_scalarIT4_EEPKS1_PKS3_PKT1_PKT2_S7_PT3_21rocsparse_index_base_b
                                        ; -- End function
	.section	.AMDGPU.csdata,"",@progbits
; Kernel info:
; codeLenInByte = 1408
; NumSgprs: 32
; NumVgprs: 10
; NumAgprs: 0
; TotalNumVgprs: 10
; ScratchSize: 0
; MemoryBound: 0
; FloatMode: 240
; IeeeMode: 1
; LDSByteSize: 1024 bytes/workgroup (compile time only)
; SGPRBlocks: 3
; VGPRBlocks: 1
; NumSGPRsForWavesPerEU: 32
; NumVGPRsForWavesPerEU: 10
; AccumOffset: 12
; Occupancy: 8
; WaveLimiterHint : 1
; COMPUTE_PGM_RSRC2:SCRATCH_EN: 0
; COMPUTE_PGM_RSRC2:USER_SGPR: 6
; COMPUTE_PGM_RSRC2:TRAP_HANDLER: 0
; COMPUTE_PGM_RSRC2:TGID_X_EN: 1
; COMPUTE_PGM_RSRC2:TGID_Y_EN: 0
; COMPUTE_PGM_RSRC2:TGID_Z_EN: 0
; COMPUTE_PGM_RSRC2:TIDIG_COMP_CNT: 0
; COMPUTE_PGM_RSRC3_GFX90A:ACCUM_OFFSET: 2
; COMPUTE_PGM_RSRC3_GFX90A:TG_SPLIT: 0
	.section	.text._ZN9rocsparseL28csrmvn_lrb_short_rows_kernelIliDF16_DF16_ffEEvbT_PT0_S3_jNS_24const_host_device_scalarIT4_EEPKS1_PKS2_PKT1_PKT2_S6_PT3_21rocsparse_index_base_b,"axG",@progbits,_ZN9rocsparseL28csrmvn_lrb_short_rows_kernelIliDF16_DF16_ffEEvbT_PT0_S3_jNS_24const_host_device_scalarIT4_EEPKS1_PKS2_PKT1_PKT2_S6_PT3_21rocsparse_index_base_b,comdat
	.globl	_ZN9rocsparseL28csrmvn_lrb_short_rows_kernelIliDF16_DF16_ffEEvbT_PT0_S3_jNS_24const_host_device_scalarIT4_EEPKS1_PKS2_PKT1_PKT2_S6_PT3_21rocsparse_index_base_b ; -- Begin function _ZN9rocsparseL28csrmvn_lrb_short_rows_kernelIliDF16_DF16_ffEEvbT_PT0_S3_jNS_24const_host_device_scalarIT4_EEPKS1_PKS2_PKT1_PKT2_S6_PT3_21rocsparse_index_base_b
	.p2align	8
	.type	_ZN9rocsparseL28csrmvn_lrb_short_rows_kernelIliDF16_DF16_ffEEvbT_PT0_S3_jNS_24const_host_device_scalarIT4_EEPKS1_PKS2_PKT1_PKT2_S6_PT3_21rocsparse_index_base_b,@function
_ZN9rocsparseL28csrmvn_lrb_short_rows_kernelIliDF16_DF16_ffEEvbT_PT0_S3_jNS_24const_host_device_scalarIT4_EEPKS1_PKS2_PKT1_PKT2_S6_PT3_21rocsparse_index_base_b: ; @_ZN9rocsparseL28csrmvn_lrb_short_rows_kernelIliDF16_DF16_ffEEvbT_PT0_S3_jNS_24const_host_device_scalarIT4_EEPKS1_PKS2_PKT1_PKT2_S6_PT3_21rocsparse_index_base_b
; %bb.0:
	s_load_dwordx2 s[20:21], s[4:5], 0x60
	s_load_dwordx2 s[22:23], s[4:5], 0x28
	;; [unrolled: 1-line block ×3, first 2 shown]
	s_waitcnt lgkmcnt(0)
	s_bitcmp1_b32 s21, 0
	s_cselect_b64 s[2:3], -1, 0
	s_xor_b64 s[0:1], s[2:3], -1
	s_and_b64 vcc, exec, s[2:3]
	s_cbranch_vccnz .LBB122_2
; %bb.1:
	s_load_dword s22, s[22:23], 0x0
.LBB122_2:
	s_andn2_b64 vcc, exec, s[0:1]
	s_cbranch_vccnz .LBB122_4
; %bb.3:
	s_load_dword s16, s[16:17], 0x0
.LBB122_4:
	s_waitcnt lgkmcnt(0)
	v_cmp_neq_f32_e64 s[0:1], s22, 0
	v_cmp_neq_f32_e64 s[2:3], s16, 1.0
	s_or_b64 s[0:1], s[0:1], s[2:3]
	s_andn2_b64 vcc, exec, s[0:1]
	s_mov_b32 s19, 0
	s_cbranch_vccnz .LBB122_18
; %bb.5:
	s_load_dword s18, s[4:5], 0x20
	s_load_dwordx4 s[0:3], s[4:5], 0x10
	s_mov_b32 s9, s19
	s_waitcnt lgkmcnt(0)
	s_lshl_b64 s[10:11], s[18:19], 2
	s_add_u32 s10, s2, s10
	s_addc_u32 s11, s3, s11
	s_add_i32 s8, s18, 1
	s_lshl_b64 s[8:9], s[8:9], 2
	s_add_u32 s2, s2, s8
	s_addc_u32 s3, s3, s9
	s_load_dword s17, s[10:11], 0x0
	s_load_dword s7, s[2:3], 0x0
	s_lshl_b32 s19, s6, 8
	s_add_i32 s3, s19, 0x100
	s_waitcnt lgkmcnt(0)
	s_sub_i32 s2, s7, s17
	s_min_u32 s21, s2, s3
	s_cmp_gt_u32 s18, 23
	s_cbranch_scc1 .LBB122_12
; %bb.6:
	s_load_dwordx8 s[8:15], s[4:5], 0x30
	s_mov_b32 s24, 0
	v_mov_b32_e32 v9, 0
	s_lshl_b32 s23, 0x100, s18
	v_bfe_u32 v6, v0, 0, s18
	v_mov_b32_e32 v7, v9
	v_lshl_add_u32 v1, v0, 2, 0
	s_mov_b32 s25, s24
	s_branch .LBB122_9
.LBB122_7:                              ;   in Loop: Header=BB122_9 Depth=1
	s_or_b64 exec, exec, s[6:7]
	ds_write_b32 v1, v4
.LBB122_8:                              ;   in Loop: Header=BB122_9 Depth=1
	s_or_b64 exec, exec, s[2:3]
	s_addk_i32 s25, 0x100
	s_cmp_ge_u32 s25, s23
	v_add_u32_e32 v1, 0x400, v1
	s_cbranch_scc1 .LBB122_12
.LBB122_9:                              ; =>This Inner Loop Header: Depth=1
	v_add_u32_e32 v2, s25, v0
	v_lshrrev_b32_e32 v2, s18, v2
	v_add_u32_e32 v2, s19, v2
	v_cmp_gt_u32_e32 vcc, s21, v2
	s_and_saveexec_b64 s[2:3], vcc
	s_cbranch_execz .LBB122_8
; %bb.10:                               ;   in Loop: Header=BB122_9 Depth=1
	v_add_u32_e32 v8, s17, v2
	v_lshlrev_b64 v[2:3], 2, v[8:9]
	v_mov_b32_e32 v4, s1
	v_add_co_u32_e32 v2, vcc, s0, v2
	v_addc_co_u32_e32 v3, vcc, v4, v3, vcc
	global_load_dword v2, v[2:3], off
	s_waitcnt lgkmcnt(0)
	v_mov_b32_e32 v4, s9
	s_waitcnt vmcnt(0)
	v_ashrrev_i32_e32 v3, 31, v2
	v_lshlrev_b64 v[2:3], 3, v[2:3]
	v_add_co_u32_e32 v2, vcc, s8, v2
	v_addc_co_u32_e32 v3, vcc, v4, v3, vcc
	global_load_dwordx4 v[2:5], v[2:3], off
	s_waitcnt vmcnt(0)
	v_sub_co_u32_e32 v4, vcc, v4, v2
	v_subb_co_u32_e32 v5, vcc, v5, v3, vcc
	v_cmp_gt_i64_e32 vcc, v[4:5], v[6:7]
	v_mov_b32_e32 v4, 0
	s_and_saveexec_b64 s[6:7], vcc
	s_cbranch_execz .LBB122_7
; %bb.11:                               ;   in Loop: Header=BB122_9 Depth=1
	v_mov_b32_e32 v4, s24
	v_subrev_co_u32_e32 v2, vcc, s20, v2
	v_subb_co_u32_e32 v3, vcc, v3, v4, vcc
	v_add_co_u32_e32 v2, vcc, v2, v6
	v_addc_co_u32_e32 v3, vcc, 0, v3, vcc
	v_lshlrev_b64 v[4:5], 2, v[2:3]
	v_mov_b32_e32 v8, s11
	v_add_co_u32_e32 v4, vcc, s10, v4
	v_addc_co_u32_e32 v5, vcc, v8, v5, vcc
	global_load_dword v4, v[4:5], off
	v_lshlrev_b64 v[2:3], 1, v[2:3]
	v_mov_b32_e32 v5, s13
	v_add_co_u32_e32 v2, vcc, s12, v2
	v_addc_co_u32_e32 v3, vcc, v5, v3, vcc
	global_load_ushort v5, v[2:3], off
	v_mov_b32_e32 v8, s15
	s_waitcnt vmcnt(1)
	v_subrev_u32_e32 v2, s20, v4
	v_ashrrev_i32_e32 v3, 31, v2
	v_lshlrev_b64 v[2:3], 1, v[2:3]
	v_add_co_u32_e32 v2, vcc, s14, v2
	v_addc_co_u32_e32 v3, vcc, v8, v3, vcc
	global_load_ushort v2, v[2:3], off
	s_waitcnt vmcnt(1)
	v_cvt_f32_f16_e32 v3, v5
	v_mul_f32_e32 v3, s22, v3
	s_waitcnt vmcnt(0)
	v_cvt_f32_f16_e32 v2, v2
	v_mul_f32_e32 v4, v3, v2
	s_branch .LBB122_7
.LBB122_12:
	s_sub_i32 s2, s21, s19
	v_cmp_gt_u32_e32 vcc, s2, v0
	s_waitcnt lgkmcnt(0)
	s_barrier
	s_and_saveexec_b64 s[2:3], vcc
	s_cbranch_execz .LBB122_18
; %bb.13:
	s_add_i32 s17, s17, s19
	v_add_u32_e32 v2, s17, v0
	v_mov_b32_e32 v3, 0
	v_lshlrev_b64 v[4:5], 2, v[2:3]
	v_mov_b32_e32 v1, s1
	v_add_co_u32_e32 v4, vcc, s0, v4
	v_addc_co_u32_e32 v5, vcc, v1, v5, vcc
	global_load_dword v4, v[4:5], off
	s_load_dwordx2 s[0:1], s[4:5], 0x58
	v_lshlrev_b32_e32 v0, s18, v0
	v_lshl_add_u32 v0, v0, 2, 0
	s_mov_b32 s2, 1
.LBB122_14:                             ; =>This Inner Loop Header: Depth=1
	ds_read_b32 v1, v0
	s_lshr_b32 s3, s2, s18
	s_add_i32 s2, s2, 1
	v_add_u32_e32 v0, 4, v0
	s_cmp_lg_u32 s3, 0
	s_waitcnt lgkmcnt(0)
	v_add_f32_e32 v3, v3, v1
	s_cbranch_scc0 .LBB122_14
; %bb.15:
	v_cmp_neq_f32_e64 s[2:3], s16, 0
	s_waitcnt vmcnt(0)
	v_ashrrev_i32_e32 v5, 31, v4
	s_and_b64 vcc, exec, s[2:3]
	v_lshlrev_b64 v[0:1], 2, v[4:5]
	s_cbranch_vccz .LBB122_17
; %bb.16:
	v_mov_b32_e32 v2, s1
	v_add_co_u32_e32 v4, vcc, s0, v0
	v_addc_co_u32_e32 v5, vcc, v2, v1, vcc
	global_load_dword v2, v[4:5], off
	s_waitcnt vmcnt(0)
	v_fmac_f32_e32 v3, s16, v2
.LBB122_17:
	v_mov_b32_e32 v2, s1
	v_add_co_u32_e32 v0, vcc, s0, v0
	v_addc_co_u32_e32 v1, vcc, v2, v1, vcc
	global_store_dword v[0:1], v3, off
.LBB122_18:
	s_endpgm
	.section	.rodata,"a",@progbits
	.p2align	6, 0x0
	.amdhsa_kernel _ZN9rocsparseL28csrmvn_lrb_short_rows_kernelIliDF16_DF16_ffEEvbT_PT0_S3_jNS_24const_host_device_scalarIT4_EEPKS1_PKS2_PKT1_PKT2_S6_PT3_21rocsparse_index_base_b
		.amdhsa_group_segment_fixed_size 0
		.amdhsa_private_segment_fixed_size 0
		.amdhsa_kernarg_size 104
		.amdhsa_user_sgpr_count 6
		.amdhsa_user_sgpr_private_segment_buffer 1
		.amdhsa_user_sgpr_dispatch_ptr 0
		.amdhsa_user_sgpr_queue_ptr 0
		.amdhsa_user_sgpr_kernarg_segment_ptr 1
		.amdhsa_user_sgpr_dispatch_id 0
		.amdhsa_user_sgpr_flat_scratch_init 0
		.amdhsa_user_sgpr_kernarg_preload_length 0
		.amdhsa_user_sgpr_kernarg_preload_offset 0
		.amdhsa_user_sgpr_private_segment_size 0
		.amdhsa_uses_dynamic_stack 0
		.amdhsa_system_sgpr_private_segment_wavefront_offset 0
		.amdhsa_system_sgpr_workgroup_id_x 1
		.amdhsa_system_sgpr_workgroup_id_y 0
		.amdhsa_system_sgpr_workgroup_id_z 0
		.amdhsa_system_sgpr_workgroup_info 0
		.amdhsa_system_vgpr_workitem_id 0
		.amdhsa_next_free_vgpr 10
		.amdhsa_next_free_sgpr 26
		.amdhsa_accum_offset 12
		.amdhsa_reserve_vcc 1
		.amdhsa_reserve_flat_scratch 0
		.amdhsa_float_round_mode_32 0
		.amdhsa_float_round_mode_16_64 0
		.amdhsa_float_denorm_mode_32 3
		.amdhsa_float_denorm_mode_16_64 3
		.amdhsa_dx10_clamp 1
		.amdhsa_ieee_mode 1
		.amdhsa_fp16_overflow 0
		.amdhsa_tg_split 0
		.amdhsa_exception_fp_ieee_invalid_op 0
		.amdhsa_exception_fp_denorm_src 0
		.amdhsa_exception_fp_ieee_div_zero 0
		.amdhsa_exception_fp_ieee_overflow 0
		.amdhsa_exception_fp_ieee_underflow 0
		.amdhsa_exception_fp_ieee_inexact 0
		.amdhsa_exception_int_div_zero 0
	.end_amdhsa_kernel
	.section	.text._ZN9rocsparseL28csrmvn_lrb_short_rows_kernelIliDF16_DF16_ffEEvbT_PT0_S3_jNS_24const_host_device_scalarIT4_EEPKS1_PKS2_PKT1_PKT2_S6_PT3_21rocsparse_index_base_b,"axG",@progbits,_ZN9rocsparseL28csrmvn_lrb_short_rows_kernelIliDF16_DF16_ffEEvbT_PT0_S3_jNS_24const_host_device_scalarIT4_EEPKS1_PKS2_PKT1_PKT2_S6_PT3_21rocsparse_index_base_b,comdat
.Lfunc_end122:
	.size	_ZN9rocsparseL28csrmvn_lrb_short_rows_kernelIliDF16_DF16_ffEEvbT_PT0_S3_jNS_24const_host_device_scalarIT4_EEPKS1_PKS2_PKT1_PKT2_S6_PT3_21rocsparse_index_base_b, .Lfunc_end122-_ZN9rocsparseL28csrmvn_lrb_short_rows_kernelIliDF16_DF16_ffEEvbT_PT0_S3_jNS_24const_host_device_scalarIT4_EEPKS1_PKS2_PKT1_PKT2_S6_PT3_21rocsparse_index_base_b
                                        ; -- End function
	.section	.AMDGPU.csdata,"",@progbits
; Kernel info:
; codeLenInByte = 772
; NumSgprs: 30
; NumVgprs: 10
; NumAgprs: 0
; TotalNumVgprs: 10
; ScratchSize: 0
; MemoryBound: 0
; FloatMode: 240
; IeeeMode: 1
; LDSByteSize: 0 bytes/workgroup (compile time only)
; SGPRBlocks: 3
; VGPRBlocks: 1
; NumSGPRsForWavesPerEU: 30
; NumVGPRsForWavesPerEU: 10
; AccumOffset: 12
; Occupancy: 8
; WaveLimiterHint : 1
; COMPUTE_PGM_RSRC2:SCRATCH_EN: 0
; COMPUTE_PGM_RSRC2:USER_SGPR: 6
; COMPUTE_PGM_RSRC2:TRAP_HANDLER: 0
; COMPUTE_PGM_RSRC2:TGID_X_EN: 1
; COMPUTE_PGM_RSRC2:TGID_Y_EN: 0
; COMPUTE_PGM_RSRC2:TGID_Z_EN: 0
; COMPUTE_PGM_RSRC2:TIDIG_COMP_CNT: 0
; COMPUTE_PGM_RSRC3_GFX90A:ACCUM_OFFSET: 2
; COMPUTE_PGM_RSRC3_GFX90A:TG_SPLIT: 0
	.section	.text._ZN9rocsparseL30csrmvn_lrb_short_rows_2_kernelIliDF16_DF16_ffEEvbT_PT0_S3_jNS_24const_host_device_scalarIT4_EEPKS1_PKS2_PKT1_PKT2_S6_PT3_21rocsparse_index_base_b,"axG",@progbits,_ZN9rocsparseL30csrmvn_lrb_short_rows_2_kernelIliDF16_DF16_ffEEvbT_PT0_S3_jNS_24const_host_device_scalarIT4_EEPKS1_PKS2_PKT1_PKT2_S6_PT3_21rocsparse_index_base_b,comdat
	.globl	_ZN9rocsparseL30csrmvn_lrb_short_rows_2_kernelIliDF16_DF16_ffEEvbT_PT0_S3_jNS_24const_host_device_scalarIT4_EEPKS1_PKS2_PKT1_PKT2_S6_PT3_21rocsparse_index_base_b ; -- Begin function _ZN9rocsparseL30csrmvn_lrb_short_rows_2_kernelIliDF16_DF16_ffEEvbT_PT0_S3_jNS_24const_host_device_scalarIT4_EEPKS1_PKS2_PKT1_PKT2_S6_PT3_21rocsparse_index_base_b
	.p2align	8
	.type	_ZN9rocsparseL30csrmvn_lrb_short_rows_2_kernelIliDF16_DF16_ffEEvbT_PT0_S3_jNS_24const_host_device_scalarIT4_EEPKS1_PKS2_PKT1_PKT2_S6_PT3_21rocsparse_index_base_b,@function
_ZN9rocsparseL30csrmvn_lrb_short_rows_2_kernelIliDF16_DF16_ffEEvbT_PT0_S3_jNS_24const_host_device_scalarIT4_EEPKS1_PKS2_PKT1_PKT2_S6_PT3_21rocsparse_index_base_b: ; @_ZN9rocsparseL30csrmvn_lrb_short_rows_2_kernelIliDF16_DF16_ffEEvbT_PT0_S3_jNS_24const_host_device_scalarIT4_EEPKS1_PKS2_PKT1_PKT2_S6_PT3_21rocsparse_index_base_b
; %bb.0:
	s_load_dwordx2 s[22:23], s[4:5], 0x60
	s_load_dwordx2 s[20:21], s[4:5], 0x28
	;; [unrolled: 1-line block ×3, first 2 shown]
	s_waitcnt lgkmcnt(0)
	s_bitcmp1_b32 s23, 0
	s_cselect_b64 s[2:3], -1, 0
	s_xor_b64 s[0:1], s[2:3], -1
	s_and_b64 vcc, exec, s[2:3]
	s_cbranch_vccnz .LBB123_2
; %bb.1:
	s_load_dword s20, s[20:21], 0x0
.LBB123_2:
	s_andn2_b64 vcc, exec, s[0:1]
	s_cbranch_vccnz .LBB123_4
; %bb.3:
	s_load_dword s16, s[16:17], 0x0
.LBB123_4:
	s_waitcnt lgkmcnt(0)
	v_cmp_neq_f32_e64 s[0:1], s20, 0
	v_cmp_neq_f32_e64 s[2:3], s16, 1.0
	s_or_b64 s[0:1], s[0:1], s[2:3]
	s_andn2_b64 vcc, exec, s[0:1]
	s_mov_b32 s19, 0
	s_cbranch_vccnz .LBB123_30
; %bb.5:
	s_load_dword s18, s[4:5], 0x20
	s_load_dwordx4 s[0:3], s[4:5], 0x10
	s_mov_b32 s9, s19
	v_mov_b32_e32 v7, 0
	s_waitcnt lgkmcnt(0)
	s_lshl_b64 s[10:11], s[18:19], 2
	s_add_u32 s24, s2, s10
	s_addc_u32 s25, s3, s11
	s_add_i32 s8, s18, 1
	s_lshl_b64 s[8:9], s[8:9], 2
	s_add_u32 s26, s2, s8
	s_addc_u32 s27, s3, s9
	s_load_dword s19, s[24:25], 0x0
	s_load_dword s7, s[26:27], 0x0
	s_load_dwordx2 s[2:3], s[4:5], 0x58
	s_load_dwordx8 s[8:15], s[4:5], 0x30
	s_lshr_b32 s17, 0x400, s18
	s_mul_i32 s21, s17, s6
	s_waitcnt lgkmcnt(0)
	s_sub_i32 s4, s7, s19
	s_add_i32 s5, s21, s17
	v_lshrrev_b32_e32 v1, s18, v0
	s_min_u32 s23, s4, s5
	v_add_u32_e32 v1, s21, v1
	v_bfe_u32 v6, v0, 0, s18
	v_cmp_gt_u32_e32 vcc, s23, v1
	s_and_saveexec_b64 s[4:5], vcc
	s_cbranch_execz .LBB123_9
; %bb.6:
	v_add_u32_e32 v2, s19, v1
	v_mov_b32_e32 v3, v7
	v_lshlrev_b64 v[2:3], 2, v[2:3]
	v_mov_b32_e32 v1, s1
	v_add_co_u32_e32 v2, vcc, s0, v2
	v_addc_co_u32_e32 v3, vcc, v1, v3, vcc
	global_load_dword v2, v[2:3], off
	v_mov_b32_e32 v1, s9
	s_waitcnt vmcnt(0)
	v_ashrrev_i32_e32 v3, 31, v2
	v_lshlrev_b64 v[2:3], 3, v[2:3]
	v_add_co_u32_e32 v2, vcc, s8, v2
	v_addc_co_u32_e32 v3, vcc, v1, v3, vcc
	global_load_dwordx4 v[2:5], v[2:3], off
	v_mov_b32_e32 v1, v7
	s_waitcnt vmcnt(0)
	v_sub_co_u32_e32 v4, vcc, v4, v2
	v_subb_co_u32_e32 v5, vcc, v5, v3, vcc
	v_cmp_gt_i64_e32 vcc, v[4:5], v[6:7]
	s_and_saveexec_b64 s[6:7], vcc
	s_cbranch_execz .LBB123_8
; %bb.7:
	v_subrev_co_u32_e32 v1, vcc, s22, v2
	v_subbrev_co_u32_e32 v3, vcc, 0, v3, vcc
	v_add_co_u32_e32 v2, vcc, v1, v6
	v_addc_co_u32_e32 v3, vcc, 0, v3, vcc
	v_lshlrev_b64 v[4:5], 2, v[2:3]
	v_mov_b32_e32 v1, s11
	v_add_co_u32_e32 v4, vcc, s10, v4
	v_addc_co_u32_e32 v5, vcc, v1, v5, vcc
	global_load_dword v1, v[4:5], off
	v_lshlrev_b64 v[2:3], 1, v[2:3]
	v_mov_b32_e32 v4, s13
	v_add_co_u32_e32 v2, vcc, s12, v2
	v_addc_co_u32_e32 v3, vcc, v4, v3, vcc
	global_load_ushort v4, v[2:3], off
	v_mov_b32_e32 v5, s15
	s_waitcnt vmcnt(1)
	v_subrev_u32_e32 v2, s22, v1
	v_ashrrev_i32_e32 v3, 31, v2
	v_lshlrev_b64 v[2:3], 1, v[2:3]
	v_add_co_u32_e32 v2, vcc, s14, v2
	v_addc_co_u32_e32 v3, vcc, v5, v3, vcc
	global_load_ushort v1, v[2:3], off
	s_waitcnt vmcnt(1)
	v_cvt_f32_f16_e32 v2, v4
	v_mul_f32_e32 v2, s20, v2
	s_waitcnt vmcnt(0)
	v_cvt_f32_f16_e32 v1, v1
	v_mul_f32_e32 v1, v2, v1
.LBB123_8:
	s_or_b64 exec, exec, s[6:7]
	v_lshlrev_b32_e32 v2, 2, v0
	ds_write_b32 v2, v1
.LBB123_9:
	s_or_b64 exec, exec, s[4:5]
	v_or_b32_e32 v1, 0x100, v0
	v_lshrrev_b32_e32 v1, s18, v1
	v_add_u32_e32 v1, s21, v1
	v_cmp_gt_u32_e32 vcc, s23, v1
	s_and_saveexec_b64 s[4:5], vcc
	s_cbranch_execz .LBB123_13
; %bb.10:
	v_add_u32_e32 v8, s19, v1
	v_mov_b32_e32 v9, 0
	v_lshlrev_b64 v[2:3], 2, v[8:9]
	v_mov_b32_e32 v1, s1
	v_add_co_u32_e32 v2, vcc, s0, v2
	v_addc_co_u32_e32 v3, vcc, v1, v3, vcc
	global_load_dword v2, v[2:3], off
	v_mov_b32_e32 v1, s9
	s_waitcnt vmcnt(0)
	v_ashrrev_i32_e32 v3, 31, v2
	v_lshlrev_b64 v[2:3], 3, v[2:3]
	v_add_co_u32_e32 v2, vcc, s8, v2
	v_addc_co_u32_e32 v3, vcc, v1, v3, vcc
	global_load_dwordx4 v[2:5], v[2:3], off
	s_waitcnt vmcnt(0)
	v_sub_co_u32_e32 v4, vcc, v4, v2
	v_subb_co_u32_e32 v5, vcc, v5, v3, vcc
	v_cmp_gt_i64_e32 vcc, v[4:5], v[6:7]
	s_and_saveexec_b64 s[6:7], vcc
	s_cbranch_execz .LBB123_12
; %bb.11:
	v_subrev_co_u32_e32 v1, vcc, s22, v2
	v_subbrev_co_u32_e32 v3, vcc, 0, v3, vcc
	v_add_co_u32_e32 v2, vcc, v1, v6
	v_addc_co_u32_e32 v3, vcc, 0, v3, vcc
	v_lshlrev_b64 v[4:5], 2, v[2:3]
	v_mov_b32_e32 v1, s11
	v_add_co_u32_e32 v4, vcc, s10, v4
	v_addc_co_u32_e32 v5, vcc, v1, v5, vcc
	global_load_dword v1, v[4:5], off
	v_lshlrev_b64 v[2:3], 1, v[2:3]
	v_mov_b32_e32 v4, s13
	v_add_co_u32_e32 v2, vcc, s12, v2
	v_addc_co_u32_e32 v3, vcc, v4, v3, vcc
	global_load_ushort v4, v[2:3], off
	v_mov_b32_e32 v5, s15
	s_waitcnt vmcnt(1)
	v_subrev_u32_e32 v2, s22, v1
	v_ashrrev_i32_e32 v3, 31, v2
	v_lshlrev_b64 v[2:3], 1, v[2:3]
	v_add_co_u32_e32 v2, vcc, s14, v2
	v_addc_co_u32_e32 v3, vcc, v5, v3, vcc
	global_load_ushort v1, v[2:3], off
	s_waitcnt vmcnt(1)
	v_cvt_f32_f16_e32 v2, v4
	v_mul_f32_e32 v2, s20, v2
	s_waitcnt vmcnt(0)
	v_cvt_f32_f16_e32 v1, v1
	v_mul_f32_e32 v9, v2, v1
.LBB123_12:
	s_or_b64 exec, exec, s[6:7]
	v_lshlrev_b32_e32 v1, 2, v0
	ds_write_b32 v1, v9 offset:1024
.LBB123_13:
	s_or_b64 exec, exec, s[4:5]
	v_or_b32_e32 v1, 0x200, v0
	v_lshrrev_b32_e32 v1, s18, v1
	v_add_u32_e32 v1, s21, v1
	v_cmp_gt_u32_e32 vcc, s23, v1
	s_and_saveexec_b64 s[4:5], vcc
	s_cbranch_execz .LBB123_17
; %bb.14:
	v_add_u32_e32 v8, s19, v1
	v_mov_b32_e32 v9, 0
	v_lshlrev_b64 v[2:3], 2, v[8:9]
	v_mov_b32_e32 v1, s1
	v_add_co_u32_e32 v2, vcc, s0, v2
	v_addc_co_u32_e32 v3, vcc, v1, v3, vcc
	global_load_dword v2, v[2:3], off
	v_mov_b32_e32 v1, s9
	s_waitcnt vmcnt(0)
	v_ashrrev_i32_e32 v3, 31, v2
	v_lshlrev_b64 v[2:3], 3, v[2:3]
	v_add_co_u32_e32 v2, vcc, s8, v2
	v_addc_co_u32_e32 v3, vcc, v1, v3, vcc
	global_load_dwordx4 v[2:5], v[2:3], off
	s_waitcnt vmcnt(0)
	v_sub_co_u32_e32 v4, vcc, v4, v2
	v_subb_co_u32_e32 v5, vcc, v5, v3, vcc
	v_cmp_gt_i64_e32 vcc, v[4:5], v[6:7]
	s_and_saveexec_b64 s[6:7], vcc
	s_cbranch_execz .LBB123_16
; %bb.15:
	v_subrev_co_u32_e32 v1, vcc, s22, v2
	v_subbrev_co_u32_e32 v3, vcc, 0, v3, vcc
	v_add_co_u32_e32 v2, vcc, v1, v6
	v_addc_co_u32_e32 v3, vcc, 0, v3, vcc
	v_lshlrev_b64 v[4:5], 2, v[2:3]
	v_mov_b32_e32 v1, s11
	v_add_co_u32_e32 v4, vcc, s10, v4
	v_addc_co_u32_e32 v5, vcc, v1, v5, vcc
	global_load_dword v1, v[4:5], off
	v_lshlrev_b64 v[2:3], 1, v[2:3]
	v_mov_b32_e32 v4, s13
	v_add_co_u32_e32 v2, vcc, s12, v2
	v_addc_co_u32_e32 v3, vcc, v4, v3, vcc
	global_load_ushort v4, v[2:3], off
	v_mov_b32_e32 v5, s15
	s_waitcnt vmcnt(1)
	v_subrev_u32_e32 v2, s22, v1
	v_ashrrev_i32_e32 v3, 31, v2
	v_lshlrev_b64 v[2:3], 1, v[2:3]
	v_add_co_u32_e32 v2, vcc, s14, v2
	v_addc_co_u32_e32 v3, vcc, v5, v3, vcc
	global_load_ushort v1, v[2:3], off
	s_waitcnt vmcnt(1)
	v_cvt_f32_f16_e32 v2, v4
	v_mul_f32_e32 v2, s20, v2
	s_waitcnt vmcnt(0)
	v_cvt_f32_f16_e32 v1, v1
	v_mul_f32_e32 v9, v2, v1
.LBB123_16:
	s_or_b64 exec, exec, s[6:7]
	v_lshlrev_b32_e32 v1, 2, v0
	ds_write_b32 v1, v9 offset:2048
.LBB123_17:
	;; [unrolled: 62-line block ×3, first 2 shown]
	s_or_b64 exec, exec, s[4:5]
	s_cmp_lt_u32 s18, 11
	s_waitcnt lgkmcnt(0)
	s_barrier
	s_cbranch_scc0 .LBB123_30
; %bb.22:
	s_sub_i32 s8, s23, s21
	s_add_i32 s19, s19, s21
	s_mov_b32 s9, 0
	v_cmp_neq_f32_e64 s[4:5], s16, 0
	v_mov_b32_e32 v3, 0
	s_branch .LBB123_25
.LBB123_23:                             ;   in Loop: Header=BB123_25 Depth=1
	v_mov_b32_e32 v2, s3
	v_add_co_u32_e32 v4, vcc, s2, v4
	v_addc_co_u32_e32 v5, vcc, v2, v5, vcc
	global_store_dword v[4:5], v1, off
.LBB123_24:                             ;   in Loop: Header=BB123_25 Depth=1
	s_or_b64 exec, exec, s[6:7]
	s_addk_i32 s9, 0x100
	s_cmp_lt_u32 s9, s17
	s_cbranch_scc0 .LBB123_30
.LBB123_25:                             ; =>This Loop Header: Depth=1
                                        ;     Child Loop BB123_27 Depth 2
	v_add_u32_e32 v1, s9, v0
	v_cmp_gt_u32_e32 vcc, s8, v1
	s_and_saveexec_b64 s[6:7], vcc
	s_cbranch_execz .LBB123_24
; %bb.26:                               ;   in Loop: Header=BB123_25 Depth=1
	v_add_u32_e32 v2, s19, v1
	v_lshlrev_b64 v[4:5], 2, v[2:3]
	v_mov_b32_e32 v2, s1
	v_add_co_u32_e32 v4, vcc, s0, v4
	v_addc_co_u32_e32 v5, vcc, v2, v5, vcc
	global_load_dword v4, v[4:5], off
	v_lshlrev_b32_e32 v1, s18, v1
	v_lshlrev_b32_e32 v2, 2, v1
	s_mov_b32 s10, 1
	v_mov_b32_e32 v1, 0
.LBB123_27:                             ;   Parent Loop BB123_25 Depth=1
                                        ; =>  This Inner Loop Header: Depth=2
	ds_read_b32 v5, v2
	s_lshr_b32 s11, s10, s18
	s_add_i32 s10, s10, 1
	v_add_u32_e32 v2, 4, v2
	s_cmp_lg_u32 s11, 0
	s_waitcnt lgkmcnt(0)
	v_add_f32_e32 v1, v1, v5
	s_cbranch_scc0 .LBB123_27
; %bb.28:                               ;   in Loop: Header=BB123_25 Depth=1
	s_waitcnt vmcnt(0)
	v_ashrrev_i32_e32 v5, 31, v4
	s_and_b64 vcc, exec, s[4:5]
	v_lshlrev_b64 v[4:5], 2, v[4:5]
	s_cbranch_vccz .LBB123_23
; %bb.29:                               ;   in Loop: Header=BB123_25 Depth=1
	v_mov_b32_e32 v2, s3
	v_add_co_u32_e32 v6, vcc, s2, v4
	v_addc_co_u32_e32 v7, vcc, v2, v5, vcc
	global_load_dword v2, v[6:7], off
	s_waitcnt vmcnt(0)
	v_fmac_f32_e32 v1, s16, v2
	s_branch .LBB123_23
.LBB123_30:
	s_endpgm
	.section	.rodata,"a",@progbits
	.p2align	6, 0x0
	.amdhsa_kernel _ZN9rocsparseL30csrmvn_lrb_short_rows_2_kernelIliDF16_DF16_ffEEvbT_PT0_S3_jNS_24const_host_device_scalarIT4_EEPKS1_PKS2_PKT1_PKT2_S6_PT3_21rocsparse_index_base_b
		.amdhsa_group_segment_fixed_size 4096
		.amdhsa_private_segment_fixed_size 0
		.amdhsa_kernarg_size 104
		.amdhsa_user_sgpr_count 6
		.amdhsa_user_sgpr_private_segment_buffer 1
		.amdhsa_user_sgpr_dispatch_ptr 0
		.amdhsa_user_sgpr_queue_ptr 0
		.amdhsa_user_sgpr_kernarg_segment_ptr 1
		.amdhsa_user_sgpr_dispatch_id 0
		.amdhsa_user_sgpr_flat_scratch_init 0
		.amdhsa_user_sgpr_kernarg_preload_length 0
		.amdhsa_user_sgpr_kernarg_preload_offset 0
		.amdhsa_user_sgpr_private_segment_size 0
		.amdhsa_uses_dynamic_stack 0
		.amdhsa_system_sgpr_private_segment_wavefront_offset 0
		.amdhsa_system_sgpr_workgroup_id_x 1
		.amdhsa_system_sgpr_workgroup_id_y 0
		.amdhsa_system_sgpr_workgroup_id_z 0
		.amdhsa_system_sgpr_workgroup_info 0
		.amdhsa_system_vgpr_workitem_id 0
		.amdhsa_next_free_vgpr 10
		.amdhsa_next_free_sgpr 28
		.amdhsa_accum_offset 12
		.amdhsa_reserve_vcc 1
		.amdhsa_reserve_flat_scratch 0
		.amdhsa_float_round_mode_32 0
		.amdhsa_float_round_mode_16_64 0
		.amdhsa_float_denorm_mode_32 3
		.amdhsa_float_denorm_mode_16_64 3
		.amdhsa_dx10_clamp 1
		.amdhsa_ieee_mode 1
		.amdhsa_fp16_overflow 0
		.amdhsa_tg_split 0
		.amdhsa_exception_fp_ieee_invalid_op 0
		.amdhsa_exception_fp_denorm_src 0
		.amdhsa_exception_fp_ieee_div_zero 0
		.amdhsa_exception_fp_ieee_overflow 0
		.amdhsa_exception_fp_ieee_underflow 0
		.amdhsa_exception_fp_ieee_inexact 0
		.amdhsa_exception_int_div_zero 0
	.end_amdhsa_kernel
	.section	.text._ZN9rocsparseL30csrmvn_lrb_short_rows_2_kernelIliDF16_DF16_ffEEvbT_PT0_S3_jNS_24const_host_device_scalarIT4_EEPKS1_PKS2_PKT1_PKT2_S6_PT3_21rocsparse_index_base_b,"axG",@progbits,_ZN9rocsparseL30csrmvn_lrb_short_rows_2_kernelIliDF16_DF16_ffEEvbT_PT0_S3_jNS_24const_host_device_scalarIT4_EEPKS1_PKS2_PKT1_PKT2_S6_PT3_21rocsparse_index_base_b,comdat
.Lfunc_end123:
	.size	_ZN9rocsparseL30csrmvn_lrb_short_rows_2_kernelIliDF16_DF16_ffEEvbT_PT0_S3_jNS_24const_host_device_scalarIT4_EEPKS1_PKS2_PKT1_PKT2_S6_PT3_21rocsparse_index_base_b, .Lfunc_end123-_ZN9rocsparseL30csrmvn_lrb_short_rows_2_kernelIliDF16_DF16_ffEEvbT_PT0_S3_jNS_24const_host_device_scalarIT4_EEPKS1_PKS2_PKT1_PKT2_S6_PT3_21rocsparse_index_base_b
                                        ; -- End function
	.section	.AMDGPU.csdata,"",@progbits
; Kernel info:
; codeLenInByte = 1588
; NumSgprs: 32
; NumVgprs: 10
; NumAgprs: 0
; TotalNumVgprs: 10
; ScratchSize: 0
; MemoryBound: 0
; FloatMode: 240
; IeeeMode: 1
; LDSByteSize: 4096 bytes/workgroup (compile time only)
; SGPRBlocks: 3
; VGPRBlocks: 1
; NumSGPRsForWavesPerEU: 32
; NumVGPRsForWavesPerEU: 10
; AccumOffset: 12
; Occupancy: 8
; WaveLimiterHint : 1
; COMPUTE_PGM_RSRC2:SCRATCH_EN: 0
; COMPUTE_PGM_RSRC2:USER_SGPR: 6
; COMPUTE_PGM_RSRC2:TRAP_HANDLER: 0
; COMPUTE_PGM_RSRC2:TGID_X_EN: 1
; COMPUTE_PGM_RSRC2:TGID_Y_EN: 0
; COMPUTE_PGM_RSRC2:TGID_Z_EN: 0
; COMPUTE_PGM_RSRC2:TIDIG_COMP_CNT: 0
; COMPUTE_PGM_RSRC3_GFX90A:ACCUM_OFFSET: 2
; COMPUTE_PGM_RSRC3_GFX90A:TG_SPLIT: 0
	.section	.text._ZN9rocsparseL41csrmvn_lrb_medium_rows_warp_reduce_kernelILj256ELj32EliDF16_DF16_ffEEvbT1_lPT2_S3_jNS_24const_host_device_scalarIT6_EEPKS1_PKS2_PKT3_PKT4_S6_PT5_21rocsparse_index_base_b,"axG",@progbits,_ZN9rocsparseL41csrmvn_lrb_medium_rows_warp_reduce_kernelILj256ELj32EliDF16_DF16_ffEEvbT1_lPT2_S3_jNS_24const_host_device_scalarIT6_EEPKS1_PKS2_PKT3_PKT4_S6_PT5_21rocsparse_index_base_b,comdat
	.globl	_ZN9rocsparseL41csrmvn_lrb_medium_rows_warp_reduce_kernelILj256ELj32EliDF16_DF16_ffEEvbT1_lPT2_S3_jNS_24const_host_device_scalarIT6_EEPKS1_PKS2_PKT3_PKT4_S6_PT5_21rocsparse_index_base_b ; -- Begin function _ZN9rocsparseL41csrmvn_lrb_medium_rows_warp_reduce_kernelILj256ELj32EliDF16_DF16_ffEEvbT1_lPT2_S3_jNS_24const_host_device_scalarIT6_EEPKS1_PKS2_PKT3_PKT4_S6_PT5_21rocsparse_index_base_b
	.p2align	8
	.type	_ZN9rocsparseL41csrmvn_lrb_medium_rows_warp_reduce_kernelILj256ELj32EliDF16_DF16_ffEEvbT1_lPT2_S3_jNS_24const_host_device_scalarIT6_EEPKS1_PKS2_PKT3_PKT4_S6_PT5_21rocsparse_index_base_b,@function
_ZN9rocsparseL41csrmvn_lrb_medium_rows_warp_reduce_kernelILj256ELj32EliDF16_DF16_ffEEvbT1_lPT2_S3_jNS_24const_host_device_scalarIT6_EEPKS1_PKS2_PKT3_PKT4_S6_PT5_21rocsparse_index_base_b: ; @_ZN9rocsparseL41csrmvn_lrb_medium_rows_warp_reduce_kernelILj256ELj32EliDF16_DF16_ffEEvbT1_lPT2_S3_jNS_24const_host_device_scalarIT6_EEPKS1_PKS2_PKT3_PKT4_S6_PT5_21rocsparse_index_base_b
; %bb.0:
	s_load_dwordx2 s[2:3], s[4:5], 0x68
	s_load_dwordx2 s[8:9], s[4:5], 0x30
	;; [unrolled: 1-line block ×3, first 2 shown]
	s_waitcnt lgkmcnt(0)
	s_bitcmp1_b32 s3, 0
	s_cselect_b64 s[12:13], -1, 0
	s_xor_b64 s[10:11], s[12:13], -1
	s_and_b64 vcc, exec, s[12:13]
	s_cbranch_vccnz .LBB124_2
; %bb.1:
	s_load_dword s8, s[8:9], 0x0
.LBB124_2:
	s_andn2_b64 vcc, exec, s[10:11]
	s_cbranch_vccnz .LBB124_4
; %bb.3:
	s_load_dword s0, s[0:1], 0x0
.LBB124_4:
	s_waitcnt lgkmcnt(0)
	v_cmp_neq_f32_e64 s[10:11], s8, 0
	v_cmp_neq_f32_e64 s[12:13], s0, 1.0
	s_or_b64 s[10:11], s[10:11], s[12:13]
	s_andn2_b64 vcc, exec, s[10:11]
	s_cbranch_vccnz .LBB124_14
; %bb.5:
	s_load_dwordx2 s[10:11], s[4:5], 0x10
	v_lshrrev_b32_e32 v1, 5, v0
	v_lshl_or_b32 v2, s6, 3, v1
	v_ashrrev_i32_e32 v3, 31, v2
	s_waitcnt lgkmcnt(0)
	v_cmp_gt_i64_e32 vcc, s[10:11], v[2:3]
	s_and_saveexec_b64 s[6:7], vcc
	s_cbranch_execz .LBB124_14
; %bb.6:
	s_load_dword s6, s[4:5], 0x28
	s_load_dwordx4 s[12:15], s[4:5], 0x18
	s_mov_b32 s7, 0
	v_and_b32_e32 v10, 31, v0
	v_mov_b32_e32 v11, 0
	s_waitcnt lgkmcnt(0)
	s_lshl_b64 s[6:7], s[6:7], 2
	s_add_u32 s6, s14, s6
	s_addc_u32 s7, s15, s7
	s_load_dword s1, s[6:7], 0x0
	v_mov_b32_e32 v1, s13
	s_load_dwordx2 s[6:7], s[4:5], 0x38
	s_waitcnt lgkmcnt(0)
	v_add_u32_e32 v2, s1, v2
	v_ashrrev_i32_e32 v3, 31, v2
	v_lshlrev_b64 v[2:3], 2, v[2:3]
	v_add_co_u32_e32 v2, vcc, s12, v2
	v_addc_co_u32_e32 v3, vcc, v1, v3, vcc
	global_load_dword v2, v[2:3], off
	v_mov_b32_e32 v1, s7
	s_waitcnt vmcnt(0)
	v_ashrrev_i32_e32 v3, 31, v2
	v_lshlrev_b64 v[4:5], 3, v[2:3]
	v_add_co_u32_e32 v4, vcc, s6, v4
	v_addc_co_u32_e32 v5, vcc, v1, v5, vcc
	global_load_dwordx4 v[4:7], v[4:5], off
	v_subrev_co_u32_e32 v8, vcc, s2, v10
	s_load_dwordx2 s[6:7], s[4:5], 0x60
	v_subb_co_u32_e64 v9, s[10:11], 0, 0, vcc
	s_waitcnt vmcnt(0)
	v_subrev_co_u32_e32 v0, vcc, s2, v6
	v_subbrev_co_u32_e32 v1, vcc, 0, v7, vcc
	v_add_co_u32_e32 v4, vcc, v4, v8
	v_addc_co_u32_e32 v5, vcc, v5, v9, vcc
	v_cmp_lt_i64_e32 vcc, v[4:5], v[0:1]
	s_and_saveexec_b64 s[10:11], vcc
	s_cbranch_execz .LBB124_10
; %bb.7:
	s_load_dwordx4 s[16:19], s[4:5], 0x40
	s_load_dwordx2 s[12:13], s[4:5], 0x50
	v_lshlrev_b64 v[6:7], 1, v[4:5]
	s_mov_b64 s[4:5], 0
	s_waitcnt lgkmcnt(0)
	v_mov_b32_e32 v8, s19
	v_add_co_u32_e32 v6, vcc, s18, v6
	v_addc_co_u32_e32 v7, vcc, v8, v7, vcc
	v_lshlrev_b64 v[8:9], 2, v[4:5]
	v_mov_b32_e32 v11, s17
	v_add_co_u32_e32 v8, vcc, s16, v8
	v_addc_co_u32_e32 v9, vcc, v11, v9, vcc
	v_mov_b32_e32 v11, 0
	v_mov_b32_e32 v12, s13
.LBB124_8:                              ; =>This Inner Loop Header: Depth=1
	global_load_dword v13, v[8:9], off
	global_load_ushort v16, v[6:7], off
	s_waitcnt vmcnt(1)
	v_subrev_u32_e32 v14, s2, v13
	v_ashrrev_i32_e32 v15, 31, v14
	v_lshlrev_b64 v[14:15], 1, v[14:15]
	v_add_co_u32_e32 v14, vcc, s12, v14
	v_addc_co_u32_e32 v15, vcc, v12, v15, vcc
	global_load_ushort v13, v[14:15], off
	v_add_co_u32_e32 v4, vcc, 32, v4
	v_addc_co_u32_e32 v5, vcc, 0, v5, vcc
	v_add_co_u32_e32 v6, vcc, 64, v6
	s_waitcnt vmcnt(1)
	v_cvt_f32_f16_e32 v14, v16
	v_addc_co_u32_e32 v7, vcc, 0, v7, vcc
	v_add_co_u32_e32 v8, vcc, 0x80, v8
	v_addc_co_u32_e32 v9, vcc, 0, v9, vcc
	v_cmp_ge_i64_e32 vcc, v[4:5], v[0:1]
	v_mul_f32_e32 v14, s8, v14
	s_or_b64 s[4:5], vcc, s[4:5]
	s_waitcnt vmcnt(0)
	v_fma_mix_f32 v11, v14, v13, v11 op_sel_hi:[0,1,0]
	s_andn2_b64 exec, exec, s[4:5]
	s_cbranch_execnz .LBB124_8
; %bb.9:
	s_or_b64 exec, exec, s[4:5]
.LBB124_10:
	s_or_b64 exec, exec, s[10:11]
	v_mov_b32_dpp v0, v11 row_shr:1 row_mask:0xf bank_mask:0xf
	v_add_f32_e32 v0, v11, v0
	v_cmp_eq_u32_e32 vcc, 31, v10
	s_nop 0
	v_mov_b32_dpp v1, v0 row_shr:2 row_mask:0xf bank_mask:0xf
	v_add_f32_e32 v0, v0, v1
	s_nop 1
	v_mov_b32_dpp v1, v0 row_shr:4 row_mask:0xf bank_mask:0xe
	v_add_f32_e32 v0, v0, v1
	;; [unrolled: 3-line block ×3, first 2 shown]
	s_nop 1
	v_mov_b32_dpp v1, v0 row_bcast:15 row_mask:0xa bank_mask:0xf
	s_and_b64 exec, exec, vcc
	s_cbranch_execz .LBB124_14
; %bb.11:
	v_cmp_eq_f32_e64 s[2:3], s0, 0
	v_add_f32_e32 v4, v0, v1
	s_and_b64 vcc, exec, s[2:3]
	v_lshlrev_b64 v[0:1], 2, v[2:3]
	s_cbranch_vccnz .LBB124_13
; %bb.12:
	s_waitcnt lgkmcnt(0)
	v_mov_b32_e32 v3, s7
	v_add_co_u32_e32 v2, vcc, s6, v0
	v_addc_co_u32_e32 v3, vcc, v3, v1, vcc
	global_load_dword v2, v[2:3], off
	s_waitcnt vmcnt(0)
	v_fmac_f32_e32 v4, s0, v2
.LBB124_13:
	s_waitcnt lgkmcnt(0)
	v_mov_b32_e32 v2, s7
	v_add_co_u32_e32 v0, vcc, s6, v0
	v_addc_co_u32_e32 v1, vcc, v2, v1, vcc
	global_store_dword v[0:1], v4, off
.LBB124_14:
	s_endpgm
	.section	.rodata,"a",@progbits
	.p2align	6, 0x0
	.amdhsa_kernel _ZN9rocsparseL41csrmvn_lrb_medium_rows_warp_reduce_kernelILj256ELj32EliDF16_DF16_ffEEvbT1_lPT2_S3_jNS_24const_host_device_scalarIT6_EEPKS1_PKS2_PKT3_PKT4_S6_PT5_21rocsparse_index_base_b
		.amdhsa_group_segment_fixed_size 0
		.amdhsa_private_segment_fixed_size 0
		.amdhsa_kernarg_size 112
		.amdhsa_user_sgpr_count 6
		.amdhsa_user_sgpr_private_segment_buffer 1
		.amdhsa_user_sgpr_dispatch_ptr 0
		.amdhsa_user_sgpr_queue_ptr 0
		.amdhsa_user_sgpr_kernarg_segment_ptr 1
		.amdhsa_user_sgpr_dispatch_id 0
		.amdhsa_user_sgpr_flat_scratch_init 0
		.amdhsa_user_sgpr_kernarg_preload_length 0
		.amdhsa_user_sgpr_kernarg_preload_offset 0
		.amdhsa_user_sgpr_private_segment_size 0
		.amdhsa_uses_dynamic_stack 0
		.amdhsa_system_sgpr_private_segment_wavefront_offset 0
		.amdhsa_system_sgpr_workgroup_id_x 1
		.amdhsa_system_sgpr_workgroup_id_y 0
		.amdhsa_system_sgpr_workgroup_id_z 0
		.amdhsa_system_sgpr_workgroup_info 0
		.amdhsa_system_vgpr_workitem_id 0
		.amdhsa_next_free_vgpr 17
		.amdhsa_next_free_sgpr 20
		.amdhsa_accum_offset 20
		.amdhsa_reserve_vcc 1
		.amdhsa_reserve_flat_scratch 0
		.amdhsa_float_round_mode_32 0
		.amdhsa_float_round_mode_16_64 0
		.amdhsa_float_denorm_mode_32 3
		.amdhsa_float_denorm_mode_16_64 3
		.amdhsa_dx10_clamp 1
		.amdhsa_ieee_mode 1
		.amdhsa_fp16_overflow 0
		.amdhsa_tg_split 0
		.amdhsa_exception_fp_ieee_invalid_op 0
		.amdhsa_exception_fp_denorm_src 0
		.amdhsa_exception_fp_ieee_div_zero 0
		.amdhsa_exception_fp_ieee_overflow 0
		.amdhsa_exception_fp_ieee_underflow 0
		.amdhsa_exception_fp_ieee_inexact 0
		.amdhsa_exception_int_div_zero 0
	.end_amdhsa_kernel
	.section	.text._ZN9rocsparseL41csrmvn_lrb_medium_rows_warp_reduce_kernelILj256ELj32EliDF16_DF16_ffEEvbT1_lPT2_S3_jNS_24const_host_device_scalarIT6_EEPKS1_PKS2_PKT3_PKT4_S6_PT5_21rocsparse_index_base_b,"axG",@progbits,_ZN9rocsparseL41csrmvn_lrb_medium_rows_warp_reduce_kernelILj256ELj32EliDF16_DF16_ffEEvbT1_lPT2_S3_jNS_24const_host_device_scalarIT6_EEPKS1_PKS2_PKT3_PKT4_S6_PT5_21rocsparse_index_base_b,comdat
.Lfunc_end124:
	.size	_ZN9rocsparseL41csrmvn_lrb_medium_rows_warp_reduce_kernelILj256ELj32EliDF16_DF16_ffEEvbT1_lPT2_S3_jNS_24const_host_device_scalarIT6_EEPKS1_PKS2_PKT3_PKT4_S6_PT5_21rocsparse_index_base_b, .Lfunc_end124-_ZN9rocsparseL41csrmvn_lrb_medium_rows_warp_reduce_kernelILj256ELj32EliDF16_DF16_ffEEvbT1_lPT2_S3_jNS_24const_host_device_scalarIT6_EEPKS1_PKS2_PKT3_PKT4_S6_PT5_21rocsparse_index_base_b
                                        ; -- End function
	.section	.AMDGPU.csdata,"",@progbits
; Kernel info:
; codeLenInByte = 704
; NumSgprs: 24
; NumVgprs: 17
; NumAgprs: 0
; TotalNumVgprs: 17
; ScratchSize: 0
; MemoryBound: 0
; FloatMode: 240
; IeeeMode: 1
; LDSByteSize: 0 bytes/workgroup (compile time only)
; SGPRBlocks: 2
; VGPRBlocks: 2
; NumSGPRsForWavesPerEU: 24
; NumVGPRsForWavesPerEU: 17
; AccumOffset: 20
; Occupancy: 8
; WaveLimiterHint : 1
; COMPUTE_PGM_RSRC2:SCRATCH_EN: 0
; COMPUTE_PGM_RSRC2:USER_SGPR: 6
; COMPUTE_PGM_RSRC2:TRAP_HANDLER: 0
; COMPUTE_PGM_RSRC2:TGID_X_EN: 1
; COMPUTE_PGM_RSRC2:TGID_Y_EN: 0
; COMPUTE_PGM_RSRC2:TGID_Z_EN: 0
; COMPUTE_PGM_RSRC2:TIDIG_COMP_CNT: 0
; COMPUTE_PGM_RSRC3_GFX90A:ACCUM_OFFSET: 4
; COMPUTE_PGM_RSRC3_GFX90A:TG_SPLIT: 0
	.section	.text._ZN9rocsparseL41csrmvn_lrb_medium_rows_warp_reduce_kernelILj256ELj64EliDF16_DF16_ffEEvbT1_lPT2_S3_jNS_24const_host_device_scalarIT6_EEPKS1_PKS2_PKT3_PKT4_S6_PT5_21rocsparse_index_base_b,"axG",@progbits,_ZN9rocsparseL41csrmvn_lrb_medium_rows_warp_reduce_kernelILj256ELj64EliDF16_DF16_ffEEvbT1_lPT2_S3_jNS_24const_host_device_scalarIT6_EEPKS1_PKS2_PKT3_PKT4_S6_PT5_21rocsparse_index_base_b,comdat
	.globl	_ZN9rocsparseL41csrmvn_lrb_medium_rows_warp_reduce_kernelILj256ELj64EliDF16_DF16_ffEEvbT1_lPT2_S3_jNS_24const_host_device_scalarIT6_EEPKS1_PKS2_PKT3_PKT4_S6_PT5_21rocsparse_index_base_b ; -- Begin function _ZN9rocsparseL41csrmvn_lrb_medium_rows_warp_reduce_kernelILj256ELj64EliDF16_DF16_ffEEvbT1_lPT2_S3_jNS_24const_host_device_scalarIT6_EEPKS1_PKS2_PKT3_PKT4_S6_PT5_21rocsparse_index_base_b
	.p2align	8
	.type	_ZN9rocsparseL41csrmvn_lrb_medium_rows_warp_reduce_kernelILj256ELj64EliDF16_DF16_ffEEvbT1_lPT2_S3_jNS_24const_host_device_scalarIT6_EEPKS1_PKS2_PKT3_PKT4_S6_PT5_21rocsparse_index_base_b,@function
_ZN9rocsparseL41csrmvn_lrb_medium_rows_warp_reduce_kernelILj256ELj64EliDF16_DF16_ffEEvbT1_lPT2_S3_jNS_24const_host_device_scalarIT6_EEPKS1_PKS2_PKT3_PKT4_S6_PT5_21rocsparse_index_base_b: ; @_ZN9rocsparseL41csrmvn_lrb_medium_rows_warp_reduce_kernelILj256ELj64EliDF16_DF16_ffEEvbT1_lPT2_S3_jNS_24const_host_device_scalarIT6_EEPKS1_PKS2_PKT3_PKT4_S6_PT5_21rocsparse_index_base_b
; %bb.0:
	s_load_dwordx2 s[8:9], s[4:5], 0x68
	s_load_dwordx2 s[10:11], s[4:5], 0x30
	;; [unrolled: 1-line block ×3, first 2 shown]
	s_waitcnt lgkmcnt(0)
	s_bitcmp1_b32 s9, 0
	s_cselect_b64 s[12:13], -1, 0
	s_xor_b64 s[0:1], s[12:13], -1
	s_and_b64 vcc, exec, s[12:13]
	s_cbranch_vccnz .LBB125_2
; %bb.1:
	s_load_dword s10, s[10:11], 0x0
.LBB125_2:
	s_andn2_b64 vcc, exec, s[0:1]
	s_cbranch_vccnz .LBB125_4
; %bb.3:
	s_load_dword s2, s[2:3], 0x0
.LBB125_4:
	s_waitcnt lgkmcnt(0)
	v_cmp_neq_f32_e64 s[0:1], s10, 0
	v_cmp_neq_f32_e64 s[12:13], s2, 1.0
	s_or_b64 s[0:1], s[0:1], s[12:13]
	s_andn2_b64 vcc, exec, s[0:1]
	s_cbranch_vccnz .LBB125_14
; %bb.5:
	s_load_dwordx2 s[0:1], s[4:5], 0x10
	v_lshrrev_b32_e32 v1, 6, v0
	v_lshl_or_b32 v2, s6, 2, v1
	v_ashrrev_i32_e32 v3, 31, v2
	s_waitcnt lgkmcnt(0)
	v_cmp_gt_i64_e32 vcc, s[0:1], v[2:3]
	s_and_saveexec_b64 s[0:1], vcc
	s_cbranch_execz .LBB125_14
; %bb.6:
	s_load_dword s0, s[4:5], 0x28
	s_load_dwordx4 s[12:15], s[4:5], 0x18
	s_mov_b32 s1, 0
	v_and_b32_e32 v10, 63, v0
	v_mov_b32_e32 v11, 0
	s_waitcnt lgkmcnt(0)
	s_lshl_b64 s[0:1], s[0:1], 2
	s_add_u32 s0, s14, s0
	s_addc_u32 s1, s15, s1
	s_load_dword s0, s[0:1], 0x0
	v_mov_b32_e32 v1, s13
	s_load_dwordx2 s[6:7], s[4:5], 0x60
	s_waitcnt lgkmcnt(0)
	v_add_u32_e32 v2, s0, v2
	v_ashrrev_i32_e32 v3, 31, v2
	v_lshlrev_b64 v[2:3], 2, v[2:3]
	v_add_co_u32_e32 v2, vcc, s12, v2
	v_addc_co_u32_e32 v3, vcc, v1, v3, vcc
	global_load_dword v2, v[2:3], off
	s_load_dwordx2 s[0:1], s[4:5], 0x38
	s_waitcnt lgkmcnt(0)
	v_mov_b32_e32 v1, s1
	s_waitcnt vmcnt(0)
	v_ashrrev_i32_e32 v3, 31, v2
	v_lshlrev_b64 v[4:5], 3, v[2:3]
	v_add_co_u32_e32 v4, vcc, s0, v4
	v_addc_co_u32_e32 v5, vcc, v1, v5, vcc
	global_load_dwordx4 v[4:7], v[4:5], off
	v_subrev_co_u32_e32 v8, vcc, s8, v10
	v_subb_co_u32_e64 v9, s[0:1], 0, 0, vcc
	s_waitcnt vmcnt(0)
	v_subrev_co_u32_e32 v0, vcc, s8, v6
	v_subbrev_co_u32_e32 v1, vcc, 0, v7, vcc
	v_add_co_u32_e32 v4, vcc, v4, v8
	v_addc_co_u32_e32 v5, vcc, v5, v9, vcc
	v_cmp_lt_i64_e32 vcc, v[4:5], v[0:1]
	s_and_saveexec_b64 s[12:13], vcc
	s_cbranch_execz .LBB125_10
; %bb.7:
	s_load_dwordx4 s[16:19], s[4:5], 0x40
	s_load_dwordx2 s[14:15], s[4:5], 0x50
	v_lshlrev_b64 v[6:7], 1, v[4:5]
	s_mov_b64 s[4:5], 0
	s_waitcnt lgkmcnt(0)
	v_mov_b32_e32 v8, s19
	v_add_co_u32_e32 v6, vcc, s18, v6
	v_addc_co_u32_e32 v7, vcc, v8, v7, vcc
	v_lshlrev_b64 v[8:9], 2, v[4:5]
	v_mov_b32_e32 v11, s17
	v_add_co_u32_e32 v8, vcc, s16, v8
	v_addc_co_u32_e32 v9, vcc, v11, v9, vcc
	v_mov_b32_e32 v11, 0
	v_mov_b32_e32 v12, s15
.LBB125_8:                              ; =>This Inner Loop Header: Depth=1
	global_load_dword v13, v[8:9], off
	global_load_ushort v16, v[6:7], off
	s_waitcnt vmcnt(1)
	v_subrev_u32_e32 v14, s8, v13
	v_ashrrev_i32_e32 v15, 31, v14
	v_lshlrev_b64 v[14:15], 1, v[14:15]
	v_add_co_u32_e32 v14, vcc, s14, v14
	v_addc_co_u32_e32 v15, vcc, v12, v15, vcc
	global_load_ushort v13, v[14:15], off
	v_add_co_u32_e32 v4, vcc, 64, v4
	s_waitcnt vmcnt(1)
	v_cvt_f32_f16_e32 v14, v16
	v_addc_co_u32_e32 v5, vcc, 0, v5, vcc
	v_add_co_u32_e32 v6, vcc, 0x80, v6
	v_addc_co_u32_e32 v7, vcc, 0, v7, vcc
	v_add_co_u32_e32 v8, vcc, 0x100, v8
	v_cmp_ge_i64_e64 s[0:1], v[4:5], v[0:1]
	v_mul_f32_e32 v14, s10, v14
	v_addc_co_u32_e32 v9, vcc, 0, v9, vcc
	s_or_b64 s[4:5], s[0:1], s[4:5]
	s_waitcnt vmcnt(0)
	v_fma_mix_f32 v11, v14, v13, v11 op_sel_hi:[0,1,0]
	s_andn2_b64 exec, exec, s[4:5]
	s_cbranch_execnz .LBB125_8
; %bb.9:
	s_or_b64 exec, exec, s[4:5]
.LBB125_10:
	s_or_b64 exec, exec, s[12:13]
	v_mov_b32_dpp v0, v11 row_shr:1 row_mask:0xf bank_mask:0xf
	v_add_f32_e32 v0, v11, v0
	v_cmp_eq_u32_e32 vcc, 63, v10
	s_nop 0
	v_mov_b32_dpp v1, v0 row_shr:2 row_mask:0xf bank_mask:0xf
	v_add_f32_e32 v0, v0, v1
	s_nop 1
	v_mov_b32_dpp v1, v0 row_shr:4 row_mask:0xf bank_mask:0xe
	v_add_f32_e32 v0, v0, v1
	;; [unrolled: 3-line block ×3, first 2 shown]
	s_nop 1
	v_mov_b32_dpp v1, v0 row_bcast:15 row_mask:0xa bank_mask:0xf
	v_add_f32_e32 v0, v0, v1
	s_nop 1
	v_mov_b32_dpp v1, v0 row_bcast:31 row_mask:0xc bank_mask:0xf
	s_and_b64 exec, exec, vcc
	s_cbranch_execz .LBB125_14
; %bb.11:
	v_cmp_eq_f32_e64 s[0:1], s2, 0
	v_add_f32_e32 v4, v0, v1
	s_and_b64 vcc, exec, s[0:1]
	v_lshlrev_b64 v[0:1], 2, v[2:3]
	s_cbranch_vccnz .LBB125_13
; %bb.12:
	v_mov_b32_e32 v3, s7
	v_add_co_u32_e32 v2, vcc, s6, v0
	v_addc_co_u32_e32 v3, vcc, v3, v1, vcc
	global_load_dword v2, v[2:3], off
	s_waitcnt vmcnt(0)
	v_fmac_f32_e32 v4, s2, v2
.LBB125_13:
	v_mov_b32_e32 v2, s7
	v_add_co_u32_e32 v0, vcc, s6, v0
	v_addc_co_u32_e32 v1, vcc, v2, v1, vcc
	global_store_dword v[0:1], v4, off
.LBB125_14:
	s_endpgm
	.section	.rodata,"a",@progbits
	.p2align	6, 0x0
	.amdhsa_kernel _ZN9rocsparseL41csrmvn_lrb_medium_rows_warp_reduce_kernelILj256ELj64EliDF16_DF16_ffEEvbT1_lPT2_S3_jNS_24const_host_device_scalarIT6_EEPKS1_PKS2_PKT3_PKT4_S6_PT5_21rocsparse_index_base_b
		.amdhsa_group_segment_fixed_size 0
		.amdhsa_private_segment_fixed_size 0
		.amdhsa_kernarg_size 112
		.amdhsa_user_sgpr_count 6
		.amdhsa_user_sgpr_private_segment_buffer 1
		.amdhsa_user_sgpr_dispatch_ptr 0
		.amdhsa_user_sgpr_queue_ptr 0
		.amdhsa_user_sgpr_kernarg_segment_ptr 1
		.amdhsa_user_sgpr_dispatch_id 0
		.amdhsa_user_sgpr_flat_scratch_init 0
		.amdhsa_user_sgpr_kernarg_preload_length 0
		.amdhsa_user_sgpr_kernarg_preload_offset 0
		.amdhsa_user_sgpr_private_segment_size 0
		.amdhsa_uses_dynamic_stack 0
		.amdhsa_system_sgpr_private_segment_wavefront_offset 0
		.amdhsa_system_sgpr_workgroup_id_x 1
		.amdhsa_system_sgpr_workgroup_id_y 0
		.amdhsa_system_sgpr_workgroup_id_z 0
		.amdhsa_system_sgpr_workgroup_info 0
		.amdhsa_system_vgpr_workitem_id 0
		.amdhsa_next_free_vgpr 17
		.amdhsa_next_free_sgpr 20
		.amdhsa_accum_offset 20
		.amdhsa_reserve_vcc 1
		.amdhsa_reserve_flat_scratch 0
		.amdhsa_float_round_mode_32 0
		.amdhsa_float_round_mode_16_64 0
		.amdhsa_float_denorm_mode_32 3
		.amdhsa_float_denorm_mode_16_64 3
		.amdhsa_dx10_clamp 1
		.amdhsa_ieee_mode 1
		.amdhsa_fp16_overflow 0
		.amdhsa_tg_split 0
		.amdhsa_exception_fp_ieee_invalid_op 0
		.amdhsa_exception_fp_denorm_src 0
		.amdhsa_exception_fp_ieee_div_zero 0
		.amdhsa_exception_fp_ieee_overflow 0
		.amdhsa_exception_fp_ieee_underflow 0
		.amdhsa_exception_fp_ieee_inexact 0
		.amdhsa_exception_int_div_zero 0
	.end_amdhsa_kernel
	.section	.text._ZN9rocsparseL41csrmvn_lrb_medium_rows_warp_reduce_kernelILj256ELj64EliDF16_DF16_ffEEvbT1_lPT2_S3_jNS_24const_host_device_scalarIT6_EEPKS1_PKS2_PKT3_PKT4_S6_PT5_21rocsparse_index_base_b,"axG",@progbits,_ZN9rocsparseL41csrmvn_lrb_medium_rows_warp_reduce_kernelILj256ELj64EliDF16_DF16_ffEEvbT1_lPT2_S3_jNS_24const_host_device_scalarIT6_EEPKS1_PKS2_PKT3_PKT4_S6_PT5_21rocsparse_index_base_b,comdat
.Lfunc_end125:
	.size	_ZN9rocsparseL41csrmvn_lrb_medium_rows_warp_reduce_kernelILj256ELj64EliDF16_DF16_ffEEvbT1_lPT2_S3_jNS_24const_host_device_scalarIT6_EEPKS1_PKS2_PKT3_PKT4_S6_PT5_21rocsparse_index_base_b, .Lfunc_end125-_ZN9rocsparseL41csrmvn_lrb_medium_rows_warp_reduce_kernelILj256ELj64EliDF16_DF16_ffEEvbT1_lPT2_S3_jNS_24const_host_device_scalarIT6_EEPKS1_PKS2_PKT3_PKT4_S6_PT5_21rocsparse_index_base_b
                                        ; -- End function
	.section	.AMDGPU.csdata,"",@progbits
; Kernel info:
; codeLenInByte = 724
; NumSgprs: 24
; NumVgprs: 17
; NumAgprs: 0
; TotalNumVgprs: 17
; ScratchSize: 0
; MemoryBound: 0
; FloatMode: 240
; IeeeMode: 1
; LDSByteSize: 0 bytes/workgroup (compile time only)
; SGPRBlocks: 2
; VGPRBlocks: 2
; NumSGPRsForWavesPerEU: 24
; NumVGPRsForWavesPerEU: 17
; AccumOffset: 20
; Occupancy: 8
; WaveLimiterHint : 1
; COMPUTE_PGM_RSRC2:SCRATCH_EN: 0
; COMPUTE_PGM_RSRC2:USER_SGPR: 6
; COMPUTE_PGM_RSRC2:TRAP_HANDLER: 0
; COMPUTE_PGM_RSRC2:TGID_X_EN: 1
; COMPUTE_PGM_RSRC2:TGID_Y_EN: 0
; COMPUTE_PGM_RSRC2:TGID_Z_EN: 0
; COMPUTE_PGM_RSRC2:TIDIG_COMP_CNT: 0
; COMPUTE_PGM_RSRC3_GFX90A:ACCUM_OFFSET: 4
; COMPUTE_PGM_RSRC3_GFX90A:TG_SPLIT: 0
	.section	.text._ZN9rocsparseL29csrmvn_lrb_medium_rows_kernelILj256EliDF16_DF16_ffEEvbT0_PT1_S3_jNS_24const_host_device_scalarIT5_EEPKS1_PKS2_PKT2_PKT3_S6_PT4_21rocsparse_index_base_b,"axG",@progbits,_ZN9rocsparseL29csrmvn_lrb_medium_rows_kernelILj256EliDF16_DF16_ffEEvbT0_PT1_S3_jNS_24const_host_device_scalarIT5_EEPKS1_PKS2_PKT2_PKT3_S6_PT4_21rocsparse_index_base_b,comdat
	.globl	_ZN9rocsparseL29csrmvn_lrb_medium_rows_kernelILj256EliDF16_DF16_ffEEvbT0_PT1_S3_jNS_24const_host_device_scalarIT5_EEPKS1_PKS2_PKT2_PKT3_S6_PT4_21rocsparse_index_base_b ; -- Begin function _ZN9rocsparseL29csrmvn_lrb_medium_rows_kernelILj256EliDF16_DF16_ffEEvbT0_PT1_S3_jNS_24const_host_device_scalarIT5_EEPKS1_PKS2_PKT2_PKT3_S6_PT4_21rocsparse_index_base_b
	.p2align	8
	.type	_ZN9rocsparseL29csrmvn_lrb_medium_rows_kernelILj256EliDF16_DF16_ffEEvbT0_PT1_S3_jNS_24const_host_device_scalarIT5_EEPKS1_PKS2_PKT2_PKT3_S6_PT4_21rocsparse_index_base_b,@function
_ZN9rocsparseL29csrmvn_lrb_medium_rows_kernelILj256EliDF16_DF16_ffEEvbT0_PT1_S3_jNS_24const_host_device_scalarIT5_EEPKS1_PKS2_PKT2_PKT3_S6_PT4_21rocsparse_index_base_b: ; @_ZN9rocsparseL29csrmvn_lrb_medium_rows_kernelILj256EliDF16_DF16_ffEEvbT0_PT1_S3_jNS_24const_host_device_scalarIT5_EEPKS1_PKS2_PKT2_PKT3_S6_PT4_21rocsparse_index_base_b
; %bb.0:
	s_load_dwordx2 s[10:11], s[4:5], 0x60
	s_load_dwordx2 s[12:13], s[4:5], 0x28
	s_load_dwordx2 s[2:3], s[4:5], 0x50
	s_waitcnt lgkmcnt(0)
	s_bitcmp1_b32 s11, 0
	s_cselect_b64 s[8:9], -1, 0
	s_xor_b64 s[0:1], s[8:9], -1
	s_and_b64 vcc, exec, s[8:9]
	s_cbranch_vccnz .LBB126_2
; %bb.1:
	s_load_dword s12, s[12:13], 0x0
.LBB126_2:
	s_andn2_b64 vcc, exec, s[0:1]
	s_cbranch_vccnz .LBB126_4
; %bb.3:
	s_load_dword s2, s[2:3], 0x0
.LBB126_4:
	s_waitcnt lgkmcnt(0)
	v_cmp_neq_f32_e64 s[0:1], s12, 0
	v_cmp_neq_f32_e64 s[8:9], s2, 1.0
	s_or_b64 s[0:1], s[0:1], s[8:9]
	s_andn2_b64 vcc, exec, s[0:1]
	s_mov_b32 s1, 0
	s_cbranch_vccnz .LBB126_29
; %bb.5:
	s_load_dword s0, s[4:5], 0x20
	s_load_dwordx4 s[16:19], s[4:5], 0x10
	v_subrev_co_u32_e32 v1, vcc, s10, v0
	v_mov_b32_e32 v8, 0
	s_waitcnt lgkmcnt(0)
	s_lshl_b64 s[0:1], s[0:1], 2
	s_add_u32 s0, s18, s0
	s_addc_u32 s1, s19, s1
	s_load_dword s0, s[0:1], 0x0
	s_waitcnt lgkmcnt(0)
	s_add_i32 s0, s0, s6
	s_ashr_i32 s1, s0, 31
	s_lshl_b64 s[0:1], s[0:1], 2
	s_add_u32 s0, s16, s0
	s_addc_u32 s1, s17, s1
	s_load_dword s8, s[0:1], 0x0
	s_load_dwordx2 s[14:15], s[4:5], 0x30
	s_load_dwordx2 s[6:7], s[4:5], 0x58
	s_waitcnt lgkmcnt(0)
	s_ashr_i32 s9, s8, 31
	s_lshl_b64 s[0:1], s[8:9], 3
	s_add_u32 s0, s14, s0
	s_addc_u32 s1, s15, s1
	s_load_dwordx4 s[16:19], s[0:1], 0x0
	v_subb_co_u32_e64 v3, s[0:1], 0, 0, vcc
	s_waitcnt lgkmcnt(0)
	s_sub_u32 s14, s18, s10
	v_mov_b32_e32 v4, s17
	v_add_co_u32_e32 v2, vcc, s16, v1
	s_subb_u32 s15, s19, 0
	v_addc_co_u32_e32 v3, vcc, v4, v3, vcc
	v_cmp_gt_i64_e32 vcc, s[14:15], v[2:3]
	s_and_saveexec_b64 s[16:17], vcc
	s_cbranch_execz .LBB126_9
; %bb.6:
	s_load_dwordx4 s[20:23], s[4:5], 0x38
	s_load_dwordx2 s[18:19], s[4:5], 0x48
	v_lshlrev_b64 v[4:5], 1, v[2:3]
	v_lshlrev_b64 v[6:7], 2, v[2:3]
	s_mov_b64 s[4:5], 0
	s_waitcnt lgkmcnt(0)
	v_mov_b32_e32 v1, s23
	v_add_co_u32_e32 v4, vcc, s22, v4
	v_addc_co_u32_e32 v5, vcc, v1, v5, vcc
	v_mov_b32_e32 v1, s21
	v_add_co_u32_e32 v6, vcc, s20, v6
	v_addc_co_u32_e32 v7, vcc, v1, v7, vcc
	v_mov_b32_e32 v8, 0
	v_mov_b32_e32 v1, s19
	s_movk_i32 s3, 0x100
.LBB126_7:                              ; =>This Inner Loop Header: Depth=1
	global_load_dword v9, v[6:7], off
	global_load_ushort v12, v[4:5], off
	s_waitcnt vmcnt(1)
	v_subrev_u32_e32 v10, s10, v9
	v_ashrrev_i32_e32 v11, 31, v10
	v_lshlrev_b64 v[10:11], 1, v[10:11]
	v_add_co_u32_e32 v10, vcc, s18, v10
	v_addc_co_u32_e32 v11, vcc, v1, v11, vcc
	global_load_ushort v9, v[10:11], off
	v_add_co_u32_e32 v2, vcc, s3, v2
	s_waitcnt vmcnt(1)
	v_cvt_f32_f16_e32 v10, v12
	v_addc_co_u32_e32 v3, vcc, 0, v3, vcc
	v_add_co_u32_e32 v4, vcc, 0x200, v4
	v_addc_co_u32_e32 v5, vcc, 0, v5, vcc
	v_add_co_u32_e32 v6, vcc, 0x400, v6
	v_cmp_le_i64_e64 s[0:1], s[14:15], v[2:3]
	v_mul_f32_e32 v10, s12, v10
	v_addc_co_u32_e32 v7, vcc, 0, v7, vcc
	s_or_b64 s[4:5], s[0:1], s[4:5]
	s_waitcnt vmcnt(0)
	v_fma_mix_f32 v8, v10, v9, v8 op_sel_hi:[0,1,0]
	s_andn2_b64 exec, exec, s[4:5]
	s_cbranch_execnz .LBB126_7
; %bb.8:
	s_or_b64 exec, exec, s[4:5]
.LBB126_9:
	s_or_b64 exec, exec, s[16:17]
	s_movk_i32 s0, 0x80
	v_lshlrev_b32_e32 v1, 2, v0
	v_cmp_gt_u32_e32 vcc, s0, v0
	ds_write_b32 v1, v8
	s_waitcnt lgkmcnt(0)
	s_barrier
	s_and_saveexec_b64 s[0:1], vcc
	s_cbranch_execz .LBB126_11
; %bb.10:
	ds_read2st64_b32 v[2:3], v1 offset1:2
	s_waitcnt lgkmcnt(0)
	v_add_f32_e32 v2, v2, v3
	ds_write_b32 v1, v2
.LBB126_11:
	s_or_b64 exec, exec, s[0:1]
	v_cmp_gt_u32_e32 vcc, 64, v0
	s_waitcnt lgkmcnt(0)
	s_barrier
	s_and_saveexec_b64 s[0:1], vcc
	s_cbranch_execz .LBB126_13
; %bb.12:
	ds_read2st64_b32 v[2:3], v1 offset1:1
	s_waitcnt lgkmcnt(0)
	v_add_f32_e32 v2, v2, v3
	ds_write_b32 v1, v2
.LBB126_13:
	s_or_b64 exec, exec, s[0:1]
	v_cmp_gt_u32_e32 vcc, 32, v0
	s_waitcnt lgkmcnt(0)
	s_barrier
	s_and_saveexec_b64 s[0:1], vcc
	s_cbranch_execz .LBB126_15
; %bb.14:
	ds_read2_b32 v[2:3], v1 offset1:32
	s_waitcnt lgkmcnt(0)
	v_add_f32_e32 v2, v2, v3
	ds_write_b32 v1, v2
.LBB126_15:
	s_or_b64 exec, exec, s[0:1]
	v_cmp_gt_u32_e32 vcc, 16, v0
	s_waitcnt lgkmcnt(0)
	s_barrier
	s_and_saveexec_b64 s[0:1], vcc
	s_cbranch_execz .LBB126_17
; %bb.16:
	ds_read2_b32 v[2:3], v1 offset1:16
	s_waitcnt lgkmcnt(0)
	v_add_f32_e32 v2, v2, v3
	ds_write_b32 v1, v2
.LBB126_17:
	;; [unrolled: 12-line block ×5, first 2 shown]
	s_or_b64 exec, exec, s[0:1]
	v_cmp_eq_u32_e32 vcc, 0, v0
	s_waitcnt lgkmcnt(0)
	s_barrier
	s_and_saveexec_b64 s[0:1], vcc
	s_cbranch_execz .LBB126_25
; %bb.24:
	v_mov_b32_e32 v2, 0
	ds_read_b64 v[0:1], v2
	s_waitcnt lgkmcnt(0)
	v_add_f32_e32 v0, v0, v1
	ds_write_b32 v2, v0
.LBB126_25:
	s_or_b64 exec, exec, s[0:1]
	s_waitcnt lgkmcnt(0)
	s_barrier
	s_and_saveexec_b64 s[0:1], vcc
	s_cbranch_execz .LBB126_29
; %bb.26:
	v_mov_b32_e32 v0, 0
	ds_read_b32 v1, v0
	v_cmp_eq_f32_e64 s[0:1], s2, 0
	s_and_b64 vcc, exec, s[0:1]
	s_cbranch_vccnz .LBB126_28
; %bb.27:
	s_lshl_b64 s[0:1], s[8:9], 2
	s_add_u32 s0, s6, s0
	s_addc_u32 s1, s7, s1
	s_load_dword s0, s[0:1], 0x0
	s_waitcnt lgkmcnt(0)
	v_mov_b32_e32 v2, s0
	v_fmac_f32_e32 v1, s2, v2
.LBB126_28:
	s_lshl_b64 s[0:1], s[8:9], 2
	s_add_u32 s0, s6, s0
	s_addc_u32 s1, s7, s1
	s_waitcnt lgkmcnt(0)
	global_store_dword v0, v1, s[0:1]
.LBB126_29:
	s_endpgm
	.section	.rodata,"a",@progbits
	.p2align	6, 0x0
	.amdhsa_kernel _ZN9rocsparseL29csrmvn_lrb_medium_rows_kernelILj256EliDF16_DF16_ffEEvbT0_PT1_S3_jNS_24const_host_device_scalarIT5_EEPKS1_PKS2_PKT2_PKT3_S6_PT4_21rocsparse_index_base_b
		.amdhsa_group_segment_fixed_size 1024
		.amdhsa_private_segment_fixed_size 0
		.amdhsa_kernarg_size 104
		.amdhsa_user_sgpr_count 6
		.amdhsa_user_sgpr_private_segment_buffer 1
		.amdhsa_user_sgpr_dispatch_ptr 0
		.amdhsa_user_sgpr_queue_ptr 0
		.amdhsa_user_sgpr_kernarg_segment_ptr 1
		.amdhsa_user_sgpr_dispatch_id 0
		.amdhsa_user_sgpr_flat_scratch_init 0
		.amdhsa_user_sgpr_kernarg_preload_length 0
		.amdhsa_user_sgpr_kernarg_preload_offset 0
		.amdhsa_user_sgpr_private_segment_size 0
		.amdhsa_uses_dynamic_stack 0
		.amdhsa_system_sgpr_private_segment_wavefront_offset 0
		.amdhsa_system_sgpr_workgroup_id_x 1
		.amdhsa_system_sgpr_workgroup_id_y 0
		.amdhsa_system_sgpr_workgroup_id_z 0
		.amdhsa_system_sgpr_workgroup_info 0
		.amdhsa_system_vgpr_workitem_id 0
		.amdhsa_next_free_vgpr 13
		.amdhsa_next_free_sgpr 24
		.amdhsa_accum_offset 16
		.amdhsa_reserve_vcc 1
		.amdhsa_reserve_flat_scratch 0
		.amdhsa_float_round_mode_32 0
		.amdhsa_float_round_mode_16_64 0
		.amdhsa_float_denorm_mode_32 3
		.amdhsa_float_denorm_mode_16_64 3
		.amdhsa_dx10_clamp 1
		.amdhsa_ieee_mode 1
		.amdhsa_fp16_overflow 0
		.amdhsa_tg_split 0
		.amdhsa_exception_fp_ieee_invalid_op 0
		.amdhsa_exception_fp_denorm_src 0
		.amdhsa_exception_fp_ieee_div_zero 0
		.amdhsa_exception_fp_ieee_overflow 0
		.amdhsa_exception_fp_ieee_underflow 0
		.amdhsa_exception_fp_ieee_inexact 0
		.amdhsa_exception_int_div_zero 0
	.end_amdhsa_kernel
	.section	.text._ZN9rocsparseL29csrmvn_lrb_medium_rows_kernelILj256EliDF16_DF16_ffEEvbT0_PT1_S3_jNS_24const_host_device_scalarIT5_EEPKS1_PKS2_PKT2_PKT3_S6_PT4_21rocsparse_index_base_b,"axG",@progbits,_ZN9rocsparseL29csrmvn_lrb_medium_rows_kernelILj256EliDF16_DF16_ffEEvbT0_PT1_S3_jNS_24const_host_device_scalarIT5_EEPKS1_PKS2_PKT2_PKT3_S6_PT4_21rocsparse_index_base_b,comdat
.Lfunc_end126:
	.size	_ZN9rocsparseL29csrmvn_lrb_medium_rows_kernelILj256EliDF16_DF16_ffEEvbT0_PT1_S3_jNS_24const_host_device_scalarIT5_EEPKS1_PKS2_PKT2_PKT3_S6_PT4_21rocsparse_index_base_b, .Lfunc_end126-_ZN9rocsparseL29csrmvn_lrb_medium_rows_kernelILj256EliDF16_DF16_ffEEvbT0_PT1_S3_jNS_24const_host_device_scalarIT5_EEPKS1_PKS2_PKT2_PKT3_S6_PT4_21rocsparse_index_base_b
                                        ; -- End function
	.section	.AMDGPU.csdata,"",@progbits
; Kernel info:
; codeLenInByte = 996
; NumSgprs: 28
; NumVgprs: 13
; NumAgprs: 0
; TotalNumVgprs: 13
; ScratchSize: 0
; MemoryBound: 0
; FloatMode: 240
; IeeeMode: 1
; LDSByteSize: 1024 bytes/workgroup (compile time only)
; SGPRBlocks: 3
; VGPRBlocks: 1
; NumSGPRsForWavesPerEU: 28
; NumVGPRsForWavesPerEU: 13
; AccumOffset: 16
; Occupancy: 8
; WaveLimiterHint : 1
; COMPUTE_PGM_RSRC2:SCRATCH_EN: 0
; COMPUTE_PGM_RSRC2:USER_SGPR: 6
; COMPUTE_PGM_RSRC2:TRAP_HANDLER: 0
; COMPUTE_PGM_RSRC2:TGID_X_EN: 1
; COMPUTE_PGM_RSRC2:TGID_Y_EN: 0
; COMPUTE_PGM_RSRC2:TGID_Z_EN: 0
; COMPUTE_PGM_RSRC2:TIDIG_COMP_CNT: 0
; COMPUTE_PGM_RSRC3_GFX90A:ACCUM_OFFSET: 3
; COMPUTE_PGM_RSRC3_GFX90A:TG_SPLIT: 0
	.section	.text._ZN9rocsparseL27csrmvn_lrb_long_rows_kernelIliDF16_DF16_ffEEvbT_PjPT0_S4_jNS_24const_host_device_scalarIT4_EEPKS1_PKS3_PKT1_PKT2_S7_PT3_21rocsparse_index_base_b,"axG",@progbits,_ZN9rocsparseL27csrmvn_lrb_long_rows_kernelIliDF16_DF16_ffEEvbT_PjPT0_S4_jNS_24const_host_device_scalarIT4_EEPKS1_PKS3_PKT1_PKT2_S7_PT3_21rocsparse_index_base_b,comdat
	.globl	_ZN9rocsparseL27csrmvn_lrb_long_rows_kernelIliDF16_DF16_ffEEvbT_PjPT0_S4_jNS_24const_host_device_scalarIT4_EEPKS1_PKS3_PKT1_PKT2_S7_PT3_21rocsparse_index_base_b ; -- Begin function _ZN9rocsparseL27csrmvn_lrb_long_rows_kernelIliDF16_DF16_ffEEvbT_PjPT0_S4_jNS_24const_host_device_scalarIT4_EEPKS1_PKS3_PKT1_PKT2_S7_PT3_21rocsparse_index_base_b
	.p2align	8
	.type	_ZN9rocsparseL27csrmvn_lrb_long_rows_kernelIliDF16_DF16_ffEEvbT_PjPT0_S4_jNS_24const_host_device_scalarIT4_EEPKS1_PKS3_PKT1_PKT2_S7_PT3_21rocsparse_index_base_b,@function
_ZN9rocsparseL27csrmvn_lrb_long_rows_kernelIliDF16_DF16_ffEEvbT_PjPT0_S4_jNS_24const_host_device_scalarIT4_EEPKS1_PKS3_PKT1_PKT2_S7_PT3_21rocsparse_index_base_b: ; @_ZN9rocsparseL27csrmvn_lrb_long_rows_kernelIliDF16_DF16_ffEEvbT_PjPT0_S4_jNS_24const_host_device_scalarIT4_EEPKS1_PKS3_PKT1_PKT2_S7_PT3_21rocsparse_index_base_b
; %bb.0:
	s_load_dwordx2 s[16:17], s[4:5], 0x68
	s_load_dwordx2 s[18:19], s[4:5], 0x30
	;; [unrolled: 1-line block ×3, first 2 shown]
	s_waitcnt lgkmcnt(0)
	s_bitcmp1_b32 s17, 0
	s_cselect_b64 s[2:3], -1, 0
	s_xor_b64 s[0:1], s[2:3], -1
	s_and_b64 vcc, exec, s[2:3]
	s_cbranch_vccnz .LBB127_2
; %bb.1:
	s_load_dword s18, s[18:19], 0x0
.LBB127_2:
	s_andn2_b64 vcc, exec, s[0:1]
	s_cbranch_vccnz .LBB127_4
; %bb.3:
	s_load_dword s20, s[20:21], 0x0
.LBB127_4:
	s_waitcnt lgkmcnt(0)
	v_cmp_neq_f32_e64 s[0:1], s18, 0
	v_cmp_neq_f32_e64 s[2:3], s20, 1.0
	s_or_b64 s[0:1], s[0:1], s[2:3]
	s_andn2_b64 vcc, exec, s[0:1]
	s_mov_b32 s1, 0
	s_cbranch_vccnz .LBB127_39
; %bb.5:
	s_load_dword s0, s[4:5], 0x28
	s_load_dwordx2 s[2:3], s[4:5], 0x20
	s_waitcnt lgkmcnt(0)
	s_lshl_b64 s[8:9], s[0:1], 2
	s_add_u32 s2, s2, s8
	s_addc_u32 s3, s3, s9
	s_lshl_b32 s0, -1, s0
	s_not_b32 s0, s0
	s_mul_hi_u32 s0, s0, 0x2aaaaaab
	s_lshr_b32 s0, s0, 7
	s_add_i32 s1, s0, 1
	v_cvt_f32_u32_e32 v1, s1
	s_load_dwordx4 s[8:11], s[4:5], 0x10
	s_load_dword s7, s[2:3], 0x0
	s_not_b32 s0, s0
	v_rcp_iflag_f32_e32 v1, v1
	v_mul_f32_e32 v1, 0x4f7ffffe, v1
	v_cvt_u32_f32_e32 v1, v1
	v_readfirstlane_b32 s2, v1
	s_mul_i32 s0, s0, s2
	s_mul_hi_u32 s0, s2, s0
	s_add_i32 s2, s2, s0
	s_mul_hi_u32 s0, s6, s2
	s_mul_i32 s2, s0, s1
	s_sub_i32 s2, s6, s2
	s_add_i32 s3, s0, 1
	s_sub_i32 s12, s2, s1
	s_cmp_ge_u32 s2, s1
	s_cselect_b32 s0, s3, s0
	s_cselect_b32 s2, s12, s2
	s_add_i32 s3, s0, 1
	s_cmp_ge_u32 s2, s1
	s_cselect_b32 s0, s3, s0
	s_mul_i32 s14, s0, s1
	s_waitcnt lgkmcnt(0)
	s_add_i32 s0, s0, s7
	s_ashr_i32 s1, s0, 31
	s_sub_i32 s19, s6, s14
	s_lshl_b64 s[0:1], s[0:1], 2
	s_add_u32 s0, s10, s0
	s_addc_u32 s1, s11, s1
	s_load_dword s12, s[0:1], 0x0
	s_load_dwordx2 s[2:3], s[4:5], 0x38
	s_load_dwordx2 s[10:11], s[4:5], 0x60
	v_or_b32_e32 v1, s19, v0
	v_cmp_eq_u32_e32 vcc, 0, v1
	s_waitcnt lgkmcnt(0)
	s_ashr_i32 s13, s12, 31
	s_lshl_b64 s[0:1], s[12:13], 3
	s_add_u32 s0, s2, s0
	s_addc_u32 s1, s3, s1
	s_ashr_i32 s7, s6, 31
	s_lshl_b64 s[6:7], s[6:7], 2
	s_add_u32 s6, s8, s6
	s_addc_u32 s7, s9, s7
	s_load_dwordx4 s[0:3], s[0:1], 0x0
	v_mov_b32_e32 v1, 0
	s_load_dword s17, s[6:7], 0x0
	s_and_saveexec_b64 s[22:23], vcc
	s_cbranch_execz .LBB127_9
; %bb.6:
	s_lshl_b64 s[26:27], s[12:13], 2
	s_add_u32 s26, s10, s26
	s_addc_u32 s27, s11, s27
	s_load_dword s26, s[26:27], 0x0
	s_mov_b64 s[24:25], exec
	v_mbcnt_lo_u32_b32 v2, s24, 0
	v_mbcnt_hi_u32_b32 v2, s25, v2
	v_add_f32_e64 v1, s20, -1.0
	v_cmp_eq_u32_e32 vcc, 0, v2
	s_waitcnt vmcnt(0) expcnt(0) lgkmcnt(0)
	s_and_saveexec_b64 s[20:21], vcc
	s_cbranch_execz .LBB127_8
; %bb.7:
	s_ashr_i32 s15, s14, 31
	s_lshl_b64 s[28:29], s[14:15], 2
	s_add_u32 s28, s8, s28
	s_addc_u32 s29, s9, s29
	s_bcnt1_i32_b64 s15, s[24:25]
	s_and_b32 s15, s15, 1
	v_mov_b32_e32 v2, 0
	v_mov_b32_e32 v3, s15
	global_atomic_xor v2, v3, s[28:29]
.LBB127_8:
	s_or_b64 exec, exec, s[20:21]
	v_mul_f32_e32 v1, s26, v1
.LBB127_9:
	s_or_b64 exec, exec, s[22:23]
	s_mul_i32 s20, s19, 3
	s_mov_b32 s21, 0
	s_lshl_b64 s[20:21], s[20:21], 8
	s_waitcnt lgkmcnt(0)
	s_sub_u32 s0, s0, s16
	s_subb_u32 s1, s1, 0
	s_add_u32 s15, s0, s20
	s_addc_u32 s22, s1, s21
	s_sub_u32 s0, s2, s16
	s_subb_u32 s1, s3, 0
	s_add_u32 s2, s15, 0x300
	s_addc_u32 s3, s22, 0
	v_pk_mov_b32 v[2:3], s[0:1], s[0:1] op_sel:[0,1]
	v_cmp_lt_i64_e32 vcc, s[2:3], v[2:3]
	s_and_b64 s[20:21], vcc, exec
	v_mov_b32_e32 v3, s22
	v_add_co_u32_e32 v2, vcc, s15, v0
	s_cselect_b32 s3, s3, s1
	s_cselect_b32 s2, s2, s0
	v_addc_co_u32_e32 v3, vcc, 0, v3, vcc
	v_cmp_gt_i64_e32 vcc, s[2:3], v[2:3]
	s_and_saveexec_b64 s[20:21], vcc
	s_cbranch_execz .LBB127_13
; %bb.10:
	s_load_dwordx4 s[24:27], s[4:5], 0x40
	s_load_dwordx2 s[22:23], s[4:5], 0x50
	v_lshlrev_b64 v[4:5], 1, v[2:3]
	s_mov_b64 s[4:5], 0
	s_movk_i32 s15, 0x100
	s_waitcnt lgkmcnt(0)
	v_mov_b32_e32 v6, s27
	v_add_co_u32_e32 v4, vcc, s26, v4
	v_addc_co_u32_e32 v5, vcc, v6, v5, vcc
	v_lshlrev_b64 v[6:7], 2, v[2:3]
	v_mov_b32_e32 v8, s25
	v_add_co_u32_e32 v6, vcc, s24, v6
	v_addc_co_u32_e32 v7, vcc, v8, v7, vcc
	v_mov_b32_e32 v8, s23
.LBB127_11:                             ; =>This Inner Loop Header: Depth=1
	global_load_dword v9, v[6:7], off
	global_load_ushort v12, v[4:5], off
	s_waitcnt vmcnt(1)
	v_subrev_u32_e32 v10, s16, v9
	v_ashrrev_i32_e32 v11, 31, v10
	v_lshlrev_b64 v[10:11], 1, v[10:11]
	v_add_co_u32_e32 v10, vcc, s22, v10
	v_addc_co_u32_e32 v11, vcc, v8, v11, vcc
	global_load_ushort v9, v[10:11], off
	v_add_co_u32_e32 v2, vcc, s15, v2
	s_waitcnt vmcnt(1)
	v_cvt_f32_f16_e32 v10, v12
	v_addc_co_u32_e32 v3, vcc, 0, v3, vcc
	v_add_co_u32_e32 v4, vcc, 0x200, v4
	v_addc_co_u32_e32 v5, vcc, 0, v5, vcc
	v_add_co_u32_e32 v6, vcc, 0x400, v6
	v_cmp_le_i64_e64 s[0:1], s[2:3], v[2:3]
	v_mul_f32_e32 v10, s18, v10
	v_addc_co_u32_e32 v7, vcc, 0, v7, vcc
	s_or_b64 s[4:5], s[0:1], s[4:5]
	s_waitcnt vmcnt(0)
	v_fma_mix_f32 v1, v10, v9, v1 op_sel_hi:[0,1,0]
	s_andn2_b64 exec, exec, s[4:5]
	s_cbranch_execnz .LBB127_11
; %bb.12:
	s_or_b64 exec, exec, s[4:5]
.LBB127_13:
	s_or_b64 exec, exec, s[20:21]
	s_movk_i32 s0, 0x80
	v_lshlrev_b32_e32 v2, 2, v0
	v_cmp_gt_u32_e32 vcc, s0, v0
	ds_write_b32 v2, v1
	s_waitcnt lgkmcnt(0)
	s_barrier
	s_and_saveexec_b64 s[0:1], vcc
	s_cbranch_execz .LBB127_15
; %bb.14:
	ds_read2st64_b32 v[4:5], v2 offset1:2
	s_waitcnt lgkmcnt(0)
	v_add_f32_e32 v1, v4, v5
	ds_write_b32 v2, v1
.LBB127_15:
	s_or_b64 exec, exec, s[0:1]
	v_cmp_gt_u32_e32 vcc, 64, v0
	s_waitcnt lgkmcnt(0)
	s_barrier
	s_and_saveexec_b64 s[0:1], vcc
	s_cbranch_execz .LBB127_17
; %bb.16:
	ds_read2st64_b32 v[4:5], v2 offset1:1
	s_waitcnt lgkmcnt(0)
	v_add_f32_e32 v1, v4, v5
	ds_write_b32 v2, v1
.LBB127_17:
	s_or_b64 exec, exec, s[0:1]
	v_cmp_gt_u32_e32 vcc, 32, v0
	s_waitcnt lgkmcnt(0)
	s_barrier
	s_and_saveexec_b64 s[0:1], vcc
	s_cbranch_execz .LBB127_19
; %bb.18:
	ds_read2_b32 v[4:5], v2 offset1:32
	s_waitcnt lgkmcnt(0)
	v_add_f32_e32 v1, v4, v5
	ds_write_b32 v2, v1
.LBB127_19:
	s_or_b64 exec, exec, s[0:1]
	v_cmp_gt_u32_e32 vcc, 16, v0
	s_waitcnt lgkmcnt(0)
	s_barrier
	s_and_saveexec_b64 s[0:1], vcc
	s_cbranch_execz .LBB127_21
; %bb.20:
	ds_read2_b32 v[4:5], v2 offset1:16
	s_waitcnt lgkmcnt(0)
	v_add_f32_e32 v1, v4, v5
	ds_write_b32 v2, v1
.LBB127_21:
	;; [unrolled: 12-line block ×5, first 2 shown]
	s_or_b64 exec, exec, s[0:1]
	v_cmp_eq_u32_e32 vcc, 0, v0
	s_waitcnt lgkmcnt(0)
	s_barrier
	s_and_saveexec_b64 s[0:1], vcc
	s_cbranch_execz .LBB127_29
; %bb.28:
	v_mov_b32_e32 v2, 0
	ds_read_b64 v[0:1], v2
	s_waitcnt lgkmcnt(0)
	v_add_f32_e32 v0, v0, v1
	ds_write_b32 v2, v0
.LBB127_29:
	s_or_b64 exec, exec, s[0:1]
	s_waitcnt lgkmcnt(0)
	s_barrier
	s_and_saveexec_b64 s[0:1], vcc
	s_cbranch_execz .LBB127_39
; %bb.30:
	s_cmp_eq_u32 s19, 0
	s_cbranch_scc1 .LBB127_36
; %bb.31:
	s_ashr_i32 s15, s14, 31
	s_lshl_b64 s[0:1], s[14:15], 2
	s_add_u32 s0, s8, s0
	s_addc_u32 s1, s9, s1
	v_mov_b32_e32 v0, 0
	s_branch .LBB127_33
.LBB127_32:                             ;   in Loop: Header=BB127_33 Depth=1
	s_or_b64 exec, exec, s[2:3]
	s_waitcnt vmcnt(0)
	v_readfirstlane_b32 s2, v1
	s_cmp_eq_u32 s2, s17
	s_cbranch_scc0 .LBB127_35
.LBB127_33:                             ; =>This Inner Loop Header: Depth=1
	v_mbcnt_lo_u32_b32 v1, exec_lo, 0
	v_mbcnt_hi_u32_b32 v1, exec_hi, v1
	v_cmp_eq_u32_e32 vcc, 0, v1
                                        ; implicit-def: $vgpr1
	s_and_saveexec_b64 s[2:3], vcc
	s_cbranch_execz .LBB127_32
; %bb.34:                               ;   in Loop: Header=BB127_33 Depth=1
	global_load_dword v1, v0, s[0:1] glc
	s_branch .LBB127_32
.LBB127_35:
	v_mov_b32_e32 v0, 0
	global_load_dword v1, v0, s[6:7]
	s_waitcnt vmcnt(0)
	v_xor_b32_e32 v1, 1, v1
	global_store_dword v0, v1, s[6:7]
.LBB127_36:
	s_mov_b64 s[2:3], exec
	v_mbcnt_lo_u32_b32 v0, s2, 0
	v_mbcnt_hi_u32_b32 v0, s3, v0
	v_cmp_eq_u32_e32 vcc, 0, v0
	s_and_b64 s[0:1], exec, vcc
	s_mov_b64 exec, s[0:1]
	s_cbranch_execz .LBB127_39
; %bb.37:
	s_lshl_b64 s[0:1], s[12:13], 2
	s_add_u32 s0, s10, s0
	s_addc_u32 s1, s11, s1
	v_mov_b32_e32 v2, 0
	global_load_dword v1, v2, s[0:1]
	ds_read_b32 v0, v2
	s_bcnt1_i32_b64 s2, s[2:3]
	v_cvt_f32_ubyte0_e32 v3, s2
	s_mov_b64 s[2:3], 0
	s_waitcnt lgkmcnt(0)
	v_mul_f32_e32 v3, v0, v3
.LBB127_38:                             ; =>This Inner Loop Header: Depth=1
	s_waitcnt vmcnt(0)
	v_add_f32_e32 v0, v1, v3
	global_atomic_cmpswap v0, v2, v[0:1], s[0:1] glc
	s_waitcnt vmcnt(0)
	v_cmp_eq_u32_e32 vcc, v0, v1
	s_or_b64 s[2:3], vcc, s[2:3]
	v_mov_b32_e32 v1, v0
	s_andn2_b64 exec, exec, s[2:3]
	s_cbranch_execnz .LBB127_38
.LBB127_39:
	s_endpgm
	.section	.rodata,"a",@progbits
	.p2align	6, 0x0
	.amdhsa_kernel _ZN9rocsparseL27csrmvn_lrb_long_rows_kernelIliDF16_DF16_ffEEvbT_PjPT0_S4_jNS_24const_host_device_scalarIT4_EEPKS1_PKS3_PKT1_PKT2_S7_PT3_21rocsparse_index_base_b
		.amdhsa_group_segment_fixed_size 1024
		.amdhsa_private_segment_fixed_size 0
		.amdhsa_kernarg_size 112
		.amdhsa_user_sgpr_count 6
		.amdhsa_user_sgpr_private_segment_buffer 1
		.amdhsa_user_sgpr_dispatch_ptr 0
		.amdhsa_user_sgpr_queue_ptr 0
		.amdhsa_user_sgpr_kernarg_segment_ptr 1
		.amdhsa_user_sgpr_dispatch_id 0
		.amdhsa_user_sgpr_flat_scratch_init 0
		.amdhsa_user_sgpr_kernarg_preload_length 0
		.amdhsa_user_sgpr_kernarg_preload_offset 0
		.amdhsa_user_sgpr_private_segment_size 0
		.amdhsa_uses_dynamic_stack 0
		.amdhsa_system_sgpr_private_segment_wavefront_offset 0
		.amdhsa_system_sgpr_workgroup_id_x 1
		.amdhsa_system_sgpr_workgroup_id_y 0
		.amdhsa_system_sgpr_workgroup_id_z 0
		.amdhsa_system_sgpr_workgroup_info 0
		.amdhsa_system_vgpr_workitem_id 0
		.amdhsa_next_free_vgpr 13
		.amdhsa_next_free_sgpr 30
		.amdhsa_accum_offset 16
		.amdhsa_reserve_vcc 1
		.amdhsa_reserve_flat_scratch 0
		.amdhsa_float_round_mode_32 0
		.amdhsa_float_round_mode_16_64 0
		.amdhsa_float_denorm_mode_32 3
		.amdhsa_float_denorm_mode_16_64 3
		.amdhsa_dx10_clamp 1
		.amdhsa_ieee_mode 1
		.amdhsa_fp16_overflow 0
		.amdhsa_tg_split 0
		.amdhsa_exception_fp_ieee_invalid_op 0
		.amdhsa_exception_fp_denorm_src 0
		.amdhsa_exception_fp_ieee_div_zero 0
		.amdhsa_exception_fp_ieee_overflow 0
		.amdhsa_exception_fp_ieee_underflow 0
		.amdhsa_exception_fp_ieee_inexact 0
		.amdhsa_exception_int_div_zero 0
	.end_amdhsa_kernel
	.section	.text._ZN9rocsparseL27csrmvn_lrb_long_rows_kernelIliDF16_DF16_ffEEvbT_PjPT0_S4_jNS_24const_host_device_scalarIT4_EEPKS1_PKS3_PKT1_PKT2_S7_PT3_21rocsparse_index_base_b,"axG",@progbits,_ZN9rocsparseL27csrmvn_lrb_long_rows_kernelIliDF16_DF16_ffEEvbT_PjPT0_S4_jNS_24const_host_device_scalarIT4_EEPKS1_PKS3_PKT1_PKT2_S7_PT3_21rocsparse_index_base_b,comdat
.Lfunc_end127:
	.size	_ZN9rocsparseL27csrmvn_lrb_long_rows_kernelIliDF16_DF16_ffEEvbT_PjPT0_S4_jNS_24const_host_device_scalarIT4_EEPKS1_PKS3_PKT1_PKT2_S7_PT3_21rocsparse_index_base_b, .Lfunc_end127-_ZN9rocsparseL27csrmvn_lrb_long_rows_kernelIliDF16_DF16_ffEEvbT_PjPT0_S4_jNS_24const_host_device_scalarIT4_EEPKS1_PKS3_PKT1_PKT2_S7_PT3_21rocsparse_index_base_b
                                        ; -- End function
	.section	.AMDGPU.csdata,"",@progbits
; Kernel info:
; codeLenInByte = 1488
; NumSgprs: 34
; NumVgprs: 13
; NumAgprs: 0
; TotalNumVgprs: 13
; ScratchSize: 0
; MemoryBound: 0
; FloatMode: 240
; IeeeMode: 1
; LDSByteSize: 1024 bytes/workgroup (compile time only)
; SGPRBlocks: 4
; VGPRBlocks: 1
; NumSGPRsForWavesPerEU: 34
; NumVGPRsForWavesPerEU: 13
; AccumOffset: 16
; Occupancy: 8
; WaveLimiterHint : 1
; COMPUTE_PGM_RSRC2:SCRATCH_EN: 0
; COMPUTE_PGM_RSRC2:USER_SGPR: 6
; COMPUTE_PGM_RSRC2:TRAP_HANDLER: 0
; COMPUTE_PGM_RSRC2:TGID_X_EN: 1
; COMPUTE_PGM_RSRC2:TGID_Y_EN: 0
; COMPUTE_PGM_RSRC2:TGID_Z_EN: 0
; COMPUTE_PGM_RSRC2:TIDIG_COMP_CNT: 0
; COMPUTE_PGM_RSRC3_GFX90A:ACCUM_OFFSET: 3
; COMPUTE_PGM_RSRC3_GFX90A:TG_SPLIT: 0
	.section	.text._ZN9rocsparseL28csrmvn_lrb_short_rows_kernelIllDF16_DF16_ffEEvbT_PT0_S3_jNS_24const_host_device_scalarIT4_EEPKS1_PKS2_PKT1_PKT2_S6_PT3_21rocsparse_index_base_b,"axG",@progbits,_ZN9rocsparseL28csrmvn_lrb_short_rows_kernelIllDF16_DF16_ffEEvbT_PT0_S3_jNS_24const_host_device_scalarIT4_EEPKS1_PKS2_PKT1_PKT2_S6_PT3_21rocsparse_index_base_b,comdat
	.globl	_ZN9rocsparseL28csrmvn_lrb_short_rows_kernelIllDF16_DF16_ffEEvbT_PT0_S3_jNS_24const_host_device_scalarIT4_EEPKS1_PKS2_PKT1_PKT2_S6_PT3_21rocsparse_index_base_b ; -- Begin function _ZN9rocsparseL28csrmvn_lrb_short_rows_kernelIllDF16_DF16_ffEEvbT_PT0_S3_jNS_24const_host_device_scalarIT4_EEPKS1_PKS2_PKT1_PKT2_S6_PT3_21rocsparse_index_base_b
	.p2align	8
	.type	_ZN9rocsparseL28csrmvn_lrb_short_rows_kernelIllDF16_DF16_ffEEvbT_PT0_S3_jNS_24const_host_device_scalarIT4_EEPKS1_PKS2_PKT1_PKT2_S6_PT3_21rocsparse_index_base_b,@function
_ZN9rocsparseL28csrmvn_lrb_short_rows_kernelIllDF16_DF16_ffEEvbT_PT0_S3_jNS_24const_host_device_scalarIT4_EEPKS1_PKS2_PKT1_PKT2_S6_PT3_21rocsparse_index_base_b: ; @_ZN9rocsparseL28csrmvn_lrb_short_rows_kernelIllDF16_DF16_ffEEvbT_PT0_S3_jNS_24const_host_device_scalarIT4_EEPKS1_PKS2_PKT1_PKT2_S6_PT3_21rocsparse_index_base_b
; %bb.0:
	s_load_dwordx2 s[20:21], s[4:5], 0x60
	s_load_dwordx2 s[22:23], s[4:5], 0x28
	;; [unrolled: 1-line block ×3, first 2 shown]
	s_waitcnt lgkmcnt(0)
	s_bitcmp1_b32 s21, 0
	s_cselect_b64 s[2:3], -1, 0
	s_xor_b64 s[0:1], s[2:3], -1
	s_and_b64 vcc, exec, s[2:3]
	s_cbranch_vccnz .LBB128_2
; %bb.1:
	s_load_dword s22, s[22:23], 0x0
.LBB128_2:
	s_andn2_b64 vcc, exec, s[0:1]
	s_cbranch_vccnz .LBB128_4
; %bb.3:
	s_load_dword s16, s[16:17], 0x0
.LBB128_4:
	s_waitcnt lgkmcnt(0)
	v_cmp_neq_f32_e64 s[0:1], s22, 0
	v_cmp_neq_f32_e64 s[2:3], s16, 1.0
	s_or_b64 s[0:1], s[0:1], s[2:3]
	s_andn2_b64 vcc, exec, s[0:1]
	s_mov_b32 s19, 0
	s_cbranch_vccnz .LBB128_18
; %bb.5:
	s_load_dword s18, s[4:5], 0x20
	s_load_dwordx4 s[0:3], s[4:5], 0x10
	s_mov_b32 s9, s19
	s_waitcnt lgkmcnt(0)
	s_lshl_b64 s[10:11], s[18:19], 3
	s_add_u32 s10, s2, s10
	s_addc_u32 s11, s3, s11
	s_add_i32 s8, s18, 1
	s_lshl_b64 s[8:9], s[8:9], 3
	s_add_u32 s8, s2, s8
	s_addc_u32 s9, s3, s9
	s_load_dwordx2 s[2:3], s[10:11], 0x0
	s_load_dword s7, s[8:9], 0x0
	s_lshl_b32 s6, s6, 8
	s_add_i32 s8, s6, 0x100
	s_waitcnt lgkmcnt(0)
	s_sub_i32 s7, s7, s2
	s_min_u32 s7, s7, s8
	s_cmp_gt_u32 s18, 23
	s_cbranch_scc1 .LBB128_12
; %bb.6:
	s_load_dwordx8 s[8:15], s[4:5], 0x30
	s_lshl_b32 s17, 0x100, s18
	s_lshl_b64 s[24:25], s[2:3], 3
	s_add_u32 s19, s0, s24
	s_mov_b32 s23, 0
	v_mov_b32_e32 v9, 0
	s_addc_u32 s21, s1, s25
	v_bfe_u32 v6, v0, 0, s18
	v_mov_b32_e32 v7, v9
	v_lshl_add_u32 v1, v0, 2, 0
	s_mov_b32 s28, s23
	s_branch .LBB128_9
.LBB128_7:                              ;   in Loop: Header=BB128_9 Depth=1
	s_or_b64 exec, exec, s[26:27]
	ds_write_b32 v1, v4
.LBB128_8:                              ;   in Loop: Header=BB128_9 Depth=1
	s_or_b64 exec, exec, s[24:25]
	s_addk_i32 s28, 0x100
	s_cmp_ge_u32 s28, s17
	v_add_u32_e32 v1, 0x400, v1
	s_cbranch_scc1 .LBB128_12
.LBB128_9:                              ; =>This Inner Loop Header: Depth=1
	v_add_u32_e32 v2, s28, v0
	v_lshrrev_b32_e32 v2, s18, v2
	v_add_u32_e32 v8, s6, v2
	v_cmp_gt_u32_e32 vcc, s7, v8
	s_and_saveexec_b64 s[24:25], vcc
	s_cbranch_execz .LBB128_8
; %bb.10:                               ;   in Loop: Header=BB128_9 Depth=1
	v_lshlrev_b64 v[2:3], 3, v[8:9]
	v_mov_b32_e32 v4, s21
	v_add_co_u32_e32 v2, vcc, s19, v2
	v_addc_co_u32_e32 v3, vcc, v4, v3, vcc
	global_load_dwordx2 v[2:3], v[2:3], off
	s_waitcnt lgkmcnt(0)
	v_mov_b32_e32 v4, s9
	s_waitcnt vmcnt(0)
	v_lshlrev_b64 v[2:3], 3, v[2:3]
	v_add_co_u32_e32 v2, vcc, s8, v2
	v_addc_co_u32_e32 v3, vcc, v4, v3, vcc
	global_load_dwordx4 v[2:5], v[2:3], off
	s_waitcnt vmcnt(0)
	v_sub_co_u32_e32 v4, vcc, v4, v2
	v_subb_co_u32_e32 v5, vcc, v5, v3, vcc
	v_cmp_gt_i64_e32 vcc, v[4:5], v[6:7]
	v_mov_b32_e32 v4, 0
	s_and_saveexec_b64 s[26:27], vcc
	s_cbranch_execz .LBB128_7
; %bb.11:                               ;   in Loop: Header=BB128_9 Depth=1
	v_mov_b32_e32 v8, s23
	v_subrev_co_u32_e32 v2, vcc, s20, v2
	v_subb_co_u32_e32 v3, vcc, v3, v8, vcc
	v_add_co_u32_e32 v2, vcc, v2, v6
	v_addc_co_u32_e32 v3, vcc, 0, v3, vcc
	v_lshlrev_b64 v[4:5], 3, v[2:3]
	v_mov_b32_e32 v10, s11
	v_add_co_u32_e32 v4, vcc, s10, v4
	v_addc_co_u32_e32 v5, vcc, v10, v5, vcc
	global_load_dwordx2 v[4:5], v[4:5], off
	v_lshlrev_b64 v[2:3], 1, v[2:3]
	v_mov_b32_e32 v10, s13
	v_add_co_u32_e32 v2, vcc, s12, v2
	v_addc_co_u32_e32 v3, vcc, v10, v3, vcc
	global_load_ushort v10, v[2:3], off
	v_mov_b32_e32 v11, s15
	s_waitcnt vmcnt(1)
	v_subrev_co_u32_e32 v2, vcc, s20, v4
	v_subb_co_u32_e32 v3, vcc, v5, v8, vcc
	v_lshlrev_b64 v[2:3], 1, v[2:3]
	v_add_co_u32_e32 v2, vcc, s14, v2
	v_addc_co_u32_e32 v3, vcc, v11, v3, vcc
	global_load_ushort v2, v[2:3], off
	s_waitcnt vmcnt(1)
	v_cvt_f32_f16_e32 v3, v10
	v_mul_f32_e32 v3, s22, v3
	s_waitcnt vmcnt(0)
	v_cvt_f32_f16_e32 v2, v2
	v_mul_f32_e32 v4, v3, v2
	s_branch .LBB128_7
.LBB128_12:
	s_sub_i32 s7, s7, s6
	v_cmp_gt_u32_e32 vcc, s7, v0
	s_waitcnt lgkmcnt(0)
	s_barrier
	s_and_saveexec_b64 s[8:9], vcc
	s_cbranch_execz .LBB128_18
; %bb.13:
	s_lshl_b64 s[2:3], s[2:3], 3
	s_mov_b32 s7, 0
	s_add_u32 s2, s0, s2
	s_addc_u32 s3, s1, s3
	s_lshl_b64 s[0:1], s[6:7], 3
	s_add_u32 s0, s2, s0
	s_addc_u32 s1, s3, s1
	v_lshlrev_b32_e32 v1, 3, v0
	global_load_dwordx2 v[2:3], v1, s[0:1]
	s_load_dwordx2 s[0:1], s[4:5], 0x58
	v_lshlrev_b32_e32 v0, s18, v0
	v_lshl_add_u32 v0, v0, 2, 0
	s_mov_b32 s2, 1
	v_mov_b32_e32 v4, 0
.LBB128_14:                             ; =>This Inner Loop Header: Depth=1
	ds_read_b32 v1, v0
	s_lshr_b32 s3, s2, s18
	s_add_i32 s2, s2, 1
	v_add_u32_e32 v0, 4, v0
	s_cmp_lg_u32 s3, 0
	s_waitcnt lgkmcnt(0)
	v_add_f32_e32 v4, v4, v1
	s_cbranch_scc0 .LBB128_14
; %bb.15:
	v_cmp_neq_f32_e64 s[2:3], s16, 0
	s_and_b64 vcc, exec, s[2:3]
	s_waitcnt vmcnt(0)
	v_lshlrev_b64 v[0:1], 2, v[2:3]
	s_cbranch_vccz .LBB128_17
; %bb.16:
	v_mov_b32_e32 v3, s1
	v_add_co_u32_e32 v2, vcc, s0, v0
	v_addc_co_u32_e32 v3, vcc, v3, v1, vcc
	global_load_dword v2, v[2:3], off
	s_waitcnt vmcnt(0)
	v_fmac_f32_e32 v4, s16, v2
.LBB128_17:
	v_mov_b32_e32 v2, s1
	v_add_co_u32_e32 v0, vcc, s0, v0
	v_addc_co_u32_e32 v1, vcc, v2, v1, vcc
	global_store_dword v[0:1], v4, off
.LBB128_18:
	s_endpgm
	.section	.rodata,"a",@progbits
	.p2align	6, 0x0
	.amdhsa_kernel _ZN9rocsparseL28csrmvn_lrb_short_rows_kernelIllDF16_DF16_ffEEvbT_PT0_S3_jNS_24const_host_device_scalarIT4_EEPKS1_PKS2_PKT1_PKT2_S6_PT3_21rocsparse_index_base_b
		.amdhsa_group_segment_fixed_size 0
		.amdhsa_private_segment_fixed_size 0
		.amdhsa_kernarg_size 104
		.amdhsa_user_sgpr_count 6
		.amdhsa_user_sgpr_private_segment_buffer 1
		.amdhsa_user_sgpr_dispatch_ptr 0
		.amdhsa_user_sgpr_queue_ptr 0
		.amdhsa_user_sgpr_kernarg_segment_ptr 1
		.amdhsa_user_sgpr_dispatch_id 0
		.amdhsa_user_sgpr_flat_scratch_init 0
		.amdhsa_user_sgpr_kernarg_preload_length 0
		.amdhsa_user_sgpr_kernarg_preload_offset 0
		.amdhsa_user_sgpr_private_segment_size 0
		.amdhsa_uses_dynamic_stack 0
		.amdhsa_system_sgpr_private_segment_wavefront_offset 0
		.amdhsa_system_sgpr_workgroup_id_x 1
		.amdhsa_system_sgpr_workgroup_id_y 0
		.amdhsa_system_sgpr_workgroup_id_z 0
		.amdhsa_system_sgpr_workgroup_info 0
		.amdhsa_system_vgpr_workitem_id 0
		.amdhsa_next_free_vgpr 12
		.amdhsa_next_free_sgpr 29
		.amdhsa_accum_offset 12
		.amdhsa_reserve_vcc 1
		.amdhsa_reserve_flat_scratch 0
		.amdhsa_float_round_mode_32 0
		.amdhsa_float_round_mode_16_64 0
		.amdhsa_float_denorm_mode_32 3
		.amdhsa_float_denorm_mode_16_64 3
		.amdhsa_dx10_clamp 1
		.amdhsa_ieee_mode 1
		.amdhsa_fp16_overflow 0
		.amdhsa_tg_split 0
		.amdhsa_exception_fp_ieee_invalid_op 0
		.amdhsa_exception_fp_denorm_src 0
		.amdhsa_exception_fp_ieee_div_zero 0
		.amdhsa_exception_fp_ieee_overflow 0
		.amdhsa_exception_fp_ieee_underflow 0
		.amdhsa_exception_fp_ieee_inexact 0
		.amdhsa_exception_int_div_zero 0
	.end_amdhsa_kernel
	.section	.text._ZN9rocsparseL28csrmvn_lrb_short_rows_kernelIllDF16_DF16_ffEEvbT_PT0_S3_jNS_24const_host_device_scalarIT4_EEPKS1_PKS2_PKT1_PKT2_S6_PT3_21rocsparse_index_base_b,"axG",@progbits,_ZN9rocsparseL28csrmvn_lrb_short_rows_kernelIllDF16_DF16_ffEEvbT_PT0_S3_jNS_24const_host_device_scalarIT4_EEPKS1_PKS2_PKT1_PKT2_S6_PT3_21rocsparse_index_base_b,comdat
.Lfunc_end128:
	.size	_ZN9rocsparseL28csrmvn_lrb_short_rows_kernelIllDF16_DF16_ffEEvbT_PT0_S3_jNS_24const_host_device_scalarIT4_EEPKS1_PKS2_PKT1_PKT2_S6_PT3_21rocsparse_index_base_b, .Lfunc_end128-_ZN9rocsparseL28csrmvn_lrb_short_rows_kernelIllDF16_DF16_ffEEvbT_PT0_S3_jNS_24const_host_device_scalarIT4_EEPKS1_PKS2_PKT1_PKT2_S6_PT3_21rocsparse_index_base_b
                                        ; -- End function
	.section	.AMDGPU.csdata,"",@progbits
; Kernel info:
; codeLenInByte = 776
; NumSgprs: 33
; NumVgprs: 12
; NumAgprs: 0
; TotalNumVgprs: 12
; ScratchSize: 0
; MemoryBound: 0
; FloatMode: 240
; IeeeMode: 1
; LDSByteSize: 0 bytes/workgroup (compile time only)
; SGPRBlocks: 4
; VGPRBlocks: 1
; NumSGPRsForWavesPerEU: 33
; NumVGPRsForWavesPerEU: 12
; AccumOffset: 12
; Occupancy: 8
; WaveLimiterHint : 1
; COMPUTE_PGM_RSRC2:SCRATCH_EN: 0
; COMPUTE_PGM_RSRC2:USER_SGPR: 6
; COMPUTE_PGM_RSRC2:TRAP_HANDLER: 0
; COMPUTE_PGM_RSRC2:TGID_X_EN: 1
; COMPUTE_PGM_RSRC2:TGID_Y_EN: 0
; COMPUTE_PGM_RSRC2:TGID_Z_EN: 0
; COMPUTE_PGM_RSRC2:TIDIG_COMP_CNT: 0
; COMPUTE_PGM_RSRC3_GFX90A:ACCUM_OFFSET: 2
; COMPUTE_PGM_RSRC3_GFX90A:TG_SPLIT: 0
	.section	.text._ZN9rocsparseL30csrmvn_lrb_short_rows_2_kernelIllDF16_DF16_ffEEvbT_PT0_S3_jNS_24const_host_device_scalarIT4_EEPKS1_PKS2_PKT1_PKT2_S6_PT3_21rocsparse_index_base_b,"axG",@progbits,_ZN9rocsparseL30csrmvn_lrb_short_rows_2_kernelIllDF16_DF16_ffEEvbT_PT0_S3_jNS_24const_host_device_scalarIT4_EEPKS1_PKS2_PKT1_PKT2_S6_PT3_21rocsparse_index_base_b,comdat
	.globl	_ZN9rocsparseL30csrmvn_lrb_short_rows_2_kernelIllDF16_DF16_ffEEvbT_PT0_S3_jNS_24const_host_device_scalarIT4_EEPKS1_PKS2_PKT1_PKT2_S6_PT3_21rocsparse_index_base_b ; -- Begin function _ZN9rocsparseL30csrmvn_lrb_short_rows_2_kernelIllDF16_DF16_ffEEvbT_PT0_S3_jNS_24const_host_device_scalarIT4_EEPKS1_PKS2_PKT1_PKT2_S6_PT3_21rocsparse_index_base_b
	.p2align	8
	.type	_ZN9rocsparseL30csrmvn_lrb_short_rows_2_kernelIllDF16_DF16_ffEEvbT_PT0_S3_jNS_24const_host_device_scalarIT4_EEPKS1_PKS2_PKT1_PKT2_S6_PT3_21rocsparse_index_base_b,@function
_ZN9rocsparseL30csrmvn_lrb_short_rows_2_kernelIllDF16_DF16_ffEEvbT_PT0_S3_jNS_24const_host_device_scalarIT4_EEPKS1_PKS2_PKT1_PKT2_S6_PT3_21rocsparse_index_base_b: ; @_ZN9rocsparseL30csrmvn_lrb_short_rows_2_kernelIllDF16_DF16_ffEEvbT_PT0_S3_jNS_24const_host_device_scalarIT4_EEPKS1_PKS2_PKT1_PKT2_S6_PT3_21rocsparse_index_base_b
; %bb.0:
	s_load_dwordx2 s[20:21], s[4:5], 0x60
	s_load_dwordx2 s[18:19], s[4:5], 0x28
	;; [unrolled: 1-line block ×3, first 2 shown]
	s_waitcnt lgkmcnt(0)
	s_bitcmp1_b32 s21, 0
	s_cselect_b64 s[8:9], -1, 0
	s_xor_b64 s[2:3], s[8:9], -1
	s_and_b64 vcc, exec, s[8:9]
	s_cbranch_vccnz .LBB129_2
; %bb.1:
	s_load_dword s18, s[18:19], 0x0
.LBB129_2:
	s_andn2_b64 vcc, exec, s[2:3]
	s_cbranch_vccnz .LBB129_4
; %bb.3:
	s_load_dword s0, s[0:1], 0x0
.LBB129_4:
	s_waitcnt lgkmcnt(0)
	v_cmp_neq_f32_e64 s[2:3], s18, 0
	v_cmp_neq_f32_e64 s[8:9], s0, 1.0
	s_or_b64 s[2:3], s[2:3], s[8:9]
	s_andn2_b64 vcc, exec, s[2:3]
	s_mov_b32 s3, 0
	s_cbranch_vccnz .LBB129_30
; %bb.5:
	s_load_dword s2, s[4:5], 0x20
	s_load_dwordx4 s[24:27], s[4:5], 0x10
	s_mov_b32 s9, s3
	v_mov_b32_e32 v7, 0
	s_waitcnt lgkmcnt(0)
	s_lshl_b64 s[10:11], s[2:3], 3
	s_add_u32 s22, s26, s10
	s_addc_u32 s23, s27, s11
	s_add_i32 s8, s2, 1
	s_lshl_b64 s[8:9], s[8:9], 3
	s_add_u32 s26, s26, s8
	s_addc_u32 s27, s27, s9
	s_load_dwordx2 s[28:29], s[22:23], 0x0
	s_load_dword s3, s[26:27], 0x0
	s_load_dwordx2 s[16:17], s[4:5], 0x58
	s_load_dwordx8 s[8:15], s[4:5], 0x30
	s_lshr_b32 s1, 0x400, s2
	s_mul_i32 s4, s1, s6
	s_waitcnt lgkmcnt(0)
	s_sub_i32 s3, s3, s28
	s_add_i32 s5, s4, s1
	s_min_u32 s5, s3, s5
	s_lshl_b64 s[6:7], s[28:29], 3
	v_lshrrev_b32_e32 v1, s2, v0
	s_add_u32 s3, s24, s6
	v_add_u32_e32 v2, s4, v1
	s_addc_u32 s19, s25, s7
	v_bfe_u32 v6, v0, 0, s2
	v_cmp_gt_u32_e32 vcc, s5, v2
	s_and_saveexec_b64 s[6:7], vcc
	s_cbranch_execz .LBB129_9
; %bb.6:
	v_mov_b32_e32 v3, v7
	v_lshlrev_b64 v[2:3], 3, v[2:3]
	v_mov_b32_e32 v1, s19
	v_add_co_u32_e32 v2, vcc, s3, v2
	v_addc_co_u32_e32 v3, vcc, v1, v3, vcc
	global_load_dwordx2 v[2:3], v[2:3], off
	v_mov_b32_e32 v1, s9
	s_waitcnt vmcnt(0)
	v_lshlrev_b64 v[2:3], 3, v[2:3]
	v_add_co_u32_e32 v2, vcc, s8, v2
	v_addc_co_u32_e32 v3, vcc, v1, v3, vcc
	global_load_dwordx4 v[2:5], v[2:3], off
	v_mov_b32_e32 v1, v7
	s_waitcnt vmcnt(0)
	v_sub_co_u32_e32 v4, vcc, v4, v2
	v_subb_co_u32_e32 v5, vcc, v5, v3, vcc
	v_cmp_gt_i64_e32 vcc, v[4:5], v[6:7]
	s_and_saveexec_b64 s[22:23], vcc
	s_cbranch_execz .LBB129_8
; %bb.7:
	v_subrev_co_u32_e32 v1, vcc, s20, v2
	v_subbrev_co_u32_e32 v3, vcc, 0, v3, vcc
	v_add_co_u32_e32 v2, vcc, v1, v6
	v_addc_co_u32_e32 v3, vcc, 0, v3, vcc
	v_lshlrev_b64 v[4:5], 3, v[2:3]
	v_mov_b32_e32 v1, s11
	v_add_co_u32_e32 v4, vcc, s10, v4
	v_addc_co_u32_e32 v5, vcc, v1, v5, vcc
	global_load_dwordx2 v[4:5], v[4:5], off
	v_lshlrev_b64 v[2:3], 1, v[2:3]
	v_mov_b32_e32 v1, s13
	v_add_co_u32_e32 v2, vcc, s12, v2
	v_addc_co_u32_e32 v3, vcc, v1, v3, vcc
	global_load_ushort v1, v[2:3], off
	v_mov_b32_e32 v8, s15
	s_waitcnt vmcnt(1)
	v_subrev_co_u32_e32 v2, vcc, s20, v4
	v_subbrev_co_u32_e32 v3, vcc, 0, v5, vcc
	v_lshlrev_b64 v[2:3], 1, v[2:3]
	v_add_co_u32_e32 v2, vcc, s14, v2
	v_addc_co_u32_e32 v3, vcc, v8, v3, vcc
	global_load_ushort v2, v[2:3], off
	s_waitcnt vmcnt(1)
	v_cvt_f32_f16_e32 v1, v1
	v_mul_f32_e32 v1, s18, v1
	s_waitcnt vmcnt(0)
	v_cvt_f32_f16_e32 v2, v2
	v_mul_f32_e32 v1, v1, v2
.LBB129_8:
	s_or_b64 exec, exec, s[22:23]
	v_lshlrev_b32_e32 v2, 2, v0
	ds_write_b32 v2, v1
.LBB129_9:
	s_or_b64 exec, exec, s[6:7]
	v_or_b32_e32 v1, 0x100, v0
	v_lshrrev_b32_e32 v1, s2, v1
	v_add_u32_e32 v8, s4, v1
	v_cmp_gt_u32_e32 vcc, s5, v8
	s_and_saveexec_b64 s[6:7], vcc
	s_cbranch_execz .LBB129_13
; %bb.10:
	v_mov_b32_e32 v9, 0
	v_lshlrev_b64 v[2:3], 3, v[8:9]
	v_mov_b32_e32 v1, s19
	v_add_co_u32_e32 v2, vcc, s3, v2
	v_addc_co_u32_e32 v3, vcc, v1, v3, vcc
	global_load_dwordx2 v[2:3], v[2:3], off
	v_mov_b32_e32 v1, s9
	s_waitcnt vmcnt(0)
	v_lshlrev_b64 v[2:3], 3, v[2:3]
	v_add_co_u32_e32 v2, vcc, s8, v2
	v_addc_co_u32_e32 v3, vcc, v1, v3, vcc
	global_load_dwordx4 v[2:5], v[2:3], off
	s_waitcnt vmcnt(0)
	v_sub_co_u32_e32 v4, vcc, v4, v2
	v_subb_co_u32_e32 v5, vcc, v5, v3, vcc
	v_cmp_gt_i64_e32 vcc, v[4:5], v[6:7]
	s_and_saveexec_b64 s[22:23], vcc
	s_cbranch_execz .LBB129_12
; %bb.11:
	v_subrev_co_u32_e32 v1, vcc, s20, v2
	v_subbrev_co_u32_e32 v3, vcc, 0, v3, vcc
	v_add_co_u32_e32 v2, vcc, v1, v6
	v_addc_co_u32_e32 v3, vcc, 0, v3, vcc
	v_lshlrev_b64 v[4:5], 3, v[2:3]
	v_mov_b32_e32 v1, s11
	v_add_co_u32_e32 v4, vcc, s10, v4
	v_addc_co_u32_e32 v5, vcc, v1, v5, vcc
	global_load_dwordx2 v[4:5], v[4:5], off
	v_lshlrev_b64 v[2:3], 1, v[2:3]
	v_mov_b32_e32 v1, s13
	v_add_co_u32_e32 v2, vcc, s12, v2
	v_addc_co_u32_e32 v3, vcc, v1, v3, vcc
	global_load_ushort v1, v[2:3], off
	v_mov_b32_e32 v8, s15
	s_waitcnt vmcnt(1)
	v_subrev_co_u32_e32 v2, vcc, s20, v4
	v_subbrev_co_u32_e32 v3, vcc, 0, v5, vcc
	v_lshlrev_b64 v[2:3], 1, v[2:3]
	v_add_co_u32_e32 v2, vcc, s14, v2
	v_addc_co_u32_e32 v3, vcc, v8, v3, vcc
	global_load_ushort v2, v[2:3], off
	s_waitcnt vmcnt(1)
	v_cvt_f32_f16_e32 v1, v1
	v_mul_f32_e32 v1, s18, v1
	s_waitcnt vmcnt(0)
	v_cvt_f32_f16_e32 v2, v2
	v_mul_f32_e32 v9, v1, v2
.LBB129_12:
	s_or_b64 exec, exec, s[22:23]
	v_lshlrev_b32_e32 v1, 2, v0
	ds_write_b32 v1, v9 offset:1024
.LBB129_13:
	s_or_b64 exec, exec, s[6:7]
	v_or_b32_e32 v1, 0x200, v0
	v_lshrrev_b32_e32 v1, s2, v1
	v_add_u32_e32 v8, s4, v1
	v_cmp_gt_u32_e32 vcc, s5, v8
	s_and_saveexec_b64 s[6:7], vcc
	s_cbranch_execz .LBB129_17
; %bb.14:
	v_mov_b32_e32 v9, 0
	v_lshlrev_b64 v[2:3], 3, v[8:9]
	v_mov_b32_e32 v1, s19
	v_add_co_u32_e32 v2, vcc, s3, v2
	v_addc_co_u32_e32 v3, vcc, v1, v3, vcc
	global_load_dwordx2 v[2:3], v[2:3], off
	v_mov_b32_e32 v1, s9
	s_waitcnt vmcnt(0)
	v_lshlrev_b64 v[2:3], 3, v[2:3]
	v_add_co_u32_e32 v2, vcc, s8, v2
	v_addc_co_u32_e32 v3, vcc, v1, v3, vcc
	global_load_dwordx4 v[2:5], v[2:3], off
	s_waitcnt vmcnt(0)
	v_sub_co_u32_e32 v4, vcc, v4, v2
	v_subb_co_u32_e32 v5, vcc, v5, v3, vcc
	v_cmp_gt_i64_e32 vcc, v[4:5], v[6:7]
	s_and_saveexec_b64 s[22:23], vcc
	s_cbranch_execz .LBB129_16
; %bb.15:
	v_subrev_co_u32_e32 v1, vcc, s20, v2
	v_subbrev_co_u32_e32 v3, vcc, 0, v3, vcc
	v_add_co_u32_e32 v2, vcc, v1, v6
	v_addc_co_u32_e32 v3, vcc, 0, v3, vcc
	v_lshlrev_b64 v[4:5], 3, v[2:3]
	v_mov_b32_e32 v1, s11
	v_add_co_u32_e32 v4, vcc, s10, v4
	v_addc_co_u32_e32 v5, vcc, v1, v5, vcc
	global_load_dwordx2 v[4:5], v[4:5], off
	v_lshlrev_b64 v[2:3], 1, v[2:3]
	v_mov_b32_e32 v1, s13
	v_add_co_u32_e32 v2, vcc, s12, v2
	v_addc_co_u32_e32 v3, vcc, v1, v3, vcc
	global_load_ushort v1, v[2:3], off
	v_mov_b32_e32 v8, s15
	s_waitcnt vmcnt(1)
	v_subrev_co_u32_e32 v2, vcc, s20, v4
	v_subbrev_co_u32_e32 v3, vcc, 0, v5, vcc
	v_lshlrev_b64 v[2:3], 1, v[2:3]
	v_add_co_u32_e32 v2, vcc, s14, v2
	v_addc_co_u32_e32 v3, vcc, v8, v3, vcc
	global_load_ushort v2, v[2:3], off
	s_waitcnt vmcnt(1)
	v_cvt_f32_f16_e32 v1, v1
	v_mul_f32_e32 v1, s18, v1
	s_waitcnt vmcnt(0)
	v_cvt_f32_f16_e32 v2, v2
	v_mul_f32_e32 v9, v1, v2
.LBB129_16:
	s_or_b64 exec, exec, s[22:23]
	v_lshlrev_b32_e32 v1, 2, v0
	ds_write_b32 v1, v9 offset:2048
.LBB129_17:
	;; [unrolled: 60-line block ×3, first 2 shown]
	s_or_b64 exec, exec, s[6:7]
	s_cmp_lt_u32 s2, 11
	s_waitcnt lgkmcnt(0)
	s_barrier
	s_cbranch_scc0 .LBB129_30
; %bb.22:
	s_sub_i32 s10, s5, s4
	s_mov_b32 s5, 0
	s_lshl_b64 s[6:7], s[4:5], 3
	s_add_u32 s3, s3, s6
	s_addc_u32 s4, s19, s7
	v_cmp_neq_f32_e64 s[6:7], s0, 0
	v_mov_b32_e32 v3, 0
	s_branch .LBB129_25
.LBB129_23:                             ;   in Loop: Header=BB129_25 Depth=1
	v_mov_b32_e32 v2, s17
	v_add_co_u32_e32 v4, vcc, s16, v4
	v_addc_co_u32_e32 v5, vcc, v2, v5, vcc
	global_store_dword v[4:5], v1, off
.LBB129_24:                             ;   in Loop: Header=BB129_25 Depth=1
	s_or_b64 exec, exec, s[8:9]
	s_addk_i32 s5, 0x100
	s_cmp_lt_u32 s5, s1
	s_cbranch_scc0 .LBB129_30
.LBB129_25:                             ; =>This Loop Header: Depth=1
                                        ;     Child Loop BB129_27 Depth 2
	v_add_u32_e32 v2, s5, v0
	v_cmp_gt_u32_e32 vcc, s10, v2
	s_and_saveexec_b64 s[8:9], vcc
	s_cbranch_execz .LBB129_24
; %bb.26:                               ;   in Loop: Header=BB129_25 Depth=1
	v_lshlrev_b64 v[4:5], 3, v[2:3]
	v_mov_b32_e32 v1, s4
	v_add_co_u32_e32 v4, vcc, s3, v4
	v_addc_co_u32_e32 v5, vcc, v1, v5, vcc
	global_load_dwordx2 v[4:5], v[4:5], off
	v_lshlrev_b32_e32 v1, s2, v2
	v_lshlrev_b32_e32 v2, 2, v1
	s_mov_b32 s11, 1
	v_mov_b32_e32 v1, 0
.LBB129_27:                             ;   Parent Loop BB129_25 Depth=1
                                        ; =>  This Inner Loop Header: Depth=2
	ds_read_b32 v6, v2
	s_lshr_b32 s12, s11, s2
	s_add_i32 s11, s11, 1
	v_add_u32_e32 v2, 4, v2
	s_cmp_lg_u32 s12, 0
	s_waitcnt lgkmcnt(0)
	v_add_f32_e32 v1, v1, v6
	s_cbranch_scc0 .LBB129_27
; %bb.28:                               ;   in Loop: Header=BB129_25 Depth=1
	s_and_b64 vcc, exec, s[6:7]
	s_waitcnt vmcnt(0)
	v_lshlrev_b64 v[4:5], 2, v[4:5]
	s_cbranch_vccz .LBB129_23
; %bb.29:                               ;   in Loop: Header=BB129_25 Depth=1
	v_mov_b32_e32 v2, s17
	v_add_co_u32_e32 v6, vcc, s16, v4
	v_addc_co_u32_e32 v7, vcc, v2, v5, vcc
	global_load_dword v2, v[6:7], off
	s_waitcnt vmcnt(0)
	v_fmac_f32_e32 v1, s0, v2
	s_branch .LBB129_23
.LBB129_30:
	s_endpgm
	.section	.rodata,"a",@progbits
	.p2align	6, 0x0
	.amdhsa_kernel _ZN9rocsparseL30csrmvn_lrb_short_rows_2_kernelIllDF16_DF16_ffEEvbT_PT0_S3_jNS_24const_host_device_scalarIT4_EEPKS1_PKS2_PKT1_PKT2_S6_PT3_21rocsparse_index_base_b
		.amdhsa_group_segment_fixed_size 4096
		.amdhsa_private_segment_fixed_size 0
		.amdhsa_kernarg_size 104
		.amdhsa_user_sgpr_count 6
		.amdhsa_user_sgpr_private_segment_buffer 1
		.amdhsa_user_sgpr_dispatch_ptr 0
		.amdhsa_user_sgpr_queue_ptr 0
		.amdhsa_user_sgpr_kernarg_segment_ptr 1
		.amdhsa_user_sgpr_dispatch_id 0
		.amdhsa_user_sgpr_flat_scratch_init 0
		.amdhsa_user_sgpr_kernarg_preload_length 0
		.amdhsa_user_sgpr_kernarg_preload_offset 0
		.amdhsa_user_sgpr_private_segment_size 0
		.amdhsa_uses_dynamic_stack 0
		.amdhsa_system_sgpr_private_segment_wavefront_offset 0
		.amdhsa_system_sgpr_workgroup_id_x 1
		.amdhsa_system_sgpr_workgroup_id_y 0
		.amdhsa_system_sgpr_workgroup_id_z 0
		.amdhsa_system_sgpr_workgroup_info 0
		.amdhsa_system_vgpr_workitem_id 0
		.amdhsa_next_free_vgpr 10
		.amdhsa_next_free_sgpr 30
		.amdhsa_accum_offset 12
		.amdhsa_reserve_vcc 1
		.amdhsa_reserve_flat_scratch 0
		.amdhsa_float_round_mode_32 0
		.amdhsa_float_round_mode_16_64 0
		.amdhsa_float_denorm_mode_32 3
		.amdhsa_float_denorm_mode_16_64 3
		.amdhsa_dx10_clamp 1
		.amdhsa_ieee_mode 1
		.amdhsa_fp16_overflow 0
		.amdhsa_tg_split 0
		.amdhsa_exception_fp_ieee_invalid_op 0
		.amdhsa_exception_fp_denorm_src 0
		.amdhsa_exception_fp_ieee_div_zero 0
		.amdhsa_exception_fp_ieee_overflow 0
		.amdhsa_exception_fp_ieee_underflow 0
		.amdhsa_exception_fp_ieee_inexact 0
		.amdhsa_exception_int_div_zero 0
	.end_amdhsa_kernel
	.section	.text._ZN9rocsparseL30csrmvn_lrb_short_rows_2_kernelIllDF16_DF16_ffEEvbT_PT0_S3_jNS_24const_host_device_scalarIT4_EEPKS1_PKS2_PKT1_PKT2_S6_PT3_21rocsparse_index_base_b,"axG",@progbits,_ZN9rocsparseL30csrmvn_lrb_short_rows_2_kernelIllDF16_DF16_ffEEvbT_PT0_S3_jNS_24const_host_device_scalarIT4_EEPKS1_PKS2_PKT1_PKT2_S6_PT3_21rocsparse_index_base_b,comdat
.Lfunc_end129:
	.size	_ZN9rocsparseL30csrmvn_lrb_short_rows_2_kernelIllDF16_DF16_ffEEvbT_PT0_S3_jNS_24const_host_device_scalarIT4_EEPKS1_PKS2_PKT1_PKT2_S6_PT3_21rocsparse_index_base_b, .Lfunc_end129-_ZN9rocsparseL30csrmvn_lrb_short_rows_2_kernelIllDF16_DF16_ffEEvbT_PT0_S3_jNS_24const_host_device_scalarIT4_EEPKS1_PKS2_PKT1_PKT2_S6_PT3_21rocsparse_index_base_b
                                        ; -- End function
	.section	.AMDGPU.csdata,"",@progbits
; Kernel info:
; codeLenInByte = 1568
; NumSgprs: 34
; NumVgprs: 10
; NumAgprs: 0
; TotalNumVgprs: 10
; ScratchSize: 0
; MemoryBound: 0
; FloatMode: 240
; IeeeMode: 1
; LDSByteSize: 4096 bytes/workgroup (compile time only)
; SGPRBlocks: 4
; VGPRBlocks: 1
; NumSGPRsForWavesPerEU: 34
; NumVGPRsForWavesPerEU: 10
; AccumOffset: 12
; Occupancy: 8
; WaveLimiterHint : 1
; COMPUTE_PGM_RSRC2:SCRATCH_EN: 0
; COMPUTE_PGM_RSRC2:USER_SGPR: 6
; COMPUTE_PGM_RSRC2:TRAP_HANDLER: 0
; COMPUTE_PGM_RSRC2:TGID_X_EN: 1
; COMPUTE_PGM_RSRC2:TGID_Y_EN: 0
; COMPUTE_PGM_RSRC2:TGID_Z_EN: 0
; COMPUTE_PGM_RSRC2:TIDIG_COMP_CNT: 0
; COMPUTE_PGM_RSRC3_GFX90A:ACCUM_OFFSET: 2
; COMPUTE_PGM_RSRC3_GFX90A:TG_SPLIT: 0
	.section	.text._ZN9rocsparseL41csrmvn_lrb_medium_rows_warp_reduce_kernelILj256ELj32EllDF16_DF16_ffEEvbT1_lPT2_S3_jNS_24const_host_device_scalarIT6_EEPKS1_PKS2_PKT3_PKT4_S6_PT5_21rocsparse_index_base_b,"axG",@progbits,_ZN9rocsparseL41csrmvn_lrb_medium_rows_warp_reduce_kernelILj256ELj32EllDF16_DF16_ffEEvbT1_lPT2_S3_jNS_24const_host_device_scalarIT6_EEPKS1_PKS2_PKT3_PKT4_S6_PT5_21rocsparse_index_base_b,comdat
	.globl	_ZN9rocsparseL41csrmvn_lrb_medium_rows_warp_reduce_kernelILj256ELj32EllDF16_DF16_ffEEvbT1_lPT2_S3_jNS_24const_host_device_scalarIT6_EEPKS1_PKS2_PKT3_PKT4_S6_PT5_21rocsparse_index_base_b ; -- Begin function _ZN9rocsparseL41csrmvn_lrb_medium_rows_warp_reduce_kernelILj256ELj32EllDF16_DF16_ffEEvbT1_lPT2_S3_jNS_24const_host_device_scalarIT6_EEPKS1_PKS2_PKT3_PKT4_S6_PT5_21rocsparse_index_base_b
	.p2align	8
	.type	_ZN9rocsparseL41csrmvn_lrb_medium_rows_warp_reduce_kernelILj256ELj32EllDF16_DF16_ffEEvbT1_lPT2_S3_jNS_24const_host_device_scalarIT6_EEPKS1_PKS2_PKT3_PKT4_S6_PT5_21rocsparse_index_base_b,@function
_ZN9rocsparseL41csrmvn_lrb_medium_rows_warp_reduce_kernelILj256ELj32EllDF16_DF16_ffEEvbT1_lPT2_S3_jNS_24const_host_device_scalarIT6_EEPKS1_PKS2_PKT3_PKT4_S6_PT5_21rocsparse_index_base_b: ; @_ZN9rocsparseL41csrmvn_lrb_medium_rows_warp_reduce_kernelILj256ELj32EllDF16_DF16_ffEEvbT1_lPT2_S3_jNS_24const_host_device_scalarIT6_EEPKS1_PKS2_PKT3_PKT4_S6_PT5_21rocsparse_index_base_b
; %bb.0:
	s_load_dwordx2 s[2:3], s[4:5], 0x68
	s_load_dwordx2 s[8:9], s[4:5], 0x30
	;; [unrolled: 1-line block ×3, first 2 shown]
	s_waitcnt lgkmcnt(0)
	s_bitcmp1_b32 s3, 0
	s_cselect_b64 s[12:13], -1, 0
	s_xor_b64 s[10:11], s[12:13], -1
	s_and_b64 vcc, exec, s[12:13]
	s_cbranch_vccnz .LBB130_2
; %bb.1:
	s_load_dword s8, s[8:9], 0x0
.LBB130_2:
	s_andn2_b64 vcc, exec, s[10:11]
	s_cbranch_vccnz .LBB130_4
; %bb.3:
	s_load_dword s0, s[0:1], 0x0
.LBB130_4:
	s_waitcnt lgkmcnt(0)
	v_cmp_neq_f32_e64 s[10:11], s8, 0
	v_cmp_neq_f32_e64 s[12:13], s0, 1.0
	s_or_b64 s[10:11], s[10:11], s[12:13]
	s_andn2_b64 vcc, exec, s[10:11]
	s_cbranch_vccnz .LBB130_14
; %bb.5:
	s_load_dwordx2 s[10:11], s[4:5], 0x10
	v_lshrrev_b32_e32 v1, 5, v0
	v_lshl_or_b32 v2, s6, 3, v1
	v_ashrrev_i32_e32 v3, 31, v2
	s_waitcnt lgkmcnt(0)
	v_cmp_gt_i64_e32 vcc, s[10:11], v[2:3]
	s_and_saveexec_b64 s[6:7], vcc
	s_cbranch_execz .LBB130_14
; %bb.6:
	s_load_dword s10, s[4:5], 0x28
	s_load_dwordx4 s[12:15], s[4:5], 0x18
	s_mov_b32 s11, 0
	v_lshlrev_b64 v[2:3], 3, v[2:3]
	v_and_b32_e32 v10, 31, v0
	s_waitcnt lgkmcnt(0)
	s_lshl_b64 s[6:7], s[10:11], 3
	s_add_u32 s6, s14, s6
	s_addc_u32 s7, s15, s7
	s_load_dwordx2 s[6:7], s[6:7], 0x0
	v_mov_b32_e32 v11, 0
	s_waitcnt lgkmcnt(0)
	s_lshl_b64 s[6:7], s[6:7], 3
	s_add_u32 s1, s12, s6
	s_addc_u32 s3, s13, s7
	v_mov_b32_e32 v1, s3
	v_add_co_u32_e32 v2, vcc, s1, v2
	v_addc_co_u32_e32 v3, vcc, v1, v3, vcc
	global_load_dwordx2 v[2:3], v[2:3], off
	s_load_dwordx2 s[6:7], s[4:5], 0x38
	s_mov_b32 s1, s11
	s_waitcnt lgkmcnt(0)
	v_mov_b32_e32 v1, s7
	s_waitcnt vmcnt(0)
	v_lshlrev_b64 v[4:5], 3, v[2:3]
	v_add_co_u32_e32 v4, vcc, s6, v4
	v_addc_co_u32_e32 v5, vcc, v1, v5, vcc
	global_load_dwordx4 v[4:7], v[4:5], off
	v_subrev_co_u32_e32 v8, vcc, s2, v10
	s_load_dwordx2 s[6:7], s[4:5], 0x60
	v_subb_co_u32_e64 v9, s[10:11], 0, 0, vcc
	s_waitcnt vmcnt(0)
	v_subrev_co_u32_e32 v0, vcc, s2, v6
	v_subbrev_co_u32_e32 v1, vcc, 0, v7, vcc
	v_add_co_u32_e32 v4, vcc, v4, v8
	v_addc_co_u32_e32 v5, vcc, v5, v9, vcc
	v_cmp_lt_i64_e32 vcc, v[4:5], v[0:1]
	s_and_saveexec_b64 s[10:11], vcc
	s_cbranch_execz .LBB130_10
; %bb.7:
	s_load_dwordx4 s[16:19], s[4:5], 0x40
	s_load_dwordx2 s[12:13], s[4:5], 0x50
	v_lshlrev_b64 v[6:7], 1, v[4:5]
	s_mov_b64 s[4:5], 0
	v_mov_b32_e32 v12, s1
	s_waitcnt lgkmcnt(0)
	v_mov_b32_e32 v8, s19
	v_add_co_u32_e32 v6, vcc, s18, v6
	v_addc_co_u32_e32 v7, vcc, v8, v7, vcc
	v_lshlrev_b64 v[8:9], 3, v[4:5]
	v_mov_b32_e32 v11, s17
	v_add_co_u32_e32 v8, vcc, s16, v8
	v_addc_co_u32_e32 v9, vcc, v11, v9, vcc
	v_mov_b32_e32 v11, 0
	v_mov_b32_e32 v13, s13
.LBB130_8:                              ; =>This Inner Loop Header: Depth=1
	global_load_dwordx2 v[14:15], v[8:9], off
	global_load_ushort v16, v[6:7], off
	s_waitcnt vmcnt(1)
	v_subrev_co_u32_e32 v14, vcc, s2, v14
	v_subb_co_u32_e32 v15, vcc, v15, v12, vcc
	v_lshlrev_b64 v[14:15], 1, v[14:15]
	v_add_co_u32_e32 v14, vcc, s12, v14
	v_addc_co_u32_e32 v15, vcc, v13, v15, vcc
	global_load_ushort v14, v[14:15], off
	v_add_co_u32_e32 v4, vcc, 32, v4
	v_addc_co_u32_e32 v5, vcc, 0, v5, vcc
	v_add_co_u32_e32 v6, vcc, 64, v6
	s_waitcnt vmcnt(1)
	v_cvt_f32_f16_e32 v15, v16
	v_addc_co_u32_e32 v7, vcc, 0, v7, vcc
	v_add_co_u32_e32 v8, vcc, 0x100, v8
	v_addc_co_u32_e32 v9, vcc, 0, v9, vcc
	v_cmp_ge_i64_e32 vcc, v[4:5], v[0:1]
	v_mul_f32_e32 v15, s8, v15
	s_or_b64 s[4:5], vcc, s[4:5]
	s_waitcnt vmcnt(0)
	v_fma_mix_f32 v11, v15, v14, v11 op_sel_hi:[0,1,0]
	s_andn2_b64 exec, exec, s[4:5]
	s_cbranch_execnz .LBB130_8
; %bb.9:
	s_or_b64 exec, exec, s[4:5]
.LBB130_10:
	s_or_b64 exec, exec, s[10:11]
	v_mov_b32_dpp v0, v11 row_shr:1 row_mask:0xf bank_mask:0xf
	v_add_f32_e32 v0, v11, v0
	v_cmp_eq_u32_e32 vcc, 31, v10
	s_nop 0
	v_mov_b32_dpp v1, v0 row_shr:2 row_mask:0xf bank_mask:0xf
	v_add_f32_e32 v0, v0, v1
	s_nop 1
	v_mov_b32_dpp v1, v0 row_shr:4 row_mask:0xf bank_mask:0xe
	v_add_f32_e32 v0, v0, v1
	;; [unrolled: 3-line block ×3, first 2 shown]
	s_nop 1
	v_mov_b32_dpp v1, v0 row_bcast:15 row_mask:0xa bank_mask:0xf
	s_and_b64 exec, exec, vcc
	s_cbranch_execz .LBB130_14
; %bb.11:
	v_cmp_eq_f32_e64 s[2:3], s0, 0
	v_add_f32_e32 v4, v0, v1
	s_and_b64 vcc, exec, s[2:3]
	v_lshlrev_b64 v[0:1], 2, v[2:3]
	s_cbranch_vccnz .LBB130_13
; %bb.12:
	s_waitcnt lgkmcnt(0)
	v_mov_b32_e32 v3, s7
	v_add_co_u32_e32 v2, vcc, s6, v0
	v_addc_co_u32_e32 v3, vcc, v3, v1, vcc
	global_load_dword v2, v[2:3], off
	s_waitcnt vmcnt(0)
	v_fmac_f32_e32 v4, s0, v2
.LBB130_13:
	s_waitcnt lgkmcnt(0)
	v_mov_b32_e32 v2, s7
	v_add_co_u32_e32 v0, vcc, s6, v0
	v_addc_co_u32_e32 v1, vcc, v2, v1, vcc
	global_store_dword v[0:1], v4, off
.LBB130_14:
	s_endpgm
	.section	.rodata,"a",@progbits
	.p2align	6, 0x0
	.amdhsa_kernel _ZN9rocsparseL41csrmvn_lrb_medium_rows_warp_reduce_kernelILj256ELj32EllDF16_DF16_ffEEvbT1_lPT2_S3_jNS_24const_host_device_scalarIT6_EEPKS1_PKS2_PKT3_PKT4_S6_PT5_21rocsparse_index_base_b
		.amdhsa_group_segment_fixed_size 0
		.amdhsa_private_segment_fixed_size 0
		.amdhsa_kernarg_size 112
		.amdhsa_user_sgpr_count 6
		.amdhsa_user_sgpr_private_segment_buffer 1
		.amdhsa_user_sgpr_dispatch_ptr 0
		.amdhsa_user_sgpr_queue_ptr 0
		.amdhsa_user_sgpr_kernarg_segment_ptr 1
		.amdhsa_user_sgpr_dispatch_id 0
		.amdhsa_user_sgpr_flat_scratch_init 0
		.amdhsa_user_sgpr_kernarg_preload_length 0
		.amdhsa_user_sgpr_kernarg_preload_offset 0
		.amdhsa_user_sgpr_private_segment_size 0
		.amdhsa_uses_dynamic_stack 0
		.amdhsa_system_sgpr_private_segment_wavefront_offset 0
		.amdhsa_system_sgpr_workgroup_id_x 1
		.amdhsa_system_sgpr_workgroup_id_y 0
		.amdhsa_system_sgpr_workgroup_id_z 0
		.amdhsa_system_sgpr_workgroup_info 0
		.amdhsa_system_vgpr_workitem_id 0
		.amdhsa_next_free_vgpr 17
		.amdhsa_next_free_sgpr 20
		.amdhsa_accum_offset 20
		.amdhsa_reserve_vcc 1
		.amdhsa_reserve_flat_scratch 0
		.amdhsa_float_round_mode_32 0
		.amdhsa_float_round_mode_16_64 0
		.amdhsa_float_denorm_mode_32 3
		.amdhsa_float_denorm_mode_16_64 3
		.amdhsa_dx10_clamp 1
		.amdhsa_ieee_mode 1
		.amdhsa_fp16_overflow 0
		.amdhsa_tg_split 0
		.amdhsa_exception_fp_ieee_invalid_op 0
		.amdhsa_exception_fp_denorm_src 0
		.amdhsa_exception_fp_ieee_div_zero 0
		.amdhsa_exception_fp_ieee_overflow 0
		.amdhsa_exception_fp_ieee_underflow 0
		.amdhsa_exception_fp_ieee_inexact 0
		.amdhsa_exception_int_div_zero 0
	.end_amdhsa_kernel
	.section	.text._ZN9rocsparseL41csrmvn_lrb_medium_rows_warp_reduce_kernelILj256ELj32EllDF16_DF16_ffEEvbT1_lPT2_S3_jNS_24const_host_device_scalarIT6_EEPKS1_PKS2_PKT3_PKT4_S6_PT5_21rocsparse_index_base_b,"axG",@progbits,_ZN9rocsparseL41csrmvn_lrb_medium_rows_warp_reduce_kernelILj256ELj32EllDF16_DF16_ffEEvbT1_lPT2_S3_jNS_24const_host_device_scalarIT6_EEPKS1_PKS2_PKT3_PKT4_S6_PT5_21rocsparse_index_base_b,comdat
.Lfunc_end130:
	.size	_ZN9rocsparseL41csrmvn_lrb_medium_rows_warp_reduce_kernelILj256ELj32EllDF16_DF16_ffEEvbT1_lPT2_S3_jNS_24const_host_device_scalarIT6_EEPKS1_PKS2_PKT3_PKT4_S6_PT5_21rocsparse_index_base_b, .Lfunc_end130-_ZN9rocsparseL41csrmvn_lrb_medium_rows_warp_reduce_kernelILj256ELj32EllDF16_DF16_ffEEvbT1_lPT2_S3_jNS_24const_host_device_scalarIT6_EEPKS1_PKS2_PKT3_PKT4_S6_PT5_21rocsparse_index_base_b
                                        ; -- End function
	.section	.AMDGPU.csdata,"",@progbits
; Kernel info:
; codeLenInByte = 716
; NumSgprs: 24
; NumVgprs: 17
; NumAgprs: 0
; TotalNumVgprs: 17
; ScratchSize: 0
; MemoryBound: 0
; FloatMode: 240
; IeeeMode: 1
; LDSByteSize: 0 bytes/workgroup (compile time only)
; SGPRBlocks: 2
; VGPRBlocks: 2
; NumSGPRsForWavesPerEU: 24
; NumVGPRsForWavesPerEU: 17
; AccumOffset: 20
; Occupancy: 8
; WaveLimiterHint : 1
; COMPUTE_PGM_RSRC2:SCRATCH_EN: 0
; COMPUTE_PGM_RSRC2:USER_SGPR: 6
; COMPUTE_PGM_RSRC2:TRAP_HANDLER: 0
; COMPUTE_PGM_RSRC2:TGID_X_EN: 1
; COMPUTE_PGM_RSRC2:TGID_Y_EN: 0
; COMPUTE_PGM_RSRC2:TGID_Z_EN: 0
; COMPUTE_PGM_RSRC2:TIDIG_COMP_CNT: 0
; COMPUTE_PGM_RSRC3_GFX90A:ACCUM_OFFSET: 4
; COMPUTE_PGM_RSRC3_GFX90A:TG_SPLIT: 0
	.section	.text._ZN9rocsparseL41csrmvn_lrb_medium_rows_warp_reduce_kernelILj256ELj64EllDF16_DF16_ffEEvbT1_lPT2_S3_jNS_24const_host_device_scalarIT6_EEPKS1_PKS2_PKT3_PKT4_S6_PT5_21rocsparse_index_base_b,"axG",@progbits,_ZN9rocsparseL41csrmvn_lrb_medium_rows_warp_reduce_kernelILj256ELj64EllDF16_DF16_ffEEvbT1_lPT2_S3_jNS_24const_host_device_scalarIT6_EEPKS1_PKS2_PKT3_PKT4_S6_PT5_21rocsparse_index_base_b,comdat
	.globl	_ZN9rocsparseL41csrmvn_lrb_medium_rows_warp_reduce_kernelILj256ELj64EllDF16_DF16_ffEEvbT1_lPT2_S3_jNS_24const_host_device_scalarIT6_EEPKS1_PKS2_PKT3_PKT4_S6_PT5_21rocsparse_index_base_b ; -- Begin function _ZN9rocsparseL41csrmvn_lrb_medium_rows_warp_reduce_kernelILj256ELj64EllDF16_DF16_ffEEvbT1_lPT2_S3_jNS_24const_host_device_scalarIT6_EEPKS1_PKS2_PKT3_PKT4_S6_PT5_21rocsparse_index_base_b
	.p2align	8
	.type	_ZN9rocsparseL41csrmvn_lrb_medium_rows_warp_reduce_kernelILj256ELj64EllDF16_DF16_ffEEvbT1_lPT2_S3_jNS_24const_host_device_scalarIT6_EEPKS1_PKS2_PKT3_PKT4_S6_PT5_21rocsparse_index_base_b,@function
_ZN9rocsparseL41csrmvn_lrb_medium_rows_warp_reduce_kernelILj256ELj64EllDF16_DF16_ffEEvbT1_lPT2_S3_jNS_24const_host_device_scalarIT6_EEPKS1_PKS2_PKT3_PKT4_S6_PT5_21rocsparse_index_base_b: ; @_ZN9rocsparseL41csrmvn_lrb_medium_rows_warp_reduce_kernelILj256ELj64EllDF16_DF16_ffEEvbT1_lPT2_S3_jNS_24const_host_device_scalarIT6_EEPKS1_PKS2_PKT3_PKT4_S6_PT5_21rocsparse_index_base_b
; %bb.0:
	s_load_dwordx2 s[8:9], s[4:5], 0x68
	s_load_dwordx2 s[10:11], s[4:5], 0x30
	;; [unrolled: 1-line block ×3, first 2 shown]
	s_waitcnt lgkmcnt(0)
	s_bitcmp1_b32 s9, 0
	s_cselect_b64 s[12:13], -1, 0
	s_xor_b64 s[0:1], s[12:13], -1
	s_and_b64 vcc, exec, s[12:13]
	s_cbranch_vccnz .LBB131_2
; %bb.1:
	s_load_dword s10, s[10:11], 0x0
.LBB131_2:
	s_andn2_b64 vcc, exec, s[0:1]
	s_cbranch_vccnz .LBB131_4
; %bb.3:
	s_load_dword s2, s[2:3], 0x0
.LBB131_4:
	s_waitcnt lgkmcnt(0)
	v_cmp_neq_f32_e64 s[0:1], s10, 0
	v_cmp_neq_f32_e64 s[12:13], s2, 1.0
	s_or_b64 s[0:1], s[0:1], s[12:13]
	s_andn2_b64 vcc, exec, s[0:1]
	s_cbranch_vccnz .LBB131_14
; %bb.5:
	s_load_dwordx2 s[0:1], s[4:5], 0x10
	v_lshrrev_b32_e32 v1, 6, v0
	v_lshl_or_b32 v2, s6, 2, v1
	v_ashrrev_i32_e32 v3, 31, v2
	s_waitcnt lgkmcnt(0)
	v_cmp_gt_i64_e32 vcc, s[0:1], v[2:3]
	s_and_saveexec_b64 s[0:1], vcc
	s_cbranch_execz .LBB131_14
; %bb.6:
	s_load_dword s0, s[4:5], 0x28
	s_load_dwordx4 s[12:15], s[4:5], 0x18
	s_mov_b32 s1, 0
	v_lshlrev_b64 v[2:3], 3, v[2:3]
	v_and_b32_e32 v10, 63, v0
	s_waitcnt lgkmcnt(0)
	s_lshl_b64 s[6:7], s[0:1], 3
	s_add_u32 s6, s14, s6
	s_addc_u32 s7, s15, s7
	s_load_dwordx2 s[6:7], s[6:7], 0x0
	v_mov_b32_e32 v11, 0
	s_waitcnt lgkmcnt(0)
	s_lshl_b64 s[6:7], s[6:7], 3
	s_add_u32 s0, s12, s6
	s_addc_u32 s3, s13, s7
	v_mov_b32_e32 v1, s3
	v_add_co_u32_e32 v2, vcc, s0, v2
	v_addc_co_u32_e32 v3, vcc, v1, v3, vcc
	global_load_dwordx2 v[2:3], v[2:3], off
	s_load_dwordx2 s[6:7], s[4:5], 0x38
	s_waitcnt lgkmcnt(0)
	v_mov_b32_e32 v1, s7
	s_waitcnt vmcnt(0)
	v_lshlrev_b64 v[4:5], 3, v[2:3]
	v_add_co_u32_e32 v4, vcc, s6, v4
	v_addc_co_u32_e32 v5, vcc, v1, v5, vcc
	global_load_dwordx4 v[4:7], v[4:5], off
	v_subrev_co_u32_e32 v8, vcc, s8, v10
	s_load_dwordx2 s[6:7], s[4:5], 0x60
	v_subb_co_u32_e64 v9, s[12:13], 0, 0, vcc
	s_waitcnt vmcnt(0)
	v_subrev_co_u32_e32 v0, vcc, s8, v6
	v_subbrev_co_u32_e32 v1, vcc, 0, v7, vcc
	v_add_co_u32_e32 v4, vcc, v4, v8
	v_addc_co_u32_e32 v5, vcc, v5, v9, vcc
	v_cmp_lt_i64_e32 vcc, v[4:5], v[0:1]
	s_and_saveexec_b64 s[12:13], vcc
	s_cbranch_execz .LBB131_10
; %bb.7:
	s_load_dwordx4 s[16:19], s[4:5], 0x40
	s_load_dwordx2 s[14:15], s[4:5], 0x50
	v_lshlrev_b64 v[6:7], 1, v[4:5]
	s_mov_b64 s[4:5], 0
	v_mov_b32_e32 v12, s1
	s_waitcnt lgkmcnt(0)
	v_mov_b32_e32 v8, s19
	v_add_co_u32_e32 v6, vcc, s18, v6
	v_addc_co_u32_e32 v7, vcc, v8, v7, vcc
	v_lshlrev_b64 v[8:9], 3, v[4:5]
	v_mov_b32_e32 v11, s17
	v_add_co_u32_e32 v8, vcc, s16, v8
	v_addc_co_u32_e32 v9, vcc, v11, v9, vcc
	v_mov_b32_e32 v11, 0
	v_mov_b32_e32 v13, s15
.LBB131_8:                              ; =>This Inner Loop Header: Depth=1
	global_load_dwordx2 v[14:15], v[8:9], off
	global_load_ushort v16, v[6:7], off
	s_waitcnt vmcnt(1)
	v_subrev_co_u32_e32 v14, vcc, s8, v14
	v_subb_co_u32_e32 v15, vcc, v15, v12, vcc
	v_lshlrev_b64 v[14:15], 1, v[14:15]
	v_add_co_u32_e32 v14, vcc, s14, v14
	v_addc_co_u32_e32 v15, vcc, v13, v15, vcc
	global_load_ushort v14, v[14:15], off
	v_add_co_u32_e32 v4, vcc, 64, v4
	s_waitcnt vmcnt(1)
	v_cvt_f32_f16_e32 v15, v16
	v_addc_co_u32_e32 v5, vcc, 0, v5, vcc
	v_add_co_u32_e32 v6, vcc, 0x80, v6
	v_addc_co_u32_e32 v7, vcc, 0, v7, vcc
	v_add_co_u32_e32 v8, vcc, 0x200, v8
	v_cmp_ge_i64_e64 s[0:1], v[4:5], v[0:1]
	v_mul_f32_e32 v15, s10, v15
	v_addc_co_u32_e32 v9, vcc, 0, v9, vcc
	s_or_b64 s[4:5], s[0:1], s[4:5]
	s_waitcnt vmcnt(0)
	v_fma_mix_f32 v11, v15, v14, v11 op_sel_hi:[0,1,0]
	s_andn2_b64 exec, exec, s[4:5]
	s_cbranch_execnz .LBB131_8
; %bb.9:
	s_or_b64 exec, exec, s[4:5]
.LBB131_10:
	s_or_b64 exec, exec, s[12:13]
	v_mov_b32_dpp v0, v11 row_shr:1 row_mask:0xf bank_mask:0xf
	v_add_f32_e32 v0, v11, v0
	v_cmp_eq_u32_e32 vcc, 63, v10
	s_nop 0
	v_mov_b32_dpp v1, v0 row_shr:2 row_mask:0xf bank_mask:0xf
	v_add_f32_e32 v0, v0, v1
	s_nop 1
	v_mov_b32_dpp v1, v0 row_shr:4 row_mask:0xf bank_mask:0xe
	v_add_f32_e32 v0, v0, v1
	;; [unrolled: 3-line block ×3, first 2 shown]
	s_nop 1
	v_mov_b32_dpp v1, v0 row_bcast:15 row_mask:0xa bank_mask:0xf
	v_add_f32_e32 v0, v0, v1
	s_nop 1
	v_mov_b32_dpp v1, v0 row_bcast:31 row_mask:0xc bank_mask:0xf
	s_and_b64 exec, exec, vcc
	s_cbranch_execz .LBB131_14
; %bb.11:
	v_cmp_eq_f32_e64 s[0:1], s2, 0
	v_add_f32_e32 v4, v0, v1
	s_and_b64 vcc, exec, s[0:1]
	v_lshlrev_b64 v[0:1], 2, v[2:3]
	s_cbranch_vccnz .LBB131_13
; %bb.12:
	s_waitcnt lgkmcnt(0)
	v_mov_b32_e32 v3, s7
	v_add_co_u32_e32 v2, vcc, s6, v0
	v_addc_co_u32_e32 v3, vcc, v3, v1, vcc
	global_load_dword v2, v[2:3], off
	s_waitcnt vmcnt(0)
	v_fmac_f32_e32 v4, s2, v2
.LBB131_13:
	s_waitcnt lgkmcnt(0)
	v_mov_b32_e32 v2, s7
	v_add_co_u32_e32 v0, vcc, s6, v0
	v_addc_co_u32_e32 v1, vcc, v2, v1, vcc
	global_store_dword v[0:1], v4, off
.LBB131_14:
	s_endpgm
	.section	.rodata,"a",@progbits
	.p2align	6, 0x0
	.amdhsa_kernel _ZN9rocsparseL41csrmvn_lrb_medium_rows_warp_reduce_kernelILj256ELj64EllDF16_DF16_ffEEvbT1_lPT2_S3_jNS_24const_host_device_scalarIT6_EEPKS1_PKS2_PKT3_PKT4_S6_PT5_21rocsparse_index_base_b
		.amdhsa_group_segment_fixed_size 0
		.amdhsa_private_segment_fixed_size 0
		.amdhsa_kernarg_size 112
		.amdhsa_user_sgpr_count 6
		.amdhsa_user_sgpr_private_segment_buffer 1
		.amdhsa_user_sgpr_dispatch_ptr 0
		.amdhsa_user_sgpr_queue_ptr 0
		.amdhsa_user_sgpr_kernarg_segment_ptr 1
		.amdhsa_user_sgpr_dispatch_id 0
		.amdhsa_user_sgpr_flat_scratch_init 0
		.amdhsa_user_sgpr_kernarg_preload_length 0
		.amdhsa_user_sgpr_kernarg_preload_offset 0
		.amdhsa_user_sgpr_private_segment_size 0
		.amdhsa_uses_dynamic_stack 0
		.amdhsa_system_sgpr_private_segment_wavefront_offset 0
		.amdhsa_system_sgpr_workgroup_id_x 1
		.amdhsa_system_sgpr_workgroup_id_y 0
		.amdhsa_system_sgpr_workgroup_id_z 0
		.amdhsa_system_sgpr_workgroup_info 0
		.amdhsa_system_vgpr_workitem_id 0
		.amdhsa_next_free_vgpr 17
		.amdhsa_next_free_sgpr 20
		.amdhsa_accum_offset 20
		.amdhsa_reserve_vcc 1
		.amdhsa_reserve_flat_scratch 0
		.amdhsa_float_round_mode_32 0
		.amdhsa_float_round_mode_16_64 0
		.amdhsa_float_denorm_mode_32 3
		.amdhsa_float_denorm_mode_16_64 3
		.amdhsa_dx10_clamp 1
		.amdhsa_ieee_mode 1
		.amdhsa_fp16_overflow 0
		.amdhsa_tg_split 0
		.amdhsa_exception_fp_ieee_invalid_op 0
		.amdhsa_exception_fp_denorm_src 0
		.amdhsa_exception_fp_ieee_div_zero 0
		.amdhsa_exception_fp_ieee_overflow 0
		.amdhsa_exception_fp_ieee_underflow 0
		.amdhsa_exception_fp_ieee_inexact 0
		.amdhsa_exception_int_div_zero 0
	.end_amdhsa_kernel
	.section	.text._ZN9rocsparseL41csrmvn_lrb_medium_rows_warp_reduce_kernelILj256ELj64EllDF16_DF16_ffEEvbT1_lPT2_S3_jNS_24const_host_device_scalarIT6_EEPKS1_PKS2_PKT3_PKT4_S6_PT5_21rocsparse_index_base_b,"axG",@progbits,_ZN9rocsparseL41csrmvn_lrb_medium_rows_warp_reduce_kernelILj256ELj64EllDF16_DF16_ffEEvbT1_lPT2_S3_jNS_24const_host_device_scalarIT6_EEPKS1_PKS2_PKT3_PKT4_S6_PT5_21rocsparse_index_base_b,comdat
.Lfunc_end131:
	.size	_ZN9rocsparseL41csrmvn_lrb_medium_rows_warp_reduce_kernelILj256ELj64EllDF16_DF16_ffEEvbT1_lPT2_S3_jNS_24const_host_device_scalarIT6_EEPKS1_PKS2_PKT3_PKT4_S6_PT5_21rocsparse_index_base_b, .Lfunc_end131-_ZN9rocsparseL41csrmvn_lrb_medium_rows_warp_reduce_kernelILj256ELj64EllDF16_DF16_ffEEvbT1_lPT2_S3_jNS_24const_host_device_scalarIT6_EEPKS1_PKS2_PKT3_PKT4_S6_PT5_21rocsparse_index_base_b
                                        ; -- End function
	.section	.AMDGPU.csdata,"",@progbits
; Kernel info:
; codeLenInByte = 736
; NumSgprs: 24
; NumVgprs: 17
; NumAgprs: 0
; TotalNumVgprs: 17
; ScratchSize: 0
; MemoryBound: 0
; FloatMode: 240
; IeeeMode: 1
; LDSByteSize: 0 bytes/workgroup (compile time only)
; SGPRBlocks: 2
; VGPRBlocks: 2
; NumSGPRsForWavesPerEU: 24
; NumVGPRsForWavesPerEU: 17
; AccumOffset: 20
; Occupancy: 8
; WaveLimiterHint : 1
; COMPUTE_PGM_RSRC2:SCRATCH_EN: 0
; COMPUTE_PGM_RSRC2:USER_SGPR: 6
; COMPUTE_PGM_RSRC2:TRAP_HANDLER: 0
; COMPUTE_PGM_RSRC2:TGID_X_EN: 1
; COMPUTE_PGM_RSRC2:TGID_Y_EN: 0
; COMPUTE_PGM_RSRC2:TGID_Z_EN: 0
; COMPUTE_PGM_RSRC2:TIDIG_COMP_CNT: 0
; COMPUTE_PGM_RSRC3_GFX90A:ACCUM_OFFSET: 4
; COMPUTE_PGM_RSRC3_GFX90A:TG_SPLIT: 0
	.section	.text._ZN9rocsparseL29csrmvn_lrb_medium_rows_kernelILj256EllDF16_DF16_ffEEvbT0_PT1_S3_jNS_24const_host_device_scalarIT5_EEPKS1_PKS2_PKT2_PKT3_S6_PT4_21rocsparse_index_base_b,"axG",@progbits,_ZN9rocsparseL29csrmvn_lrb_medium_rows_kernelILj256EllDF16_DF16_ffEEvbT0_PT1_S3_jNS_24const_host_device_scalarIT5_EEPKS1_PKS2_PKT2_PKT3_S6_PT4_21rocsparse_index_base_b,comdat
	.globl	_ZN9rocsparseL29csrmvn_lrb_medium_rows_kernelILj256EllDF16_DF16_ffEEvbT0_PT1_S3_jNS_24const_host_device_scalarIT5_EEPKS1_PKS2_PKT2_PKT3_S6_PT4_21rocsparse_index_base_b ; -- Begin function _ZN9rocsparseL29csrmvn_lrb_medium_rows_kernelILj256EllDF16_DF16_ffEEvbT0_PT1_S3_jNS_24const_host_device_scalarIT5_EEPKS1_PKS2_PKT2_PKT3_S6_PT4_21rocsparse_index_base_b
	.p2align	8
	.type	_ZN9rocsparseL29csrmvn_lrb_medium_rows_kernelILj256EllDF16_DF16_ffEEvbT0_PT1_S3_jNS_24const_host_device_scalarIT5_EEPKS1_PKS2_PKT2_PKT3_S6_PT4_21rocsparse_index_base_b,@function
_ZN9rocsparseL29csrmvn_lrb_medium_rows_kernelILj256EllDF16_DF16_ffEEvbT0_PT1_S3_jNS_24const_host_device_scalarIT5_EEPKS1_PKS2_PKT2_PKT3_S6_PT4_21rocsparse_index_base_b: ; @_ZN9rocsparseL29csrmvn_lrb_medium_rows_kernelILj256EllDF16_DF16_ffEEvbT0_PT1_S3_jNS_24const_host_device_scalarIT5_EEPKS1_PKS2_PKT2_PKT3_S6_PT4_21rocsparse_index_base_b
; %bb.0:
	s_load_dwordx2 s[10:11], s[4:5], 0x60
	s_load_dwordx2 s[12:13], s[4:5], 0x28
	;; [unrolled: 1-line block ×3, first 2 shown]
	s_waitcnt lgkmcnt(0)
	s_bitcmp1_b32 s11, 0
	s_cselect_b64 s[8:9], -1, 0
	s_xor_b64 s[0:1], s[8:9], -1
	s_and_b64 vcc, exec, s[8:9]
	s_cbranch_vccnz .LBB132_2
; %bb.1:
	s_load_dword s12, s[12:13], 0x0
.LBB132_2:
	s_andn2_b64 vcc, exec, s[0:1]
	s_cbranch_vccnz .LBB132_4
; %bb.3:
	s_load_dword s2, s[2:3], 0x0
.LBB132_4:
	s_waitcnt lgkmcnt(0)
	v_cmp_neq_f32_e64 s[0:1], s12, 0
	v_cmp_neq_f32_e64 s[8:9], s2, 1.0
	s_or_b64 s[0:1], s[0:1], s[8:9]
	s_andn2_b64 vcc, exec, s[0:1]
	s_mov_b32 s0, 0
	s_cbranch_vccnz .LBB132_29
; %bb.5:
	s_load_dword s8, s[4:5], 0x20
	s_load_dwordx4 s[16:19], s[4:5], 0x10
	s_mov_b32 s9, s0
	v_subrev_co_u32_e32 v1, vcc, s10, v0
	s_waitcnt lgkmcnt(0)
	s_lshl_b64 s[8:9], s[8:9], 3
	s_add_u32 s8, s18, s8
	s_addc_u32 s9, s19, s9
	s_load_dwordx2 s[8:9], s[8:9], 0x0
	s_ashr_i32 s7, s6, 31
	v_mov_b32_e32 v8, 0
	s_waitcnt lgkmcnt(0)
	s_lshl_b64 s[8:9], s[8:9], 3
	s_add_u32 s1, s16, s8
	s_addc_u32 s3, s17, s9
	s_lshl_b64 s[6:7], s[6:7], 3
	s_add_u32 s14, s1, s6
	s_addc_u32 s15, s3, s7
	s_load_dwordx2 s[8:9], s[14:15], 0x0
	s_load_dwordx2 s[16:17], s[4:5], 0x30
	;; [unrolled: 1-line block ×3, first 2 shown]
	s_waitcnt lgkmcnt(0)
	s_lshl_b64 s[14:15], s[8:9], 3
	s_add_u32 s14, s16, s14
	s_addc_u32 s15, s17, s15
	s_load_dwordx4 s[16:19], s[14:15], 0x0
	v_subb_co_u32_e64 v3, s[14:15], 0, 0, vcc
	s_waitcnt lgkmcnt(0)
	s_sub_u32 s14, s18, s10
	v_mov_b32_e32 v4, s17
	v_add_co_u32_e32 v2, vcc, s16, v1
	s_subb_u32 s15, s19, 0
	v_addc_co_u32_e32 v3, vcc, v4, v3, vcc
	v_cmp_gt_i64_e32 vcc, s[14:15], v[2:3]
	s_and_saveexec_b64 s[16:17], vcc
	s_cbranch_execz .LBB132_9
; %bb.6:
	s_load_dwordx4 s[20:23], s[4:5], 0x38
	s_load_dwordx2 s[18:19], s[4:5], 0x48
	v_lshlrev_b64 v[4:5], 1, v[2:3]
	v_lshlrev_b64 v[6:7], 3, v[2:3]
	s_mov_b64 s[4:5], 0
	s_waitcnt lgkmcnt(0)
	v_mov_b32_e32 v1, s23
	v_add_co_u32_e32 v4, vcc, s22, v4
	v_addc_co_u32_e32 v5, vcc, v1, v5, vcc
	v_mov_b32_e32 v1, s21
	v_add_co_u32_e32 v6, vcc, s20, v6
	v_addc_co_u32_e32 v7, vcc, v1, v7, vcc
	v_mov_b32_e32 v8, 0
	v_mov_b32_e32 v1, s0
	;; [unrolled: 1-line block ×3, first 2 shown]
	s_movk_i32 s3, 0x100
.LBB132_7:                              ; =>This Inner Loop Header: Depth=1
	global_load_dwordx2 v[10:11], v[6:7], off
	global_load_ushort v12, v[4:5], off
	s_waitcnt vmcnt(1)
	v_subrev_co_u32_e32 v10, vcc, s10, v10
	v_subb_co_u32_e32 v11, vcc, v11, v1, vcc
	v_lshlrev_b64 v[10:11], 1, v[10:11]
	v_add_co_u32_e32 v10, vcc, s18, v10
	v_addc_co_u32_e32 v11, vcc, v9, v11, vcc
	global_load_ushort v10, v[10:11], off
	v_add_co_u32_e32 v2, vcc, s3, v2
	s_waitcnt vmcnt(1)
	v_cvt_f32_f16_e32 v11, v12
	v_addc_co_u32_e32 v3, vcc, 0, v3, vcc
	v_add_co_u32_e32 v4, vcc, 0x200, v4
	v_addc_co_u32_e32 v5, vcc, 0, v5, vcc
	v_add_co_u32_e32 v6, vcc, 0x800, v6
	v_cmp_le_i64_e64 s[0:1], s[14:15], v[2:3]
	v_mul_f32_e32 v11, s12, v11
	v_addc_co_u32_e32 v7, vcc, 0, v7, vcc
	s_or_b64 s[4:5], s[0:1], s[4:5]
	s_waitcnt vmcnt(0)
	v_fma_mix_f32 v8, v11, v10, v8 op_sel_hi:[0,1,0]
	s_andn2_b64 exec, exec, s[4:5]
	s_cbranch_execnz .LBB132_7
; %bb.8:
	s_or_b64 exec, exec, s[4:5]
.LBB132_9:
	s_or_b64 exec, exec, s[16:17]
	s_movk_i32 s0, 0x80
	v_lshlrev_b32_e32 v1, 2, v0
	v_cmp_gt_u32_e32 vcc, s0, v0
	ds_write_b32 v1, v8
	s_waitcnt lgkmcnt(0)
	s_barrier
	s_and_saveexec_b64 s[0:1], vcc
	s_cbranch_execz .LBB132_11
; %bb.10:
	ds_read2st64_b32 v[2:3], v1 offset1:2
	s_waitcnt lgkmcnt(0)
	v_add_f32_e32 v2, v2, v3
	ds_write_b32 v1, v2
.LBB132_11:
	s_or_b64 exec, exec, s[0:1]
	v_cmp_gt_u32_e32 vcc, 64, v0
	s_waitcnt lgkmcnt(0)
	s_barrier
	s_and_saveexec_b64 s[0:1], vcc
	s_cbranch_execz .LBB132_13
; %bb.12:
	ds_read2st64_b32 v[2:3], v1 offset1:1
	s_waitcnt lgkmcnt(0)
	v_add_f32_e32 v2, v2, v3
	ds_write_b32 v1, v2
.LBB132_13:
	s_or_b64 exec, exec, s[0:1]
	v_cmp_gt_u32_e32 vcc, 32, v0
	s_waitcnt lgkmcnt(0)
	s_barrier
	s_and_saveexec_b64 s[0:1], vcc
	s_cbranch_execz .LBB132_15
; %bb.14:
	ds_read2_b32 v[2:3], v1 offset1:32
	s_waitcnt lgkmcnt(0)
	v_add_f32_e32 v2, v2, v3
	ds_write_b32 v1, v2
.LBB132_15:
	s_or_b64 exec, exec, s[0:1]
	v_cmp_gt_u32_e32 vcc, 16, v0
	s_waitcnt lgkmcnt(0)
	s_barrier
	s_and_saveexec_b64 s[0:1], vcc
	s_cbranch_execz .LBB132_17
; %bb.16:
	ds_read2_b32 v[2:3], v1 offset1:16
	s_waitcnt lgkmcnt(0)
	v_add_f32_e32 v2, v2, v3
	ds_write_b32 v1, v2
.LBB132_17:
	;; [unrolled: 12-line block ×5, first 2 shown]
	s_or_b64 exec, exec, s[0:1]
	v_cmp_eq_u32_e32 vcc, 0, v0
	s_waitcnt lgkmcnt(0)
	s_barrier
	s_and_saveexec_b64 s[0:1], vcc
	s_cbranch_execz .LBB132_25
; %bb.24:
	v_mov_b32_e32 v2, 0
	ds_read_b64 v[0:1], v2
	s_waitcnt lgkmcnt(0)
	v_add_f32_e32 v0, v0, v1
	ds_write_b32 v2, v0
.LBB132_25:
	s_or_b64 exec, exec, s[0:1]
	s_waitcnt lgkmcnt(0)
	s_barrier
	s_and_saveexec_b64 s[0:1], vcc
	s_cbranch_execz .LBB132_29
; %bb.26:
	v_mov_b32_e32 v0, 0
	ds_read_b32 v1, v0
	v_cmp_eq_f32_e64 s[0:1], s2, 0
	s_and_b64 vcc, exec, s[0:1]
	s_cbranch_vccnz .LBB132_28
; %bb.27:
	s_lshl_b64 s[0:1], s[8:9], 2
	s_add_u32 s0, s6, s0
	s_addc_u32 s1, s7, s1
	s_load_dword s0, s[0:1], 0x0
	s_waitcnt lgkmcnt(0)
	v_mov_b32_e32 v2, s0
	v_fmac_f32_e32 v1, s2, v2
.LBB132_28:
	s_lshl_b64 s[0:1], s[8:9], 2
	s_add_u32 s0, s6, s0
	s_addc_u32 s1, s7, s1
	s_waitcnt lgkmcnt(0)
	global_store_dword v0, v1, s[0:1]
.LBB132_29:
	s_endpgm
	.section	.rodata,"a",@progbits
	.p2align	6, 0x0
	.amdhsa_kernel _ZN9rocsparseL29csrmvn_lrb_medium_rows_kernelILj256EllDF16_DF16_ffEEvbT0_PT1_S3_jNS_24const_host_device_scalarIT5_EEPKS1_PKS2_PKT2_PKT3_S6_PT4_21rocsparse_index_base_b
		.amdhsa_group_segment_fixed_size 1024
		.amdhsa_private_segment_fixed_size 0
		.amdhsa_kernarg_size 104
		.amdhsa_user_sgpr_count 6
		.amdhsa_user_sgpr_private_segment_buffer 1
		.amdhsa_user_sgpr_dispatch_ptr 0
		.amdhsa_user_sgpr_queue_ptr 0
		.amdhsa_user_sgpr_kernarg_segment_ptr 1
		.amdhsa_user_sgpr_dispatch_id 0
		.amdhsa_user_sgpr_flat_scratch_init 0
		.amdhsa_user_sgpr_kernarg_preload_length 0
		.amdhsa_user_sgpr_kernarg_preload_offset 0
		.amdhsa_user_sgpr_private_segment_size 0
		.amdhsa_uses_dynamic_stack 0
		.amdhsa_system_sgpr_private_segment_wavefront_offset 0
		.amdhsa_system_sgpr_workgroup_id_x 1
		.amdhsa_system_sgpr_workgroup_id_y 0
		.amdhsa_system_sgpr_workgroup_id_z 0
		.amdhsa_system_sgpr_workgroup_info 0
		.amdhsa_system_vgpr_workitem_id 0
		.amdhsa_next_free_vgpr 13
		.amdhsa_next_free_sgpr 24
		.amdhsa_accum_offset 16
		.amdhsa_reserve_vcc 1
		.amdhsa_reserve_flat_scratch 0
		.amdhsa_float_round_mode_32 0
		.amdhsa_float_round_mode_16_64 0
		.amdhsa_float_denorm_mode_32 3
		.amdhsa_float_denorm_mode_16_64 3
		.amdhsa_dx10_clamp 1
		.amdhsa_ieee_mode 1
		.amdhsa_fp16_overflow 0
		.amdhsa_tg_split 0
		.amdhsa_exception_fp_ieee_invalid_op 0
		.amdhsa_exception_fp_denorm_src 0
		.amdhsa_exception_fp_ieee_div_zero 0
		.amdhsa_exception_fp_ieee_overflow 0
		.amdhsa_exception_fp_ieee_underflow 0
		.amdhsa_exception_fp_ieee_inexact 0
		.amdhsa_exception_int_div_zero 0
	.end_amdhsa_kernel
	.section	.text._ZN9rocsparseL29csrmvn_lrb_medium_rows_kernelILj256EllDF16_DF16_ffEEvbT0_PT1_S3_jNS_24const_host_device_scalarIT5_EEPKS1_PKS2_PKT2_PKT3_S6_PT4_21rocsparse_index_base_b,"axG",@progbits,_ZN9rocsparseL29csrmvn_lrb_medium_rows_kernelILj256EllDF16_DF16_ffEEvbT0_PT1_S3_jNS_24const_host_device_scalarIT5_EEPKS1_PKS2_PKT2_PKT3_S6_PT4_21rocsparse_index_base_b,comdat
.Lfunc_end132:
	.size	_ZN9rocsparseL29csrmvn_lrb_medium_rows_kernelILj256EllDF16_DF16_ffEEvbT0_PT1_S3_jNS_24const_host_device_scalarIT5_EEPKS1_PKS2_PKT2_PKT3_S6_PT4_21rocsparse_index_base_b, .Lfunc_end132-_ZN9rocsparseL29csrmvn_lrb_medium_rows_kernelILj256EllDF16_DF16_ffEEvbT0_PT1_S3_jNS_24const_host_device_scalarIT5_EEPKS1_PKS2_PKT2_PKT3_S6_PT4_21rocsparse_index_base_b
                                        ; -- End function
	.section	.AMDGPU.csdata,"",@progbits
; Kernel info:
; codeLenInByte = 1008
; NumSgprs: 28
; NumVgprs: 13
; NumAgprs: 0
; TotalNumVgprs: 13
; ScratchSize: 0
; MemoryBound: 0
; FloatMode: 240
; IeeeMode: 1
; LDSByteSize: 1024 bytes/workgroup (compile time only)
; SGPRBlocks: 3
; VGPRBlocks: 1
; NumSGPRsForWavesPerEU: 28
; NumVGPRsForWavesPerEU: 13
; AccumOffset: 16
; Occupancy: 8
; WaveLimiterHint : 1
; COMPUTE_PGM_RSRC2:SCRATCH_EN: 0
; COMPUTE_PGM_RSRC2:USER_SGPR: 6
; COMPUTE_PGM_RSRC2:TRAP_HANDLER: 0
; COMPUTE_PGM_RSRC2:TGID_X_EN: 1
; COMPUTE_PGM_RSRC2:TGID_Y_EN: 0
; COMPUTE_PGM_RSRC2:TGID_Z_EN: 0
; COMPUTE_PGM_RSRC2:TIDIG_COMP_CNT: 0
; COMPUTE_PGM_RSRC3_GFX90A:ACCUM_OFFSET: 3
; COMPUTE_PGM_RSRC3_GFX90A:TG_SPLIT: 0
	.section	.text._ZN9rocsparseL27csrmvn_lrb_long_rows_kernelIllDF16_DF16_ffEEvbT_PjPT0_S4_jNS_24const_host_device_scalarIT4_EEPKS1_PKS3_PKT1_PKT2_S7_PT3_21rocsparse_index_base_b,"axG",@progbits,_ZN9rocsparseL27csrmvn_lrb_long_rows_kernelIllDF16_DF16_ffEEvbT_PjPT0_S4_jNS_24const_host_device_scalarIT4_EEPKS1_PKS3_PKT1_PKT2_S7_PT3_21rocsparse_index_base_b,comdat
	.globl	_ZN9rocsparseL27csrmvn_lrb_long_rows_kernelIllDF16_DF16_ffEEvbT_PjPT0_S4_jNS_24const_host_device_scalarIT4_EEPKS1_PKS3_PKT1_PKT2_S7_PT3_21rocsparse_index_base_b ; -- Begin function _ZN9rocsparseL27csrmvn_lrb_long_rows_kernelIllDF16_DF16_ffEEvbT_PjPT0_S4_jNS_24const_host_device_scalarIT4_EEPKS1_PKS3_PKT1_PKT2_S7_PT3_21rocsparse_index_base_b
	.p2align	8
	.type	_ZN9rocsparseL27csrmvn_lrb_long_rows_kernelIllDF16_DF16_ffEEvbT_PjPT0_S4_jNS_24const_host_device_scalarIT4_EEPKS1_PKS3_PKT1_PKT2_S7_PT3_21rocsparse_index_base_b,@function
_ZN9rocsparseL27csrmvn_lrb_long_rows_kernelIllDF16_DF16_ffEEvbT_PjPT0_S4_jNS_24const_host_device_scalarIT4_EEPKS1_PKS3_PKT1_PKT2_S7_PT3_21rocsparse_index_base_b: ; @_ZN9rocsparseL27csrmvn_lrb_long_rows_kernelIllDF16_DF16_ffEEvbT_PjPT0_S4_jNS_24const_host_device_scalarIT4_EEPKS1_PKS3_PKT1_PKT2_S7_PT3_21rocsparse_index_base_b
; %bb.0:
	s_load_dwordx2 s[16:17], s[4:5], 0x68
	s_load_dwordx2 s[18:19], s[4:5], 0x30
	;; [unrolled: 1-line block ×3, first 2 shown]
	s_waitcnt lgkmcnt(0)
	s_bitcmp1_b32 s17, 0
	s_cselect_b64 s[2:3], -1, 0
	s_xor_b64 s[0:1], s[2:3], -1
	s_and_b64 vcc, exec, s[2:3]
	s_cbranch_vccnz .LBB133_2
; %bb.1:
	s_load_dword s18, s[18:19], 0x0
.LBB133_2:
	s_andn2_b64 vcc, exec, s[0:1]
	s_cbranch_vccnz .LBB133_4
; %bb.3:
	s_load_dword s20, s[20:21], 0x0
.LBB133_4:
	s_waitcnt lgkmcnt(0)
	v_cmp_neq_f32_e64 s[0:1], s18, 0
	v_cmp_neq_f32_e64 s[2:3], s20, 1.0
	s_or_b64 s[0:1], s[0:1], s[2:3]
	s_andn2_b64 vcc, exec, s[0:1]
	s_mov_b32 s1, 0
	s_cbranch_vccnz .LBB133_39
; %bb.5:
	s_load_dword s0, s[4:5], 0x28
	s_load_dwordx2 s[2:3], s[4:5], 0x20
	s_waitcnt lgkmcnt(0)
	s_lshl_b64 s[8:9], s[0:1], 3
	s_add_u32 s2, s2, s8
	s_addc_u32 s3, s3, s9
	s_lshl_b32 s0, -1, s0
	s_not_b32 s0, s0
	s_mul_hi_u32 s0, s0, 0x2aaaaaab
	s_lshr_b32 s0, s0, 7
	s_add_i32 s7, s0, 1
	v_cvt_f32_u32_e32 v1, s7
	s_load_dwordx4 s[8:11], s[4:5], 0x10
	s_load_dwordx2 s[12:13], s[2:3], 0x0
	s_not_b32 s0, s0
	v_rcp_iflag_f32_e32 v1, v1
	v_mul_f32_e32 v1, 0x4f7ffffe, v1
	v_cvt_u32_f32_e32 v1, v1
	v_readfirstlane_b32 s2, v1
	s_mul_i32 s0, s0, s2
	s_mul_hi_u32 s0, s2, s0
	s_add_i32 s2, s2, s0
	s_mul_hi_u32 s0, s6, s2
	s_mul_i32 s2, s0, s7
	s_sub_i32 s2, s6, s2
	s_add_i32 s3, s0, 1
	s_sub_i32 s14, s2, s7
	s_cmp_ge_u32 s2, s7
	s_cselect_b32 s0, s3, s0
	s_cselect_b32 s2, s14, s2
	s_add_i32 s3, s0, 1
	s_cmp_ge_u32 s2, s7
	s_cselect_b32 s0, s3, s0
	s_mul_i32 s7, s0, s7
	s_waitcnt lgkmcnt(0)
	s_lshl_b64 s[2:3], s[12:13], 3
	s_sub_i32 s17, s6, s7
	s_add_u32 s2, s10, s2
	s_addc_u32 s3, s11, s3
	s_lshl_b64 s[0:1], s[0:1], 3
	s_add_u32 s0, s2, s0
	s_addc_u32 s1, s3, s1
	s_load_dwordx2 s[12:13], s[0:1], 0x0
	s_load_dwordx2 s[2:3], s[4:5], 0x38
	;; [unrolled: 1-line block ×3, first 2 shown]
	v_or_b32_e32 v1, s17, v0
	v_cmp_eq_u32_e32 vcc, 0, v1
	s_waitcnt lgkmcnt(0)
	s_lshl_b64 s[0:1], s[12:13], 3
	s_add_u32 s0, s2, s0
	s_addc_u32 s1, s3, s1
	s_ashr_i32 s7, s6, 31
	s_sub_u32 s14, s6, s17
	s_subb_u32 s15, s7, 0
	s_lshl_b64 s[6:7], s[6:7], 2
	s_add_u32 s6, s8, s6
	s_addc_u32 s7, s9, s7
	s_load_dwordx4 s[0:3], s[0:1], 0x0
	v_mov_b32_e32 v1, 0
	s_load_dword s19, s[6:7], 0x0
	s_and_saveexec_b64 s[22:23], vcc
	s_cbranch_execz .LBB133_9
; %bb.6:
	s_lshl_b64 s[26:27], s[12:13], 2
	s_add_u32 s26, s10, s26
	s_addc_u32 s27, s11, s27
	s_load_dword s26, s[26:27], 0x0
	s_mov_b64 s[24:25], exec
	v_mbcnt_lo_u32_b32 v2, s24, 0
	v_mbcnt_hi_u32_b32 v2, s25, v2
	v_add_f32_e64 v1, s20, -1.0
	v_cmp_eq_u32_e32 vcc, 0, v2
	s_waitcnt vmcnt(0) expcnt(0) lgkmcnt(0)
	s_and_saveexec_b64 s[20:21], vcc
	s_cbranch_execz .LBB133_8
; %bb.7:
	s_lshl_b64 s[28:29], s[14:15], 2
	s_add_u32 s28, s8, s28
	s_addc_u32 s29, s9, s29
	s_bcnt1_i32_b64 s24, s[24:25]
	s_and_b32 s24, s24, 1
	v_mov_b32_e32 v2, 0
	v_mov_b32_e32 v3, s24
	global_atomic_xor v2, v3, s[28:29]
.LBB133_8:
	s_or_b64 exec, exec, s[20:21]
	v_mul_f32_e32 v1, s26, v1
.LBB133_9:
	s_or_b64 exec, exec, s[22:23]
	s_waitcnt lgkmcnt(0)
	s_sub_u32 s0, s0, s16
	s_mul_i32 s21, s17, 0x300
	s_subb_u32 s1, s1, 0
	s_mul_hi_u32 s20, s17, 0x300
	s_add_u32 s22, s0, s21
	s_addc_u32 s23, s1, s20
	s_sub_u32 s0, s2, s16
	s_subb_u32 s1, s3, 0
	s_add_u32 s2, s22, 0x300
	s_addc_u32 s3, s23, 0
	v_pk_mov_b32 v[2:3], s[0:1], s[0:1] op_sel:[0,1]
	v_cmp_lt_i64_e32 vcc, s[2:3], v[2:3]
	s_and_b64 s[20:21], vcc, exec
	v_mov_b32_e32 v3, s23
	v_add_co_u32_e32 v2, vcc, s22, v0
	s_cselect_b32 s3, s3, s1
	s_cselect_b32 s2, s2, s0
	v_addc_co_u32_e32 v3, vcc, 0, v3, vcc
	s_mov_b32 s24, 0
	v_cmp_gt_i64_e32 vcc, s[2:3], v[2:3]
	s_and_saveexec_b64 s[20:21], vcc
	s_cbranch_execz .LBB133_13
; %bb.10:
	s_load_dwordx4 s[28:31], s[4:5], 0x40
	s_load_dwordx2 s[22:23], s[4:5], 0x50
	v_lshlrev_b64 v[4:5], 1, v[2:3]
	s_mov_b64 s[4:5], 0
	s_waitcnt lgkmcnt(0)
	v_mov_b32_e32 v6, s31
	v_add_co_u32_e32 v4, vcc, s30, v4
	v_addc_co_u32_e32 v5, vcc, v6, v5, vcc
	v_lshlrev_b64 v[6:7], 3, v[2:3]
	v_mov_b32_e32 v8, s29
	v_add_co_u32_e32 v6, vcc, s28, v6
	v_addc_co_u32_e32 v7, vcc, v8, v7, vcc
	v_mov_b32_e32 v8, s24
	v_mov_b32_e32 v9, s23
	s_movk_i32 s23, 0x100
.LBB133_11:                             ; =>This Inner Loop Header: Depth=1
	global_load_dwordx2 v[10:11], v[6:7], off
	global_load_ushort v12, v[4:5], off
	s_waitcnt vmcnt(1)
	v_subrev_co_u32_e32 v10, vcc, s16, v10
	v_subb_co_u32_e32 v11, vcc, v11, v8, vcc
	v_lshlrev_b64 v[10:11], 1, v[10:11]
	v_add_co_u32_e32 v10, vcc, s22, v10
	v_addc_co_u32_e32 v11, vcc, v9, v11, vcc
	global_load_ushort v10, v[10:11], off
	v_add_co_u32_e32 v2, vcc, s23, v2
	s_waitcnt vmcnt(1)
	v_cvt_f32_f16_e32 v11, v12
	v_addc_co_u32_e32 v3, vcc, 0, v3, vcc
	v_add_co_u32_e32 v4, vcc, 0x200, v4
	v_addc_co_u32_e32 v5, vcc, 0, v5, vcc
	v_add_co_u32_e32 v6, vcc, 0x800, v6
	v_cmp_le_i64_e64 s[0:1], s[2:3], v[2:3]
	v_mul_f32_e32 v11, s18, v11
	v_addc_co_u32_e32 v7, vcc, 0, v7, vcc
	s_or_b64 s[4:5], s[0:1], s[4:5]
	s_waitcnt vmcnt(0)
	v_fma_mix_f32 v1, v11, v10, v1 op_sel_hi:[0,1,0]
	s_andn2_b64 exec, exec, s[4:5]
	s_cbranch_execnz .LBB133_11
; %bb.12:
	s_or_b64 exec, exec, s[4:5]
.LBB133_13:
	s_or_b64 exec, exec, s[20:21]
	s_movk_i32 s0, 0x80
	v_lshlrev_b32_e32 v2, 2, v0
	v_cmp_gt_u32_e32 vcc, s0, v0
	ds_write_b32 v2, v1
	s_waitcnt lgkmcnt(0)
	s_barrier
	s_and_saveexec_b64 s[0:1], vcc
	s_cbranch_execz .LBB133_15
; %bb.14:
	ds_read2st64_b32 v[4:5], v2 offset1:2
	s_waitcnt lgkmcnt(0)
	v_add_f32_e32 v1, v4, v5
	ds_write_b32 v2, v1
.LBB133_15:
	s_or_b64 exec, exec, s[0:1]
	v_cmp_gt_u32_e32 vcc, 64, v0
	s_waitcnt lgkmcnt(0)
	s_barrier
	s_and_saveexec_b64 s[0:1], vcc
	s_cbranch_execz .LBB133_17
; %bb.16:
	ds_read2st64_b32 v[4:5], v2 offset1:1
	s_waitcnt lgkmcnt(0)
	v_add_f32_e32 v1, v4, v5
	ds_write_b32 v2, v1
.LBB133_17:
	s_or_b64 exec, exec, s[0:1]
	v_cmp_gt_u32_e32 vcc, 32, v0
	s_waitcnt lgkmcnt(0)
	s_barrier
	s_and_saveexec_b64 s[0:1], vcc
	s_cbranch_execz .LBB133_19
; %bb.18:
	ds_read2_b32 v[4:5], v2 offset1:32
	s_waitcnt lgkmcnt(0)
	v_add_f32_e32 v1, v4, v5
	ds_write_b32 v2, v1
.LBB133_19:
	s_or_b64 exec, exec, s[0:1]
	v_cmp_gt_u32_e32 vcc, 16, v0
	s_waitcnt lgkmcnt(0)
	s_barrier
	s_and_saveexec_b64 s[0:1], vcc
	s_cbranch_execz .LBB133_21
; %bb.20:
	ds_read2_b32 v[4:5], v2 offset1:16
	s_waitcnt lgkmcnt(0)
	v_add_f32_e32 v1, v4, v5
	ds_write_b32 v2, v1
.LBB133_21:
	;; [unrolled: 12-line block ×5, first 2 shown]
	s_or_b64 exec, exec, s[0:1]
	v_cmp_eq_u32_e32 vcc, 0, v0
	s_waitcnt lgkmcnt(0)
	s_barrier
	s_and_saveexec_b64 s[0:1], vcc
	s_cbranch_execz .LBB133_29
; %bb.28:
	v_mov_b32_e32 v2, 0
	ds_read_b64 v[0:1], v2
	s_waitcnt lgkmcnt(0)
	v_add_f32_e32 v0, v0, v1
	ds_write_b32 v2, v0
.LBB133_29:
	s_or_b64 exec, exec, s[0:1]
	s_waitcnt lgkmcnt(0)
	s_barrier
	s_and_saveexec_b64 s[0:1], vcc
	s_cbranch_execz .LBB133_39
; %bb.30:
	s_cmp_eq_u32 s17, 0
	s_cbranch_scc1 .LBB133_36
; %bb.31:
	s_lshl_b64 s[0:1], s[14:15], 2
	s_add_u32 s0, s8, s0
	s_addc_u32 s1, s9, s1
	v_mov_b32_e32 v0, 0
	s_branch .LBB133_33
.LBB133_32:                             ;   in Loop: Header=BB133_33 Depth=1
	s_or_b64 exec, exec, s[2:3]
	s_waitcnt vmcnt(0)
	v_readfirstlane_b32 s2, v1
	s_cmp_eq_u32 s2, s19
	s_cbranch_scc0 .LBB133_35
.LBB133_33:                             ; =>This Inner Loop Header: Depth=1
	v_mbcnt_lo_u32_b32 v1, exec_lo, 0
	v_mbcnt_hi_u32_b32 v1, exec_hi, v1
	v_cmp_eq_u32_e32 vcc, 0, v1
                                        ; implicit-def: $vgpr1
	s_and_saveexec_b64 s[2:3], vcc
	s_cbranch_execz .LBB133_32
; %bb.34:                               ;   in Loop: Header=BB133_33 Depth=1
	global_load_dword v1, v0, s[0:1] glc
	s_branch .LBB133_32
.LBB133_35:
	v_mov_b32_e32 v0, 0
	global_load_dword v1, v0, s[6:7]
	s_waitcnt vmcnt(0)
	v_xor_b32_e32 v1, 1, v1
	global_store_dword v0, v1, s[6:7]
.LBB133_36:
	s_mov_b64 s[2:3], exec
	v_mbcnt_lo_u32_b32 v0, s2, 0
	v_mbcnt_hi_u32_b32 v0, s3, v0
	v_cmp_eq_u32_e32 vcc, 0, v0
	s_and_b64 s[0:1], exec, vcc
	s_mov_b64 exec, s[0:1]
	s_cbranch_execz .LBB133_39
; %bb.37:
	s_lshl_b64 s[0:1], s[12:13], 2
	s_add_u32 s0, s10, s0
	s_addc_u32 s1, s11, s1
	v_mov_b32_e32 v2, 0
	global_load_dword v1, v2, s[0:1]
	ds_read_b32 v0, v2
	s_bcnt1_i32_b64 s2, s[2:3]
	v_cvt_f32_ubyte0_e32 v3, s2
	s_mov_b64 s[2:3], 0
	s_waitcnt lgkmcnt(0)
	v_mul_f32_e32 v3, v0, v3
.LBB133_38:                             ; =>This Inner Loop Header: Depth=1
	s_waitcnt vmcnt(0)
	v_add_f32_e32 v0, v1, v3
	global_atomic_cmpswap v0, v2, v[0:1], s[0:1] glc
	s_waitcnt vmcnt(0)
	v_cmp_eq_u32_e32 vcc, v0, v1
	s_or_b64 s[2:3], vcc, s[2:3]
	v_mov_b32_e32 v1, v0
	s_andn2_b64 exec, exec, s[2:3]
	s_cbranch_execnz .LBB133_38
.LBB133_39:
	s_endpgm
	.section	.rodata,"a",@progbits
	.p2align	6, 0x0
	.amdhsa_kernel _ZN9rocsparseL27csrmvn_lrb_long_rows_kernelIllDF16_DF16_ffEEvbT_PjPT0_S4_jNS_24const_host_device_scalarIT4_EEPKS1_PKS3_PKT1_PKT2_S7_PT3_21rocsparse_index_base_b
		.amdhsa_group_segment_fixed_size 1024
		.amdhsa_private_segment_fixed_size 0
		.amdhsa_kernarg_size 112
		.amdhsa_user_sgpr_count 6
		.amdhsa_user_sgpr_private_segment_buffer 1
		.amdhsa_user_sgpr_dispatch_ptr 0
		.amdhsa_user_sgpr_queue_ptr 0
		.amdhsa_user_sgpr_kernarg_segment_ptr 1
		.amdhsa_user_sgpr_dispatch_id 0
		.amdhsa_user_sgpr_flat_scratch_init 0
		.amdhsa_user_sgpr_kernarg_preload_length 0
		.amdhsa_user_sgpr_kernarg_preload_offset 0
		.amdhsa_user_sgpr_private_segment_size 0
		.amdhsa_uses_dynamic_stack 0
		.amdhsa_system_sgpr_private_segment_wavefront_offset 0
		.amdhsa_system_sgpr_workgroup_id_x 1
		.amdhsa_system_sgpr_workgroup_id_y 0
		.amdhsa_system_sgpr_workgroup_id_z 0
		.amdhsa_system_sgpr_workgroup_info 0
		.amdhsa_system_vgpr_workitem_id 0
		.amdhsa_next_free_vgpr 13
		.amdhsa_next_free_sgpr 32
		.amdhsa_accum_offset 16
		.amdhsa_reserve_vcc 1
		.amdhsa_reserve_flat_scratch 0
		.amdhsa_float_round_mode_32 0
		.amdhsa_float_round_mode_16_64 0
		.amdhsa_float_denorm_mode_32 3
		.amdhsa_float_denorm_mode_16_64 3
		.amdhsa_dx10_clamp 1
		.amdhsa_ieee_mode 1
		.amdhsa_fp16_overflow 0
		.amdhsa_tg_split 0
		.amdhsa_exception_fp_ieee_invalid_op 0
		.amdhsa_exception_fp_denorm_src 0
		.amdhsa_exception_fp_ieee_div_zero 0
		.amdhsa_exception_fp_ieee_overflow 0
		.amdhsa_exception_fp_ieee_underflow 0
		.amdhsa_exception_fp_ieee_inexact 0
		.amdhsa_exception_int_div_zero 0
	.end_amdhsa_kernel
	.section	.text._ZN9rocsparseL27csrmvn_lrb_long_rows_kernelIllDF16_DF16_ffEEvbT_PjPT0_S4_jNS_24const_host_device_scalarIT4_EEPKS1_PKS3_PKT1_PKT2_S7_PT3_21rocsparse_index_base_b,"axG",@progbits,_ZN9rocsparseL27csrmvn_lrb_long_rows_kernelIllDF16_DF16_ffEEvbT_PjPT0_S4_jNS_24const_host_device_scalarIT4_EEPKS1_PKS3_PKT1_PKT2_S7_PT3_21rocsparse_index_base_b,comdat
.Lfunc_end133:
	.size	_ZN9rocsparseL27csrmvn_lrb_long_rows_kernelIllDF16_DF16_ffEEvbT_PjPT0_S4_jNS_24const_host_device_scalarIT4_EEPKS1_PKS3_PKT1_PKT2_S7_PT3_21rocsparse_index_base_b, .Lfunc_end133-_ZN9rocsparseL27csrmvn_lrb_long_rows_kernelIllDF16_DF16_ffEEvbT_PjPT0_S4_jNS_24const_host_device_scalarIT4_EEPKS1_PKS3_PKT1_PKT2_S7_PT3_21rocsparse_index_base_b
                                        ; -- End function
	.section	.AMDGPU.csdata,"",@progbits
; Kernel info:
; codeLenInByte = 1500
; NumSgprs: 36
; NumVgprs: 13
; NumAgprs: 0
; TotalNumVgprs: 13
; ScratchSize: 0
; MemoryBound: 0
; FloatMode: 240
; IeeeMode: 1
; LDSByteSize: 1024 bytes/workgroup (compile time only)
; SGPRBlocks: 4
; VGPRBlocks: 1
; NumSGPRsForWavesPerEU: 36
; NumVGPRsForWavesPerEU: 13
; AccumOffset: 16
; Occupancy: 8
; WaveLimiterHint : 1
; COMPUTE_PGM_RSRC2:SCRATCH_EN: 0
; COMPUTE_PGM_RSRC2:USER_SGPR: 6
; COMPUTE_PGM_RSRC2:TRAP_HANDLER: 0
; COMPUTE_PGM_RSRC2:TGID_X_EN: 1
; COMPUTE_PGM_RSRC2:TGID_Y_EN: 0
; COMPUTE_PGM_RSRC2:TGID_Z_EN: 0
; COMPUTE_PGM_RSRC2:TIDIG_COMP_CNT: 0
; COMPUTE_PGM_RSRC3_GFX90A:ACCUM_OFFSET: 3
; COMPUTE_PGM_RSRC3_GFX90A:TG_SPLIT: 0
	.section	.text._ZN9rocsparseL28csrmvn_lrb_short_rows_kernelIii18rocsparse_bfloat16S1_ffEEvbT_PT0_S4_jNS_24const_host_device_scalarIT4_EEPKS2_PKS3_PKT1_PKT2_S7_PT3_21rocsparse_index_base_b,"axG",@progbits,_ZN9rocsparseL28csrmvn_lrb_short_rows_kernelIii18rocsparse_bfloat16S1_ffEEvbT_PT0_S4_jNS_24const_host_device_scalarIT4_EEPKS2_PKS3_PKT1_PKT2_S7_PT3_21rocsparse_index_base_b,comdat
	.globl	_ZN9rocsparseL28csrmvn_lrb_short_rows_kernelIii18rocsparse_bfloat16S1_ffEEvbT_PT0_S4_jNS_24const_host_device_scalarIT4_EEPKS2_PKS3_PKT1_PKT2_S7_PT3_21rocsparse_index_base_b ; -- Begin function _ZN9rocsparseL28csrmvn_lrb_short_rows_kernelIii18rocsparse_bfloat16S1_ffEEvbT_PT0_S4_jNS_24const_host_device_scalarIT4_EEPKS2_PKS3_PKT1_PKT2_S7_PT3_21rocsparse_index_base_b
	.p2align	8
	.type	_ZN9rocsparseL28csrmvn_lrb_short_rows_kernelIii18rocsparse_bfloat16S1_ffEEvbT_PT0_S4_jNS_24const_host_device_scalarIT4_EEPKS2_PKS3_PKT1_PKT2_S7_PT3_21rocsparse_index_base_b,@function
_ZN9rocsparseL28csrmvn_lrb_short_rows_kernelIii18rocsparse_bfloat16S1_ffEEvbT_PT0_S4_jNS_24const_host_device_scalarIT4_EEPKS2_PKS3_PKT1_PKT2_S7_PT3_21rocsparse_index_base_b: ; @_ZN9rocsparseL28csrmvn_lrb_short_rows_kernelIii18rocsparse_bfloat16S1_ffEEvbT_PT0_S4_jNS_24const_host_device_scalarIT4_EEPKS2_PKS3_PKT1_PKT2_S7_PT3_21rocsparse_index_base_b
; %bb.0:
	s_load_dwordx2 s[20:21], s[4:5], 0x58
	s_load_dwordx2 s[22:23], s[4:5], 0x20
	;; [unrolled: 1-line block ×3, first 2 shown]
	s_waitcnt lgkmcnt(0)
	s_bitcmp1_b32 s21, 0
	s_cselect_b64 s[2:3], -1, 0
	s_xor_b64 s[0:1], s[2:3], -1
	s_and_b64 vcc, exec, s[2:3]
	s_cbranch_vccnz .LBB134_2
; %bb.1:
	s_load_dword s22, s[22:23], 0x0
.LBB134_2:
	s_andn2_b64 vcc, exec, s[0:1]
	s_cbranch_vccnz .LBB134_4
; %bb.3:
	s_load_dword s16, s[16:17], 0x0
.LBB134_4:
	s_waitcnt lgkmcnt(0)
	v_cmp_neq_f32_e64 s[0:1], s22, 0
	v_cmp_neq_f32_e64 s[2:3], s16, 1.0
	s_or_b64 s[0:1], s[0:1], s[2:3]
	s_andn2_b64 vcc, exec, s[0:1]
	s_mov_b32 s19, 0
	s_cbranch_vccnz .LBB134_18
; %bb.5:
	s_load_dword s18, s[4:5], 0x18
	s_load_dwordx4 s[0:3], s[4:5], 0x8
	s_mov_b32 s9, s19
	s_waitcnt lgkmcnt(0)
	s_lshl_b64 s[10:11], s[18:19], 2
	s_add_u32 s10, s2, s10
	s_addc_u32 s11, s3, s11
	s_add_i32 s8, s18, 1
	s_lshl_b64 s[8:9], s[8:9], 2
	s_add_u32 s2, s2, s8
	s_addc_u32 s3, s3, s9
	s_load_dword s17, s[10:11], 0x0
	s_load_dword s7, s[2:3], 0x0
	s_lshl_b32 s19, s6, 8
	s_add_i32 s3, s19, 0x100
	s_waitcnt lgkmcnt(0)
	s_sub_i32 s2, s7, s17
	s_min_u32 s21, s2, s3
	s_cmp_gt_u32 s18, 23
	s_cbranch_scc1 .LBB134_12
; %bb.6:
	s_load_dwordx8 s[8:15], s[4:5], 0x28
	v_bfe_u32 v1, v0, 0, s18
	s_lshl_b32 s23, 0x100, s18
	v_subrev_u32_e32 v6, s20, v1
	s_mov_b32 s24, 0
	v_lshl_add_u32 v7, v0, 2, 0
	v_mov_b32_e32 v3, 0
	s_branch .LBB134_9
.LBB134_7:                              ;   in Loop: Header=BB134_9 Depth=1
	s_or_b64 exec, exec, s[6:7]
	ds_write_b32 v7, v2
.LBB134_8:                              ;   in Loop: Header=BB134_9 Depth=1
	s_or_b64 exec, exec, s[2:3]
	s_addk_i32 s24, 0x100
	s_cmp_ge_u32 s24, s23
	v_add_u32_e32 v7, 0x400, v7
	s_cbranch_scc1 .LBB134_12
.LBB134_9:                              ; =>This Inner Loop Header: Depth=1
	v_add_u32_e32 v2, s24, v0
	v_lshrrev_b32_e32 v2, s18, v2
	v_add_u32_e32 v2, s19, v2
	v_cmp_gt_u32_e32 vcc, s21, v2
	s_and_saveexec_b64 s[2:3], vcc
	s_cbranch_execz .LBB134_8
; %bb.10:                               ;   in Loop: Header=BB134_9 Depth=1
	v_add_u32_e32 v2, s17, v2
	v_lshlrev_b64 v[4:5], 2, v[2:3]
	v_mov_b32_e32 v2, s1
	v_add_co_u32_e32 v4, vcc, s0, v4
	v_addc_co_u32_e32 v5, vcc, v2, v5, vcc
	global_load_dword v4, v[4:5], off
	s_waitcnt lgkmcnt(0)
	v_mov_b32_e32 v2, s9
	s_waitcnt vmcnt(0)
	v_ashrrev_i32_e32 v5, 31, v4
	v_lshlrev_b64 v[4:5], 2, v[4:5]
	v_add_co_u32_e32 v4, vcc, s8, v4
	v_addc_co_u32_e32 v5, vcc, v2, v5, vcc
	global_load_dwordx2 v[4:5], v[4:5], off
	s_waitcnt vmcnt(0)
	v_sub_u32_e32 v2, v5, v4
	v_cmp_lt_u32_e32 vcc, v1, v2
	v_mov_b32_e32 v2, 0
	s_and_saveexec_b64 s[6:7], vcc
	s_cbranch_execz .LBB134_7
; %bb.11:                               ;   in Loop: Header=BB134_9 Depth=1
	v_add_u32_e32 v2, v6, v4
	v_lshlrev_b64 v[4:5], 2, v[2:3]
	v_mov_b32_e32 v8, s11
	v_add_co_u32_e32 v4, vcc, s10, v4
	v_addc_co_u32_e32 v5, vcc, v8, v5, vcc
	global_load_dword v8, v[4:5], off
	v_lshlrev_b64 v[4:5], 1, v[2:3]
	v_mov_b32_e32 v9, s13
	v_add_co_u32_e32 v4, vcc, s12, v4
	v_addc_co_u32_e32 v5, vcc, v9, v5, vcc
	global_load_ushort v2, v[4:5], off
	v_mov_b32_e32 v10, s15
	s_waitcnt vmcnt(1)
	v_subrev_u32_e32 v4, s20, v8
	v_ashrrev_i32_e32 v5, 31, v4
	v_lshlrev_b64 v[4:5], 1, v[4:5]
	v_add_co_u32_e32 v4, vcc, s14, v4
	v_addc_co_u32_e32 v5, vcc, v10, v5, vcc
	global_load_ushort v4, v[4:5], off
	s_waitcnt vmcnt(1)
	v_lshlrev_b32_e32 v2, 16, v2
	v_mul_f32_e32 v2, s22, v2
	s_waitcnt vmcnt(0)
	v_lshlrev_b32_e32 v4, 16, v4
	v_mul_f32_e32 v2, v2, v4
	s_branch .LBB134_7
.LBB134_12:
	s_sub_i32 s2, s21, s19
	v_cmp_gt_u32_e32 vcc, s2, v0
	s_waitcnt lgkmcnt(0)
	s_barrier
	s_and_saveexec_b64 s[2:3], vcc
	s_cbranch_execz .LBB134_18
; %bb.13:
	s_add_i32 s17, s17, s19
	v_add_u32_e32 v2, s17, v0
	v_mov_b32_e32 v3, 0
	v_lshlrev_b64 v[4:5], 2, v[2:3]
	v_mov_b32_e32 v1, s1
	v_add_co_u32_e32 v4, vcc, s0, v4
	v_addc_co_u32_e32 v5, vcc, v1, v5, vcc
	global_load_dword v4, v[4:5], off
	s_load_dwordx2 s[0:1], s[4:5], 0x50
	v_lshlrev_b32_e32 v0, s18, v0
	v_lshl_add_u32 v0, v0, 2, 0
	s_mov_b32 s2, 1
.LBB134_14:                             ; =>This Inner Loop Header: Depth=1
	ds_read_b32 v1, v0
	s_lshr_b32 s3, s2, s18
	s_add_i32 s2, s2, 1
	v_add_u32_e32 v0, 4, v0
	s_cmp_lg_u32 s3, 0
	s_waitcnt lgkmcnt(0)
	v_add_f32_e32 v3, v3, v1
	s_cbranch_scc0 .LBB134_14
; %bb.15:
	v_cmp_neq_f32_e64 s[2:3], s16, 0
	s_waitcnt vmcnt(0)
	v_ashrrev_i32_e32 v5, 31, v4
	s_and_b64 vcc, exec, s[2:3]
	v_lshlrev_b64 v[0:1], 2, v[4:5]
	s_cbranch_vccz .LBB134_17
; %bb.16:
	v_mov_b32_e32 v2, s1
	v_add_co_u32_e32 v4, vcc, s0, v0
	v_addc_co_u32_e32 v5, vcc, v2, v1, vcc
	global_load_dword v2, v[4:5], off
	s_waitcnt vmcnt(0)
	v_fmac_f32_e32 v3, s16, v2
.LBB134_17:
	v_mov_b32_e32 v2, s1
	v_add_co_u32_e32 v0, vcc, s0, v0
	v_addc_co_u32_e32 v1, vcc, v2, v1, vcc
	global_store_dword v[0:1], v3, off
.LBB134_18:
	s_endpgm
	.section	.rodata,"a",@progbits
	.p2align	6, 0x0
	.amdhsa_kernel _ZN9rocsparseL28csrmvn_lrb_short_rows_kernelIii18rocsparse_bfloat16S1_ffEEvbT_PT0_S4_jNS_24const_host_device_scalarIT4_EEPKS2_PKS3_PKT1_PKT2_S7_PT3_21rocsparse_index_base_b
		.amdhsa_group_segment_fixed_size 0
		.amdhsa_private_segment_fixed_size 0
		.amdhsa_kernarg_size 96
		.amdhsa_user_sgpr_count 6
		.amdhsa_user_sgpr_private_segment_buffer 1
		.amdhsa_user_sgpr_dispatch_ptr 0
		.amdhsa_user_sgpr_queue_ptr 0
		.amdhsa_user_sgpr_kernarg_segment_ptr 1
		.amdhsa_user_sgpr_dispatch_id 0
		.amdhsa_user_sgpr_flat_scratch_init 0
		.amdhsa_user_sgpr_kernarg_preload_length 0
		.amdhsa_user_sgpr_kernarg_preload_offset 0
		.amdhsa_user_sgpr_private_segment_size 0
		.amdhsa_uses_dynamic_stack 0
		.amdhsa_system_sgpr_private_segment_wavefront_offset 0
		.amdhsa_system_sgpr_workgroup_id_x 1
		.amdhsa_system_sgpr_workgroup_id_y 0
		.amdhsa_system_sgpr_workgroup_id_z 0
		.amdhsa_system_sgpr_workgroup_info 0
		.amdhsa_system_vgpr_workitem_id 0
		.amdhsa_next_free_vgpr 11
		.amdhsa_next_free_sgpr 25
		.amdhsa_accum_offset 12
		.amdhsa_reserve_vcc 1
		.amdhsa_reserve_flat_scratch 0
		.amdhsa_float_round_mode_32 0
		.amdhsa_float_round_mode_16_64 0
		.amdhsa_float_denorm_mode_32 3
		.amdhsa_float_denorm_mode_16_64 3
		.amdhsa_dx10_clamp 1
		.amdhsa_ieee_mode 1
		.amdhsa_fp16_overflow 0
		.amdhsa_tg_split 0
		.amdhsa_exception_fp_ieee_invalid_op 0
		.amdhsa_exception_fp_denorm_src 0
		.amdhsa_exception_fp_ieee_div_zero 0
		.amdhsa_exception_fp_ieee_overflow 0
		.amdhsa_exception_fp_ieee_underflow 0
		.amdhsa_exception_fp_ieee_inexact 0
		.amdhsa_exception_int_div_zero 0
	.end_amdhsa_kernel
	.section	.text._ZN9rocsparseL28csrmvn_lrb_short_rows_kernelIii18rocsparse_bfloat16S1_ffEEvbT_PT0_S4_jNS_24const_host_device_scalarIT4_EEPKS2_PKS3_PKT1_PKT2_S7_PT3_21rocsparse_index_base_b,"axG",@progbits,_ZN9rocsparseL28csrmvn_lrb_short_rows_kernelIii18rocsparse_bfloat16S1_ffEEvbT_PT0_S4_jNS_24const_host_device_scalarIT4_EEPKS2_PKS3_PKT1_PKT2_S7_PT3_21rocsparse_index_base_b,comdat
.Lfunc_end134:
	.size	_ZN9rocsparseL28csrmvn_lrb_short_rows_kernelIii18rocsparse_bfloat16S1_ffEEvbT_PT0_S4_jNS_24const_host_device_scalarIT4_EEPKS2_PKS3_PKT1_PKT2_S7_PT3_21rocsparse_index_base_b, .Lfunc_end134-_ZN9rocsparseL28csrmvn_lrb_short_rows_kernelIii18rocsparse_bfloat16S1_ffEEvbT_PT0_S4_jNS_24const_host_device_scalarIT4_EEPKS2_PKS3_PKT1_PKT2_S7_PT3_21rocsparse_index_base_b
                                        ; -- End function
	.section	.AMDGPU.csdata,"",@progbits
; Kernel info:
; codeLenInByte = 748
; NumSgprs: 29
; NumVgprs: 11
; NumAgprs: 0
; TotalNumVgprs: 11
; ScratchSize: 0
; MemoryBound: 0
; FloatMode: 240
; IeeeMode: 1
; LDSByteSize: 0 bytes/workgroup (compile time only)
; SGPRBlocks: 3
; VGPRBlocks: 1
; NumSGPRsForWavesPerEU: 29
; NumVGPRsForWavesPerEU: 11
; AccumOffset: 12
; Occupancy: 8
; WaveLimiterHint : 1
; COMPUTE_PGM_RSRC2:SCRATCH_EN: 0
; COMPUTE_PGM_RSRC2:USER_SGPR: 6
; COMPUTE_PGM_RSRC2:TRAP_HANDLER: 0
; COMPUTE_PGM_RSRC2:TGID_X_EN: 1
; COMPUTE_PGM_RSRC2:TGID_Y_EN: 0
; COMPUTE_PGM_RSRC2:TGID_Z_EN: 0
; COMPUTE_PGM_RSRC2:TIDIG_COMP_CNT: 0
; COMPUTE_PGM_RSRC3_GFX90A:ACCUM_OFFSET: 2
; COMPUTE_PGM_RSRC3_GFX90A:TG_SPLIT: 0
	.section	.text._ZN9rocsparseL30csrmvn_lrb_short_rows_2_kernelIii18rocsparse_bfloat16S1_ffEEvbT_PT0_S4_jNS_24const_host_device_scalarIT4_EEPKS2_PKS3_PKT1_PKT2_S7_PT3_21rocsparse_index_base_b,"axG",@progbits,_ZN9rocsparseL30csrmvn_lrb_short_rows_2_kernelIii18rocsparse_bfloat16S1_ffEEvbT_PT0_S4_jNS_24const_host_device_scalarIT4_EEPKS2_PKS3_PKT1_PKT2_S7_PT3_21rocsparse_index_base_b,comdat
	.globl	_ZN9rocsparseL30csrmvn_lrb_short_rows_2_kernelIii18rocsparse_bfloat16S1_ffEEvbT_PT0_S4_jNS_24const_host_device_scalarIT4_EEPKS2_PKS3_PKT1_PKT2_S7_PT3_21rocsparse_index_base_b ; -- Begin function _ZN9rocsparseL30csrmvn_lrb_short_rows_2_kernelIii18rocsparse_bfloat16S1_ffEEvbT_PT0_S4_jNS_24const_host_device_scalarIT4_EEPKS2_PKS3_PKT1_PKT2_S7_PT3_21rocsparse_index_base_b
	.p2align	8
	.type	_ZN9rocsparseL30csrmvn_lrb_short_rows_2_kernelIii18rocsparse_bfloat16S1_ffEEvbT_PT0_S4_jNS_24const_host_device_scalarIT4_EEPKS2_PKS3_PKT1_PKT2_S7_PT3_21rocsparse_index_base_b,@function
_ZN9rocsparseL30csrmvn_lrb_short_rows_2_kernelIii18rocsparse_bfloat16S1_ffEEvbT_PT0_S4_jNS_24const_host_device_scalarIT4_EEPKS2_PKS3_PKT1_PKT2_S7_PT3_21rocsparse_index_base_b: ; @_ZN9rocsparseL30csrmvn_lrb_short_rows_2_kernelIii18rocsparse_bfloat16S1_ffEEvbT_PT0_S4_jNS_24const_host_device_scalarIT4_EEPKS2_PKS3_PKT1_PKT2_S7_PT3_21rocsparse_index_base_b
; %bb.0:
	s_load_dwordx2 s[22:23], s[4:5], 0x58
	s_load_dwordx2 s[20:21], s[4:5], 0x20
	;; [unrolled: 1-line block ×3, first 2 shown]
	s_waitcnt lgkmcnt(0)
	s_bitcmp1_b32 s23, 0
	s_cselect_b64 s[2:3], -1, 0
	s_xor_b64 s[0:1], s[2:3], -1
	s_and_b64 vcc, exec, s[2:3]
	s_cbranch_vccnz .LBB135_2
; %bb.1:
	s_load_dword s20, s[20:21], 0x0
.LBB135_2:
	s_andn2_b64 vcc, exec, s[0:1]
	s_cbranch_vccnz .LBB135_4
; %bb.3:
	s_load_dword s16, s[16:17], 0x0
.LBB135_4:
	s_waitcnt lgkmcnt(0)
	v_cmp_neq_f32_e64 s[0:1], s20, 0
	v_cmp_neq_f32_e64 s[2:3], s16, 1.0
	s_or_b64 s[0:1], s[0:1], s[2:3]
	s_andn2_b64 vcc, exec, s[0:1]
	s_mov_b32 s19, 0
	s_cbranch_vccnz .LBB135_30
; %bb.5:
	s_load_dword s18, s[4:5], 0x18
	s_load_dwordx4 s[0:3], s[4:5], 0x8
	s_mov_b32 s9, s19
	s_waitcnt lgkmcnt(0)
	s_lshl_b64 s[10:11], s[18:19], 2
	s_add_u32 s24, s2, s10
	s_addc_u32 s25, s3, s11
	s_add_i32 s8, s18, 1
	s_lshl_b64 s[8:9], s[8:9], 2
	s_add_u32 s26, s2, s8
	s_addc_u32 s27, s3, s9
	s_load_dword s19, s[24:25], 0x0
	s_load_dword s7, s[26:27], 0x0
	s_load_dwordx2 s[2:3], s[4:5], 0x50
	s_load_dwordx8 s[8:15], s[4:5], 0x28
	s_lshr_b32 s17, 0x400, s18
	s_mul_i32 s21, s17, s6
	s_waitcnt lgkmcnt(0)
	s_sub_i32 s4, s7, s19
	s_add_i32 s5, s21, s17
	v_lshrrev_b32_e32 v2, s18, v0
	s_min_u32 s23, s4, s5
	v_bfe_u32 v6, v0, 0, s18
	v_add_u32_e32 v2, s21, v2
	v_subrev_u32_e32 v1, s22, v6
	v_cmp_gt_u32_e32 vcc, s23, v2
	s_and_saveexec_b64 s[4:5], vcc
	s_cbranch_execz .LBB135_9
; %bb.6:
	v_add_u32_e32 v2, s19, v2
	v_mov_b32_e32 v3, 0
	v_lshlrev_b64 v[4:5], 2, v[2:3]
	v_mov_b32_e32 v2, s1
	v_add_co_u32_e32 v4, vcc, s0, v4
	v_addc_co_u32_e32 v5, vcc, v2, v5, vcc
	global_load_dword v4, v[4:5], off
	v_mov_b32_e32 v2, s9
	s_waitcnt vmcnt(0)
	v_ashrrev_i32_e32 v5, 31, v4
	v_lshlrev_b64 v[4:5], 2, v[4:5]
	v_add_co_u32_e32 v4, vcc, s8, v4
	v_addc_co_u32_e32 v5, vcc, v2, v5, vcc
	global_load_dwordx2 v[4:5], v[4:5], off
	s_waitcnt vmcnt(0)
	v_sub_u32_e32 v2, v5, v4
	v_cmp_lt_u32_e32 vcc, v6, v2
	s_and_saveexec_b64 s[6:7], vcc
	s_cbranch_execz .LBB135_8
; %bb.7:
	v_add_u32_e32 v2, v4, v1
	v_mov_b32_e32 v3, 0
	v_lshlrev_b64 v[4:5], 2, v[2:3]
	v_mov_b32_e32 v7, s11
	v_add_co_u32_e32 v4, vcc, s10, v4
	v_addc_co_u32_e32 v5, vcc, v7, v5, vcc
	global_load_dword v4, v[4:5], off
	v_lshlrev_b64 v[2:3], 1, v[2:3]
	v_mov_b32_e32 v5, s13
	v_add_co_u32_e32 v2, vcc, s12, v2
	v_addc_co_u32_e32 v3, vcc, v5, v3, vcc
	global_load_ushort v5, v[2:3], off
	v_mov_b32_e32 v7, s15
	s_waitcnt vmcnt(1)
	v_subrev_u32_e32 v2, s22, v4
	v_ashrrev_i32_e32 v3, 31, v2
	v_lshlrev_b64 v[2:3], 1, v[2:3]
	v_add_co_u32_e32 v2, vcc, s14, v2
	v_addc_co_u32_e32 v3, vcc, v7, v3, vcc
	global_load_ushort v2, v[2:3], off
	s_waitcnt vmcnt(1)
	v_lshlrev_b32_e32 v3, 16, v5
	v_mul_f32_e32 v3, s20, v3
	s_waitcnt vmcnt(0)
	v_lshlrev_b32_e32 v2, 16, v2
	v_mul_f32_e32 v3, v3, v2
.LBB135_8:
	s_or_b64 exec, exec, s[6:7]
	v_lshlrev_b32_e32 v2, 2, v0
	ds_write_b32 v2, v3
.LBB135_9:
	s_or_b64 exec, exec, s[4:5]
	v_or_b32_e32 v2, 0x100, v0
	v_lshrrev_b32_e32 v2, s18, v2
	v_add_u32_e32 v2, s21, v2
	v_cmp_gt_u32_e32 vcc, s23, v2
	s_and_saveexec_b64 s[4:5], vcc
	s_cbranch_execz .LBB135_13
; %bb.10:
	v_add_u32_e32 v2, s19, v2
	v_mov_b32_e32 v3, 0
	v_lshlrev_b64 v[4:5], 2, v[2:3]
	v_mov_b32_e32 v2, s1
	v_add_co_u32_e32 v4, vcc, s0, v4
	v_addc_co_u32_e32 v5, vcc, v2, v5, vcc
	global_load_dword v4, v[4:5], off
	v_mov_b32_e32 v2, s9
	s_waitcnt vmcnt(0)
	v_ashrrev_i32_e32 v5, 31, v4
	v_lshlrev_b64 v[4:5], 2, v[4:5]
	v_add_co_u32_e32 v4, vcc, s8, v4
	v_addc_co_u32_e32 v5, vcc, v2, v5, vcc
	global_load_dwordx2 v[4:5], v[4:5], off
	s_waitcnt vmcnt(0)
	v_sub_u32_e32 v2, v5, v4
	v_cmp_lt_u32_e32 vcc, v6, v2
	s_and_saveexec_b64 s[6:7], vcc
	s_cbranch_execz .LBB135_12
; %bb.11:
	v_add_u32_e32 v2, v4, v1
	v_mov_b32_e32 v3, 0
	v_lshlrev_b64 v[4:5], 2, v[2:3]
	v_mov_b32_e32 v7, s11
	v_add_co_u32_e32 v4, vcc, s10, v4
	v_addc_co_u32_e32 v5, vcc, v7, v5, vcc
	global_load_dword v4, v[4:5], off
	v_lshlrev_b64 v[2:3], 1, v[2:3]
	v_mov_b32_e32 v5, s13
	v_add_co_u32_e32 v2, vcc, s12, v2
	v_addc_co_u32_e32 v3, vcc, v5, v3, vcc
	global_load_ushort v5, v[2:3], off
	v_mov_b32_e32 v7, s15
	s_waitcnt vmcnt(1)
	v_subrev_u32_e32 v2, s22, v4
	v_ashrrev_i32_e32 v3, 31, v2
	v_lshlrev_b64 v[2:3], 1, v[2:3]
	v_add_co_u32_e32 v2, vcc, s14, v2
	v_addc_co_u32_e32 v3, vcc, v7, v3, vcc
	global_load_ushort v2, v[2:3], off
	s_waitcnt vmcnt(1)
	v_lshlrev_b32_e32 v3, 16, v5
	v_mul_f32_e32 v3, s20, v3
	s_waitcnt vmcnt(0)
	v_lshlrev_b32_e32 v2, 16, v2
	v_mul_f32_e32 v3, v3, v2
.LBB135_12:
	s_or_b64 exec, exec, s[6:7]
	v_lshlrev_b32_e32 v2, 2, v0
	ds_write_b32 v2, v3 offset:1024
.LBB135_13:
	s_or_b64 exec, exec, s[4:5]
	v_or_b32_e32 v2, 0x200, v0
	v_lshrrev_b32_e32 v2, s18, v2
	v_add_u32_e32 v2, s21, v2
	v_cmp_gt_u32_e32 vcc, s23, v2
	s_and_saveexec_b64 s[4:5], vcc
	s_cbranch_execz .LBB135_17
; %bb.14:
	v_add_u32_e32 v2, s19, v2
	v_mov_b32_e32 v3, 0
	v_lshlrev_b64 v[4:5], 2, v[2:3]
	v_mov_b32_e32 v2, s1
	v_add_co_u32_e32 v4, vcc, s0, v4
	v_addc_co_u32_e32 v5, vcc, v2, v5, vcc
	global_load_dword v4, v[4:5], off
	v_mov_b32_e32 v2, s9
	s_waitcnt vmcnt(0)
	v_ashrrev_i32_e32 v5, 31, v4
	v_lshlrev_b64 v[4:5], 2, v[4:5]
	v_add_co_u32_e32 v4, vcc, s8, v4
	v_addc_co_u32_e32 v5, vcc, v2, v5, vcc
	global_load_dwordx2 v[4:5], v[4:5], off
	s_waitcnt vmcnt(0)
	v_sub_u32_e32 v2, v5, v4
	v_cmp_lt_u32_e32 vcc, v6, v2
	s_and_saveexec_b64 s[6:7], vcc
	s_cbranch_execz .LBB135_16
; %bb.15:
	v_add_u32_e32 v2, v4, v1
	v_mov_b32_e32 v3, 0
	v_lshlrev_b64 v[4:5], 2, v[2:3]
	v_mov_b32_e32 v7, s11
	v_add_co_u32_e32 v4, vcc, s10, v4
	v_addc_co_u32_e32 v5, vcc, v7, v5, vcc
	global_load_dword v4, v[4:5], off
	v_lshlrev_b64 v[2:3], 1, v[2:3]
	v_mov_b32_e32 v5, s13
	v_add_co_u32_e32 v2, vcc, s12, v2
	v_addc_co_u32_e32 v3, vcc, v5, v3, vcc
	global_load_ushort v5, v[2:3], off
	v_mov_b32_e32 v7, s15
	s_waitcnt vmcnt(1)
	v_subrev_u32_e32 v2, s22, v4
	v_ashrrev_i32_e32 v3, 31, v2
	v_lshlrev_b64 v[2:3], 1, v[2:3]
	v_add_co_u32_e32 v2, vcc, s14, v2
	v_addc_co_u32_e32 v3, vcc, v7, v3, vcc
	global_load_ushort v2, v[2:3], off
	s_waitcnt vmcnt(1)
	v_lshlrev_b32_e32 v3, 16, v5
	v_mul_f32_e32 v3, s20, v3
	s_waitcnt vmcnt(0)
	v_lshlrev_b32_e32 v2, 16, v2
	v_mul_f32_e32 v3, v3, v2
.LBB135_16:
	s_or_b64 exec, exec, s[6:7]
	v_lshlrev_b32_e32 v2, 2, v0
	ds_write_b32 v2, v3 offset:2048
.LBB135_17:
	;; [unrolled: 59-line block ×3, first 2 shown]
	s_or_b64 exec, exec, s[4:5]
	s_cmp_lt_u32 s18, 11
	s_waitcnt lgkmcnt(0)
	s_barrier
	s_cbranch_scc0 .LBB135_30
; %bb.22:
	s_sub_i32 s8, s23, s21
	s_add_i32 s19, s19, s21
	s_mov_b32 s9, 0
	v_cmp_neq_f32_e64 s[4:5], s16, 0
	v_mov_b32_e32 v3, 0
	s_branch .LBB135_25
.LBB135_23:                             ;   in Loop: Header=BB135_25 Depth=1
	v_mov_b32_e32 v2, s3
	v_add_co_u32_e32 v4, vcc, s2, v4
	v_addc_co_u32_e32 v5, vcc, v2, v5, vcc
	global_store_dword v[4:5], v1, off
.LBB135_24:                             ;   in Loop: Header=BB135_25 Depth=1
	s_or_b64 exec, exec, s[6:7]
	s_addk_i32 s9, 0x100
	s_cmp_lt_u32 s9, s17
	s_cbranch_scc0 .LBB135_30
.LBB135_25:                             ; =>This Loop Header: Depth=1
                                        ;     Child Loop BB135_27 Depth 2
	v_add_u32_e32 v1, s9, v0
	v_cmp_gt_u32_e32 vcc, s8, v1
	s_and_saveexec_b64 s[6:7], vcc
	s_cbranch_execz .LBB135_24
; %bb.26:                               ;   in Loop: Header=BB135_25 Depth=1
	v_add_u32_e32 v2, s19, v1
	v_lshlrev_b64 v[4:5], 2, v[2:3]
	v_mov_b32_e32 v2, s1
	v_add_co_u32_e32 v4, vcc, s0, v4
	v_addc_co_u32_e32 v5, vcc, v2, v5, vcc
	global_load_dword v4, v[4:5], off
	v_lshlrev_b32_e32 v1, s18, v1
	v_lshlrev_b32_e32 v2, 2, v1
	s_mov_b32 s10, 1
	v_mov_b32_e32 v1, 0
.LBB135_27:                             ;   Parent Loop BB135_25 Depth=1
                                        ; =>  This Inner Loop Header: Depth=2
	ds_read_b32 v5, v2
	s_lshr_b32 s11, s10, s18
	s_add_i32 s10, s10, 1
	v_add_u32_e32 v2, 4, v2
	s_cmp_lg_u32 s11, 0
	s_waitcnt lgkmcnt(0)
	v_add_f32_e32 v1, v1, v5
	s_cbranch_scc0 .LBB135_27
; %bb.28:                               ;   in Loop: Header=BB135_25 Depth=1
	s_waitcnt vmcnt(0)
	v_ashrrev_i32_e32 v5, 31, v4
	s_and_b64 vcc, exec, s[4:5]
	v_lshlrev_b64 v[4:5], 2, v[4:5]
	s_cbranch_vccz .LBB135_23
; %bb.29:                               ;   in Loop: Header=BB135_25 Depth=1
	v_mov_b32_e32 v2, s3
	v_add_co_u32_e32 v6, vcc, s2, v4
	v_addc_co_u32_e32 v7, vcc, v2, v5, vcc
	global_load_dword v2, v[6:7], off
	s_waitcnt vmcnt(0)
	v_fmac_f32_e32 v1, s16, v2
	s_branch .LBB135_23
.LBB135_30:
	s_endpgm
	.section	.rodata,"a",@progbits
	.p2align	6, 0x0
	.amdhsa_kernel _ZN9rocsparseL30csrmvn_lrb_short_rows_2_kernelIii18rocsparse_bfloat16S1_ffEEvbT_PT0_S4_jNS_24const_host_device_scalarIT4_EEPKS2_PKS3_PKT1_PKT2_S7_PT3_21rocsparse_index_base_b
		.amdhsa_group_segment_fixed_size 4096
		.amdhsa_private_segment_fixed_size 0
		.amdhsa_kernarg_size 96
		.amdhsa_user_sgpr_count 6
		.amdhsa_user_sgpr_private_segment_buffer 1
		.amdhsa_user_sgpr_dispatch_ptr 0
		.amdhsa_user_sgpr_queue_ptr 0
		.amdhsa_user_sgpr_kernarg_segment_ptr 1
		.amdhsa_user_sgpr_dispatch_id 0
		.amdhsa_user_sgpr_flat_scratch_init 0
		.amdhsa_user_sgpr_kernarg_preload_length 0
		.amdhsa_user_sgpr_kernarg_preload_offset 0
		.amdhsa_user_sgpr_private_segment_size 0
		.amdhsa_uses_dynamic_stack 0
		.amdhsa_system_sgpr_private_segment_wavefront_offset 0
		.amdhsa_system_sgpr_workgroup_id_x 1
		.amdhsa_system_sgpr_workgroup_id_y 0
		.amdhsa_system_sgpr_workgroup_id_z 0
		.amdhsa_system_sgpr_workgroup_info 0
		.amdhsa_system_vgpr_workitem_id 0
		.amdhsa_next_free_vgpr 8
		.amdhsa_next_free_sgpr 28
		.amdhsa_accum_offset 8
		.amdhsa_reserve_vcc 1
		.amdhsa_reserve_flat_scratch 0
		.amdhsa_float_round_mode_32 0
		.amdhsa_float_round_mode_16_64 0
		.amdhsa_float_denorm_mode_32 3
		.amdhsa_float_denorm_mode_16_64 3
		.amdhsa_dx10_clamp 1
		.amdhsa_ieee_mode 1
		.amdhsa_fp16_overflow 0
		.amdhsa_tg_split 0
		.amdhsa_exception_fp_ieee_invalid_op 0
		.amdhsa_exception_fp_denorm_src 0
		.amdhsa_exception_fp_ieee_div_zero 0
		.amdhsa_exception_fp_ieee_overflow 0
		.amdhsa_exception_fp_ieee_underflow 0
		.amdhsa_exception_fp_ieee_inexact 0
		.amdhsa_exception_int_div_zero 0
	.end_amdhsa_kernel
	.section	.text._ZN9rocsparseL30csrmvn_lrb_short_rows_2_kernelIii18rocsparse_bfloat16S1_ffEEvbT_PT0_S4_jNS_24const_host_device_scalarIT4_EEPKS2_PKS3_PKT1_PKT2_S7_PT3_21rocsparse_index_base_b,"axG",@progbits,_ZN9rocsparseL30csrmvn_lrb_short_rows_2_kernelIii18rocsparse_bfloat16S1_ffEEvbT_PT0_S4_jNS_24const_host_device_scalarIT4_EEPKS2_PKS3_PKT1_PKT2_S7_PT3_21rocsparse_index_base_b,comdat
.Lfunc_end135:
	.size	_ZN9rocsparseL30csrmvn_lrb_short_rows_2_kernelIii18rocsparse_bfloat16S1_ffEEvbT_PT0_S4_jNS_24const_host_device_scalarIT4_EEPKS2_PKS3_PKT1_PKT2_S7_PT3_21rocsparse_index_base_b, .Lfunc_end135-_ZN9rocsparseL30csrmvn_lrb_short_rows_2_kernelIii18rocsparse_bfloat16S1_ffEEvbT_PT0_S4_jNS_24const_host_device_scalarIT4_EEPKS2_PKS3_PKT1_PKT2_S7_PT3_21rocsparse_index_base_b
                                        ; -- End function
	.section	.AMDGPU.csdata,"",@progbits
; Kernel info:
; codeLenInByte = 1536
; NumSgprs: 32
; NumVgprs: 8
; NumAgprs: 0
; TotalNumVgprs: 8
; ScratchSize: 0
; MemoryBound: 0
; FloatMode: 240
; IeeeMode: 1
; LDSByteSize: 4096 bytes/workgroup (compile time only)
; SGPRBlocks: 3
; VGPRBlocks: 0
; NumSGPRsForWavesPerEU: 32
; NumVGPRsForWavesPerEU: 8
; AccumOffset: 8
; Occupancy: 8
; WaveLimiterHint : 1
; COMPUTE_PGM_RSRC2:SCRATCH_EN: 0
; COMPUTE_PGM_RSRC2:USER_SGPR: 6
; COMPUTE_PGM_RSRC2:TRAP_HANDLER: 0
; COMPUTE_PGM_RSRC2:TGID_X_EN: 1
; COMPUTE_PGM_RSRC2:TGID_Y_EN: 0
; COMPUTE_PGM_RSRC2:TGID_Z_EN: 0
; COMPUTE_PGM_RSRC2:TIDIG_COMP_CNT: 0
; COMPUTE_PGM_RSRC3_GFX90A:ACCUM_OFFSET: 1
; COMPUTE_PGM_RSRC3_GFX90A:TG_SPLIT: 0
	.section	.text._ZN9rocsparseL41csrmvn_lrb_medium_rows_warp_reduce_kernelILj256ELj32Eii18rocsparse_bfloat16S1_ffEEvbT1_lPT2_S4_jNS_24const_host_device_scalarIT6_EEPKS2_PKS3_PKT3_PKT4_S7_PT5_21rocsparse_index_base_b,"axG",@progbits,_ZN9rocsparseL41csrmvn_lrb_medium_rows_warp_reduce_kernelILj256ELj32Eii18rocsparse_bfloat16S1_ffEEvbT1_lPT2_S4_jNS_24const_host_device_scalarIT6_EEPKS2_PKS3_PKT3_PKT4_S7_PT5_21rocsparse_index_base_b,comdat
	.globl	_ZN9rocsparseL41csrmvn_lrb_medium_rows_warp_reduce_kernelILj256ELj32Eii18rocsparse_bfloat16S1_ffEEvbT1_lPT2_S4_jNS_24const_host_device_scalarIT6_EEPKS2_PKS3_PKT3_PKT4_S7_PT5_21rocsparse_index_base_b ; -- Begin function _ZN9rocsparseL41csrmvn_lrb_medium_rows_warp_reduce_kernelILj256ELj32Eii18rocsparse_bfloat16S1_ffEEvbT1_lPT2_S4_jNS_24const_host_device_scalarIT6_EEPKS2_PKS3_PKT3_PKT4_S7_PT5_21rocsparse_index_base_b
	.p2align	8
	.type	_ZN9rocsparseL41csrmvn_lrb_medium_rows_warp_reduce_kernelILj256ELj32Eii18rocsparse_bfloat16S1_ffEEvbT1_lPT2_S4_jNS_24const_host_device_scalarIT6_EEPKS2_PKS3_PKT3_PKT4_S7_PT5_21rocsparse_index_base_b,@function
_ZN9rocsparseL41csrmvn_lrb_medium_rows_warp_reduce_kernelILj256ELj32Eii18rocsparse_bfloat16S1_ffEEvbT1_lPT2_S4_jNS_24const_host_device_scalarIT6_EEPKS2_PKS3_PKT3_PKT4_S7_PT5_21rocsparse_index_base_b: ; @_ZN9rocsparseL41csrmvn_lrb_medium_rows_warp_reduce_kernelILj256ELj32Eii18rocsparse_bfloat16S1_ffEEvbT1_lPT2_S4_jNS_24const_host_device_scalarIT6_EEPKS2_PKS3_PKT3_PKT4_S7_PT5_21rocsparse_index_base_b
; %bb.0:
	s_load_dwordx2 s[10:11], s[4:5], 0x60
	s_load_dwordx2 s[12:13], s[4:5], 0x28
	;; [unrolled: 1-line block ×3, first 2 shown]
	s_waitcnt lgkmcnt(0)
	s_bitcmp1_b32 s11, 0
	s_cselect_b64 s[2:3], -1, 0
	s_xor_b64 s[0:1], s[2:3], -1
	s_and_b64 vcc, exec, s[2:3]
	s_cbranch_vccnz .LBB136_2
; %bb.1:
	s_load_dword s12, s[12:13], 0x0
.LBB136_2:
	s_andn2_b64 vcc, exec, s[0:1]
	s_cbranch_vccnz .LBB136_4
; %bb.3:
	s_load_dword s8, s[8:9], 0x0
.LBB136_4:
	s_waitcnt lgkmcnt(0)
	v_cmp_neq_f32_e64 s[0:1], s12, 0
	v_cmp_neq_f32_e64 s[2:3], s8, 1.0
	s_or_b64 s[0:1], s[0:1], s[2:3]
	s_andn2_b64 vcc, exec, s[0:1]
	s_cbranch_vccnz .LBB136_14
; %bb.5:
	s_load_dwordx2 s[0:1], s[4:5], 0x8
	v_lshrrev_b32_e32 v1, 5, v0
	v_lshl_or_b32 v2, s6, 3, v1
	v_ashrrev_i32_e32 v3, 31, v2
	s_waitcnt lgkmcnt(0)
	v_cmp_gt_i64_e32 vcc, s[0:1], v[2:3]
	s_and_saveexec_b64 s[0:1], vcc
	s_cbranch_execz .LBB136_14
; %bb.6:
	s_load_dword s6, s[4:5], 0x20
	s_load_dwordx4 s[0:3], s[4:5], 0x10
	s_mov_b32 s7, 0
	s_waitcnt lgkmcnt(0)
	s_lshl_b64 s[6:7], s[6:7], 2
	s_add_u32 s2, s2, s6
	s_addc_u32 s3, s3, s7
	s_load_dword s2, s[2:3], 0x0
	v_mov_b32_e32 v1, s1
	s_load_dwordx2 s[6:7], s[4:5], 0x58
	s_waitcnt lgkmcnt(0)
	v_add_u32_e32 v2, s2, v2
	v_ashrrev_i32_e32 v3, 31, v2
	v_lshlrev_b64 v[2:3], 2, v[2:3]
	v_add_co_u32_e32 v2, vcc, s0, v2
	v_addc_co_u32_e32 v3, vcc, v1, v3, vcc
	global_load_dword v2, v[2:3], off
	s_load_dwordx2 s[0:1], s[4:5], 0x30
	s_waitcnt lgkmcnt(0)
	v_mov_b32_e32 v1, s1
	s_waitcnt vmcnt(0)
	v_ashrrev_i32_e32 v3, 31, v2
	v_lshlrev_b64 v[2:3], 2, v[2:3]
	v_add_co_u32_e32 v4, vcc, s0, v2
	v_addc_co_u32_e32 v5, vcc, v1, v3, vcc
	global_load_dwordx2 v[6:7], v[4:5], off
	v_and_b32_e32 v4, 31, v0
	v_subrev_u32_e32 v0, s10, v4
	s_waitcnt vmcnt(0)
	v_subrev_u32_e32 v5, s10, v7
	v_add_u32_e32 v0, v6, v0
	v_cmp_lt_i32_e32 vcc, v0, v5
	v_mov_b32_e32 v6, 0
	s_and_saveexec_b64 s[14:15], vcc
	s_cbranch_execz .LBB136_10
; %bb.7:
	s_load_dwordx4 s[0:3], s[4:5], 0x38
	s_load_dwordx2 s[16:17], s[4:5], 0x48
	s_mov_b64 s[4:5], 0
	v_mov_b32_e32 v6, 0
	s_waitcnt lgkmcnt(0)
	v_mov_b32_e32 v7, s3
	v_mov_b32_e32 v8, s1
	;; [unrolled: 1-line block ×3, first 2 shown]
.LBB136_8:                              ; =>This Inner Loop Header: Depth=1
	v_ashrrev_i32_e32 v1, 31, v0
	v_lshlrev_b64 v[10:11], 2, v[0:1]
	v_add_co_u32_e32 v10, vcc, s0, v10
	v_addc_co_u32_e32 v11, vcc, v8, v11, vcc
	global_load_dword v12, v[10:11], off
	v_lshlrev_b64 v[10:11], 1, v[0:1]
	v_add_co_u32_e32 v10, vcc, s2, v10
	v_addc_co_u32_e32 v11, vcc, v7, v11, vcc
	global_load_ushort v1, v[10:11], off
	v_add_u32_e32 v0, 32, v0
	s_waitcnt vmcnt(1)
	v_subrev_u32_e32 v10, s10, v12
	v_ashrrev_i32_e32 v11, 31, v10
	v_lshlrev_b64 v[10:11], 1, v[10:11]
	v_add_co_u32_e32 v10, vcc, s16, v10
	v_addc_co_u32_e32 v11, vcc, v9, v11, vcc
	global_load_ushort v10, v[10:11], off
	s_waitcnt vmcnt(1)
	v_lshlrev_b32_e32 v1, 16, v1
	v_cmp_ge_i32_e32 vcc, v0, v5
	v_mul_f32_e32 v1, s12, v1
	s_or_b64 s[4:5], vcc, s[4:5]
	s_waitcnt vmcnt(0)
	v_lshlrev_b32_e32 v10, 16, v10
	v_fmac_f32_e32 v6, v1, v10
	s_andn2_b64 exec, exec, s[4:5]
	s_cbranch_execnz .LBB136_8
; %bb.9:
	s_or_b64 exec, exec, s[4:5]
.LBB136_10:
	s_or_b64 exec, exec, s[14:15]
	v_mov_b32_dpp v0, v6 row_shr:1 row_mask:0xf bank_mask:0xf
	v_add_f32_e32 v0, v6, v0
	v_cmp_eq_u32_e32 vcc, 31, v4
	s_nop 0
	v_mov_b32_dpp v1, v0 row_shr:2 row_mask:0xf bank_mask:0xf
	v_add_f32_e32 v0, v0, v1
	s_nop 1
	v_mov_b32_dpp v1, v0 row_shr:4 row_mask:0xf bank_mask:0xe
	v_add_f32_e32 v0, v0, v1
	;; [unrolled: 3-line block ×3, first 2 shown]
	s_nop 1
	v_mov_b32_dpp v1, v0 row_bcast:15 row_mask:0xa bank_mask:0xf
	s_and_b64 exec, exec, vcc
	s_cbranch_execz .LBB136_14
; %bb.11:
	v_cmp_eq_f32_e64 s[0:1], s8, 0
	v_add_f32_e32 v0, v0, v1
	s_and_b64 vcc, exec, s[0:1]
	s_cbranch_vccnz .LBB136_13
; %bb.12:
	v_mov_b32_e32 v1, s7
	v_add_co_u32_e32 v4, vcc, s6, v2
	v_addc_co_u32_e32 v5, vcc, v1, v3, vcc
	global_load_dword v1, v[4:5], off
	s_waitcnt vmcnt(0)
	v_fmac_f32_e32 v0, s8, v1
.LBB136_13:
	v_mov_b32_e32 v1, s7
	v_add_co_u32_e32 v2, vcc, s6, v2
	v_addc_co_u32_e32 v3, vcc, v1, v3, vcc
	global_store_dword v[2:3], v0, off
.LBB136_14:
	s_endpgm
	.section	.rodata,"a",@progbits
	.p2align	6, 0x0
	.amdhsa_kernel _ZN9rocsparseL41csrmvn_lrb_medium_rows_warp_reduce_kernelILj256ELj32Eii18rocsparse_bfloat16S1_ffEEvbT1_lPT2_S4_jNS_24const_host_device_scalarIT6_EEPKS2_PKS3_PKT3_PKT4_S7_PT5_21rocsparse_index_base_b
		.amdhsa_group_segment_fixed_size 0
		.amdhsa_private_segment_fixed_size 0
		.amdhsa_kernarg_size 104
		.amdhsa_user_sgpr_count 6
		.amdhsa_user_sgpr_private_segment_buffer 1
		.amdhsa_user_sgpr_dispatch_ptr 0
		.amdhsa_user_sgpr_queue_ptr 0
		.amdhsa_user_sgpr_kernarg_segment_ptr 1
		.amdhsa_user_sgpr_dispatch_id 0
		.amdhsa_user_sgpr_flat_scratch_init 0
		.amdhsa_user_sgpr_kernarg_preload_length 0
		.amdhsa_user_sgpr_kernarg_preload_offset 0
		.amdhsa_user_sgpr_private_segment_size 0
		.amdhsa_uses_dynamic_stack 0
		.amdhsa_system_sgpr_private_segment_wavefront_offset 0
		.amdhsa_system_sgpr_workgroup_id_x 1
		.amdhsa_system_sgpr_workgroup_id_y 0
		.amdhsa_system_sgpr_workgroup_id_z 0
		.amdhsa_system_sgpr_workgroup_info 0
		.amdhsa_system_vgpr_workitem_id 0
		.amdhsa_next_free_vgpr 13
		.amdhsa_next_free_sgpr 18
		.amdhsa_accum_offset 16
		.amdhsa_reserve_vcc 1
		.amdhsa_reserve_flat_scratch 0
		.amdhsa_float_round_mode_32 0
		.amdhsa_float_round_mode_16_64 0
		.amdhsa_float_denorm_mode_32 3
		.amdhsa_float_denorm_mode_16_64 3
		.amdhsa_dx10_clamp 1
		.amdhsa_ieee_mode 1
		.amdhsa_fp16_overflow 0
		.amdhsa_tg_split 0
		.amdhsa_exception_fp_ieee_invalid_op 0
		.amdhsa_exception_fp_denorm_src 0
		.amdhsa_exception_fp_ieee_div_zero 0
		.amdhsa_exception_fp_ieee_overflow 0
		.amdhsa_exception_fp_ieee_underflow 0
		.amdhsa_exception_fp_ieee_inexact 0
		.amdhsa_exception_int_div_zero 0
	.end_amdhsa_kernel
	.section	.text._ZN9rocsparseL41csrmvn_lrb_medium_rows_warp_reduce_kernelILj256ELj32Eii18rocsparse_bfloat16S1_ffEEvbT1_lPT2_S4_jNS_24const_host_device_scalarIT6_EEPKS2_PKS3_PKT3_PKT4_S7_PT5_21rocsparse_index_base_b,"axG",@progbits,_ZN9rocsparseL41csrmvn_lrb_medium_rows_warp_reduce_kernelILj256ELj32Eii18rocsparse_bfloat16S1_ffEEvbT1_lPT2_S4_jNS_24const_host_device_scalarIT6_EEPKS2_PKS3_PKT3_PKT4_S7_PT5_21rocsparse_index_base_b,comdat
.Lfunc_end136:
	.size	_ZN9rocsparseL41csrmvn_lrb_medium_rows_warp_reduce_kernelILj256ELj32Eii18rocsparse_bfloat16S1_ffEEvbT1_lPT2_S4_jNS_24const_host_device_scalarIT6_EEPKS2_PKS3_PKT3_PKT4_S7_PT5_21rocsparse_index_base_b, .Lfunc_end136-_ZN9rocsparseL41csrmvn_lrb_medium_rows_warp_reduce_kernelILj256ELj32Eii18rocsparse_bfloat16S1_ffEEvbT1_lPT2_S4_jNS_24const_host_device_scalarIT6_EEPKS2_PKS3_PKT3_PKT4_S7_PT5_21rocsparse_index_base_b
                                        ; -- End function
	.section	.AMDGPU.csdata,"",@progbits
; Kernel info:
; codeLenInByte = 656
; NumSgprs: 22
; NumVgprs: 13
; NumAgprs: 0
; TotalNumVgprs: 13
; ScratchSize: 0
; MemoryBound: 0
; FloatMode: 240
; IeeeMode: 1
; LDSByteSize: 0 bytes/workgroup (compile time only)
; SGPRBlocks: 2
; VGPRBlocks: 1
; NumSGPRsForWavesPerEU: 22
; NumVGPRsForWavesPerEU: 13
; AccumOffset: 16
; Occupancy: 8
; WaveLimiterHint : 1
; COMPUTE_PGM_RSRC2:SCRATCH_EN: 0
; COMPUTE_PGM_RSRC2:USER_SGPR: 6
; COMPUTE_PGM_RSRC2:TRAP_HANDLER: 0
; COMPUTE_PGM_RSRC2:TGID_X_EN: 1
; COMPUTE_PGM_RSRC2:TGID_Y_EN: 0
; COMPUTE_PGM_RSRC2:TGID_Z_EN: 0
; COMPUTE_PGM_RSRC2:TIDIG_COMP_CNT: 0
; COMPUTE_PGM_RSRC3_GFX90A:ACCUM_OFFSET: 3
; COMPUTE_PGM_RSRC3_GFX90A:TG_SPLIT: 0
	.section	.text._ZN9rocsparseL41csrmvn_lrb_medium_rows_warp_reduce_kernelILj256ELj64Eii18rocsparse_bfloat16S1_ffEEvbT1_lPT2_S4_jNS_24const_host_device_scalarIT6_EEPKS2_PKS3_PKT3_PKT4_S7_PT5_21rocsparse_index_base_b,"axG",@progbits,_ZN9rocsparseL41csrmvn_lrb_medium_rows_warp_reduce_kernelILj256ELj64Eii18rocsparse_bfloat16S1_ffEEvbT1_lPT2_S4_jNS_24const_host_device_scalarIT6_EEPKS2_PKS3_PKT3_PKT4_S7_PT5_21rocsparse_index_base_b,comdat
	.globl	_ZN9rocsparseL41csrmvn_lrb_medium_rows_warp_reduce_kernelILj256ELj64Eii18rocsparse_bfloat16S1_ffEEvbT1_lPT2_S4_jNS_24const_host_device_scalarIT6_EEPKS2_PKS3_PKT3_PKT4_S7_PT5_21rocsparse_index_base_b ; -- Begin function _ZN9rocsparseL41csrmvn_lrb_medium_rows_warp_reduce_kernelILj256ELj64Eii18rocsparse_bfloat16S1_ffEEvbT1_lPT2_S4_jNS_24const_host_device_scalarIT6_EEPKS2_PKS3_PKT3_PKT4_S7_PT5_21rocsparse_index_base_b
	.p2align	8
	.type	_ZN9rocsparseL41csrmvn_lrb_medium_rows_warp_reduce_kernelILj256ELj64Eii18rocsparse_bfloat16S1_ffEEvbT1_lPT2_S4_jNS_24const_host_device_scalarIT6_EEPKS2_PKS3_PKT3_PKT4_S7_PT5_21rocsparse_index_base_b,@function
_ZN9rocsparseL41csrmvn_lrb_medium_rows_warp_reduce_kernelILj256ELj64Eii18rocsparse_bfloat16S1_ffEEvbT1_lPT2_S4_jNS_24const_host_device_scalarIT6_EEPKS2_PKS3_PKT3_PKT4_S7_PT5_21rocsparse_index_base_b: ; @_ZN9rocsparseL41csrmvn_lrb_medium_rows_warp_reduce_kernelILj256ELj64Eii18rocsparse_bfloat16S1_ffEEvbT1_lPT2_S4_jNS_24const_host_device_scalarIT6_EEPKS2_PKS3_PKT3_PKT4_S7_PT5_21rocsparse_index_base_b
; %bb.0:
	s_load_dwordx2 s[10:11], s[4:5], 0x60
	s_load_dwordx2 s[12:13], s[4:5], 0x28
	;; [unrolled: 1-line block ×3, first 2 shown]
	s_waitcnt lgkmcnt(0)
	s_bitcmp1_b32 s11, 0
	s_cselect_b64 s[2:3], -1, 0
	s_xor_b64 s[0:1], s[2:3], -1
	s_and_b64 vcc, exec, s[2:3]
	s_cbranch_vccnz .LBB137_2
; %bb.1:
	s_load_dword s12, s[12:13], 0x0
.LBB137_2:
	s_andn2_b64 vcc, exec, s[0:1]
	s_cbranch_vccnz .LBB137_4
; %bb.3:
	s_load_dword s8, s[8:9], 0x0
.LBB137_4:
	s_waitcnt lgkmcnt(0)
	v_cmp_neq_f32_e64 s[0:1], s12, 0
	v_cmp_neq_f32_e64 s[2:3], s8, 1.0
	s_or_b64 s[0:1], s[0:1], s[2:3]
	s_andn2_b64 vcc, exec, s[0:1]
	s_cbranch_vccnz .LBB137_14
; %bb.5:
	s_load_dwordx2 s[0:1], s[4:5], 0x8
	v_lshrrev_b32_e32 v1, 6, v0
	v_lshl_or_b32 v2, s6, 2, v1
	v_ashrrev_i32_e32 v3, 31, v2
	s_waitcnt lgkmcnt(0)
	v_cmp_gt_i64_e32 vcc, s[0:1], v[2:3]
	s_and_saveexec_b64 s[0:1], vcc
	s_cbranch_execz .LBB137_14
; %bb.6:
	s_load_dword s6, s[4:5], 0x20
	s_load_dwordx4 s[0:3], s[4:5], 0x10
	s_mov_b32 s7, 0
	s_waitcnt lgkmcnt(0)
	s_lshl_b64 s[6:7], s[6:7], 2
	s_add_u32 s2, s2, s6
	s_addc_u32 s3, s3, s7
	s_load_dword s2, s[2:3], 0x0
	v_mov_b32_e32 v1, s1
	s_load_dwordx2 s[6:7], s[4:5], 0x58
	s_waitcnt lgkmcnt(0)
	v_add_u32_e32 v2, s2, v2
	v_ashrrev_i32_e32 v3, 31, v2
	v_lshlrev_b64 v[2:3], 2, v[2:3]
	v_add_co_u32_e32 v2, vcc, s0, v2
	v_addc_co_u32_e32 v3, vcc, v1, v3, vcc
	global_load_dword v2, v[2:3], off
	s_load_dwordx2 s[0:1], s[4:5], 0x30
	s_waitcnt lgkmcnt(0)
	v_mov_b32_e32 v1, s1
	s_waitcnt vmcnt(0)
	v_ashrrev_i32_e32 v3, 31, v2
	v_lshlrev_b64 v[2:3], 2, v[2:3]
	v_add_co_u32_e32 v4, vcc, s0, v2
	v_addc_co_u32_e32 v5, vcc, v1, v3, vcc
	global_load_dwordx2 v[6:7], v[4:5], off
	v_and_b32_e32 v4, 63, v0
	v_subrev_u32_e32 v0, s10, v4
	s_waitcnt vmcnt(0)
	v_subrev_u32_e32 v5, s10, v7
	v_add_u32_e32 v0, v6, v0
	v_cmp_lt_i32_e32 vcc, v0, v5
	v_mov_b32_e32 v6, 0
	s_and_saveexec_b64 s[14:15], vcc
	s_cbranch_execz .LBB137_10
; %bb.7:
	s_load_dwordx4 s[0:3], s[4:5], 0x38
	s_load_dwordx2 s[16:17], s[4:5], 0x48
	s_mov_b64 s[4:5], 0
	v_mov_b32_e32 v6, 0
	s_waitcnt lgkmcnt(0)
	v_mov_b32_e32 v7, s3
	v_mov_b32_e32 v8, s1
	;; [unrolled: 1-line block ×3, first 2 shown]
.LBB137_8:                              ; =>This Inner Loop Header: Depth=1
	v_ashrrev_i32_e32 v1, 31, v0
	v_lshlrev_b64 v[10:11], 2, v[0:1]
	v_add_co_u32_e32 v10, vcc, s0, v10
	v_addc_co_u32_e32 v11, vcc, v8, v11, vcc
	global_load_dword v12, v[10:11], off
	v_lshlrev_b64 v[10:11], 1, v[0:1]
	v_add_co_u32_e32 v10, vcc, s2, v10
	v_addc_co_u32_e32 v11, vcc, v7, v11, vcc
	global_load_ushort v1, v[10:11], off
	v_add_u32_e32 v0, 64, v0
	s_waitcnt vmcnt(1)
	v_subrev_u32_e32 v10, s10, v12
	v_ashrrev_i32_e32 v11, 31, v10
	v_lshlrev_b64 v[10:11], 1, v[10:11]
	v_add_co_u32_e32 v10, vcc, s16, v10
	v_addc_co_u32_e32 v11, vcc, v9, v11, vcc
	global_load_ushort v10, v[10:11], off
	s_waitcnt vmcnt(1)
	v_lshlrev_b32_e32 v1, 16, v1
	v_cmp_ge_i32_e32 vcc, v0, v5
	v_mul_f32_e32 v1, s12, v1
	s_or_b64 s[4:5], vcc, s[4:5]
	s_waitcnt vmcnt(0)
	v_lshlrev_b32_e32 v10, 16, v10
	v_fmac_f32_e32 v6, v1, v10
	s_andn2_b64 exec, exec, s[4:5]
	s_cbranch_execnz .LBB137_8
; %bb.9:
	s_or_b64 exec, exec, s[4:5]
.LBB137_10:
	s_or_b64 exec, exec, s[14:15]
	v_mov_b32_dpp v0, v6 row_shr:1 row_mask:0xf bank_mask:0xf
	v_add_f32_e32 v0, v6, v0
	v_cmp_eq_u32_e32 vcc, 63, v4
	s_nop 0
	v_mov_b32_dpp v1, v0 row_shr:2 row_mask:0xf bank_mask:0xf
	v_add_f32_e32 v0, v0, v1
	s_nop 1
	v_mov_b32_dpp v1, v0 row_shr:4 row_mask:0xf bank_mask:0xe
	v_add_f32_e32 v0, v0, v1
	;; [unrolled: 3-line block ×3, first 2 shown]
	s_nop 1
	v_mov_b32_dpp v1, v0 row_bcast:15 row_mask:0xa bank_mask:0xf
	v_add_f32_e32 v0, v0, v1
	s_nop 1
	v_mov_b32_dpp v1, v0 row_bcast:31 row_mask:0xc bank_mask:0xf
	s_and_b64 exec, exec, vcc
	s_cbranch_execz .LBB137_14
; %bb.11:
	v_cmp_eq_f32_e64 s[0:1], s8, 0
	v_add_f32_e32 v0, v0, v1
	s_and_b64 vcc, exec, s[0:1]
	s_cbranch_vccnz .LBB137_13
; %bb.12:
	v_mov_b32_e32 v1, s7
	v_add_co_u32_e32 v4, vcc, s6, v2
	v_addc_co_u32_e32 v5, vcc, v1, v3, vcc
	global_load_dword v1, v[4:5], off
	s_waitcnt vmcnt(0)
	v_fmac_f32_e32 v0, s8, v1
.LBB137_13:
	v_mov_b32_e32 v1, s7
	v_add_co_u32_e32 v2, vcc, s6, v2
	v_addc_co_u32_e32 v3, vcc, v1, v3, vcc
	global_store_dword v[2:3], v0, off
.LBB137_14:
	s_endpgm
	.section	.rodata,"a",@progbits
	.p2align	6, 0x0
	.amdhsa_kernel _ZN9rocsparseL41csrmvn_lrb_medium_rows_warp_reduce_kernelILj256ELj64Eii18rocsparse_bfloat16S1_ffEEvbT1_lPT2_S4_jNS_24const_host_device_scalarIT6_EEPKS2_PKS3_PKT3_PKT4_S7_PT5_21rocsparse_index_base_b
		.amdhsa_group_segment_fixed_size 0
		.amdhsa_private_segment_fixed_size 0
		.amdhsa_kernarg_size 104
		.amdhsa_user_sgpr_count 6
		.amdhsa_user_sgpr_private_segment_buffer 1
		.amdhsa_user_sgpr_dispatch_ptr 0
		.amdhsa_user_sgpr_queue_ptr 0
		.amdhsa_user_sgpr_kernarg_segment_ptr 1
		.amdhsa_user_sgpr_dispatch_id 0
		.amdhsa_user_sgpr_flat_scratch_init 0
		.amdhsa_user_sgpr_kernarg_preload_length 0
		.amdhsa_user_sgpr_kernarg_preload_offset 0
		.amdhsa_user_sgpr_private_segment_size 0
		.amdhsa_uses_dynamic_stack 0
		.amdhsa_system_sgpr_private_segment_wavefront_offset 0
		.amdhsa_system_sgpr_workgroup_id_x 1
		.amdhsa_system_sgpr_workgroup_id_y 0
		.amdhsa_system_sgpr_workgroup_id_z 0
		.amdhsa_system_sgpr_workgroup_info 0
		.amdhsa_system_vgpr_workitem_id 0
		.amdhsa_next_free_vgpr 13
		.amdhsa_next_free_sgpr 18
		.amdhsa_accum_offset 16
		.amdhsa_reserve_vcc 1
		.amdhsa_reserve_flat_scratch 0
		.amdhsa_float_round_mode_32 0
		.amdhsa_float_round_mode_16_64 0
		.amdhsa_float_denorm_mode_32 3
		.amdhsa_float_denorm_mode_16_64 3
		.amdhsa_dx10_clamp 1
		.amdhsa_ieee_mode 1
		.amdhsa_fp16_overflow 0
		.amdhsa_tg_split 0
		.amdhsa_exception_fp_ieee_invalid_op 0
		.amdhsa_exception_fp_denorm_src 0
		.amdhsa_exception_fp_ieee_div_zero 0
		.amdhsa_exception_fp_ieee_overflow 0
		.amdhsa_exception_fp_ieee_underflow 0
		.amdhsa_exception_fp_ieee_inexact 0
		.amdhsa_exception_int_div_zero 0
	.end_amdhsa_kernel
	.section	.text._ZN9rocsparseL41csrmvn_lrb_medium_rows_warp_reduce_kernelILj256ELj64Eii18rocsparse_bfloat16S1_ffEEvbT1_lPT2_S4_jNS_24const_host_device_scalarIT6_EEPKS2_PKS3_PKT3_PKT4_S7_PT5_21rocsparse_index_base_b,"axG",@progbits,_ZN9rocsparseL41csrmvn_lrb_medium_rows_warp_reduce_kernelILj256ELj64Eii18rocsparse_bfloat16S1_ffEEvbT1_lPT2_S4_jNS_24const_host_device_scalarIT6_EEPKS2_PKS3_PKT3_PKT4_S7_PT5_21rocsparse_index_base_b,comdat
.Lfunc_end137:
	.size	_ZN9rocsparseL41csrmvn_lrb_medium_rows_warp_reduce_kernelILj256ELj64Eii18rocsparse_bfloat16S1_ffEEvbT1_lPT2_S4_jNS_24const_host_device_scalarIT6_EEPKS2_PKS3_PKT3_PKT4_S7_PT5_21rocsparse_index_base_b, .Lfunc_end137-_ZN9rocsparseL41csrmvn_lrb_medium_rows_warp_reduce_kernelILj256ELj64Eii18rocsparse_bfloat16S1_ffEEvbT1_lPT2_S4_jNS_24const_host_device_scalarIT6_EEPKS2_PKS3_PKT3_PKT4_S7_PT5_21rocsparse_index_base_b
                                        ; -- End function
	.section	.AMDGPU.csdata,"",@progbits
; Kernel info:
; codeLenInByte = 672
; NumSgprs: 22
; NumVgprs: 13
; NumAgprs: 0
; TotalNumVgprs: 13
; ScratchSize: 0
; MemoryBound: 0
; FloatMode: 240
; IeeeMode: 1
; LDSByteSize: 0 bytes/workgroup (compile time only)
; SGPRBlocks: 2
; VGPRBlocks: 1
; NumSGPRsForWavesPerEU: 22
; NumVGPRsForWavesPerEU: 13
; AccumOffset: 16
; Occupancy: 8
; WaveLimiterHint : 1
; COMPUTE_PGM_RSRC2:SCRATCH_EN: 0
; COMPUTE_PGM_RSRC2:USER_SGPR: 6
; COMPUTE_PGM_RSRC2:TRAP_HANDLER: 0
; COMPUTE_PGM_RSRC2:TGID_X_EN: 1
; COMPUTE_PGM_RSRC2:TGID_Y_EN: 0
; COMPUTE_PGM_RSRC2:TGID_Z_EN: 0
; COMPUTE_PGM_RSRC2:TIDIG_COMP_CNT: 0
; COMPUTE_PGM_RSRC3_GFX90A:ACCUM_OFFSET: 3
; COMPUTE_PGM_RSRC3_GFX90A:TG_SPLIT: 0
	.section	.text._ZN9rocsparseL29csrmvn_lrb_medium_rows_kernelILj256Eii18rocsparse_bfloat16S1_ffEEvbT0_PT1_S4_jNS_24const_host_device_scalarIT5_EEPKS2_PKS3_PKT2_PKT3_S7_PT4_21rocsparse_index_base_b,"axG",@progbits,_ZN9rocsparseL29csrmvn_lrb_medium_rows_kernelILj256Eii18rocsparse_bfloat16S1_ffEEvbT0_PT1_S4_jNS_24const_host_device_scalarIT5_EEPKS2_PKS3_PKT2_PKT3_S7_PT4_21rocsparse_index_base_b,comdat
	.globl	_ZN9rocsparseL29csrmvn_lrb_medium_rows_kernelILj256Eii18rocsparse_bfloat16S1_ffEEvbT0_PT1_S4_jNS_24const_host_device_scalarIT5_EEPKS2_PKS3_PKT2_PKT3_S7_PT4_21rocsparse_index_base_b ; -- Begin function _ZN9rocsparseL29csrmvn_lrb_medium_rows_kernelILj256Eii18rocsparse_bfloat16S1_ffEEvbT0_PT1_S4_jNS_24const_host_device_scalarIT5_EEPKS2_PKS3_PKT2_PKT3_S7_PT4_21rocsparse_index_base_b
	.p2align	8
	.type	_ZN9rocsparseL29csrmvn_lrb_medium_rows_kernelILj256Eii18rocsparse_bfloat16S1_ffEEvbT0_PT1_S4_jNS_24const_host_device_scalarIT5_EEPKS2_PKS3_PKT2_PKT3_S7_PT4_21rocsparse_index_base_b,@function
_ZN9rocsparseL29csrmvn_lrb_medium_rows_kernelILj256Eii18rocsparse_bfloat16S1_ffEEvbT0_PT1_S4_jNS_24const_host_device_scalarIT5_EEPKS2_PKS3_PKT2_PKT3_S7_PT4_21rocsparse_index_base_b: ; @_ZN9rocsparseL29csrmvn_lrb_medium_rows_kernelILj256Eii18rocsparse_bfloat16S1_ffEEvbT0_PT1_S4_jNS_24const_host_device_scalarIT5_EEPKS2_PKS3_PKT2_PKT3_S7_PT4_21rocsparse_index_base_b
; %bb.0:
	s_load_dwordx2 s[12:13], s[4:5], 0x58
	s_load_dwordx2 s[14:15], s[4:5], 0x20
	;; [unrolled: 1-line block ×3, first 2 shown]
	s_waitcnt lgkmcnt(0)
	s_bitcmp1_b32 s13, 0
	s_cselect_b64 s[2:3], -1, 0
	s_xor_b64 s[0:1], s[2:3], -1
	s_and_b64 vcc, exec, s[2:3]
	s_cbranch_vccnz .LBB138_2
; %bb.1:
	s_load_dword s14, s[14:15], 0x0
.LBB138_2:
	s_andn2_b64 vcc, exec, s[0:1]
	s_cbranch_vccnz .LBB138_4
; %bb.3:
	s_load_dword s8, s[8:9], 0x0
.LBB138_4:
	s_waitcnt lgkmcnt(0)
	v_cmp_neq_f32_e64 s[0:1], s14, 0
	v_cmp_neq_f32_e64 s[2:3], s8, 1.0
	s_or_b64 s[0:1], s[0:1], s[2:3]
	s_andn2_b64 vcc, exec, s[0:1]
	s_mov_b32 s1, 0
	s_cbranch_vccnz .LBB138_29
; %bb.5:
	s_load_dword s0, s[4:5], 0x18
	s_load_dwordx4 s[16:19], s[4:5], 0x8
	v_subrev_u32_e32 v1, s12, v0
	v_mov_b32_e32 v4, 0
	s_waitcnt lgkmcnt(0)
	s_lshl_b64 s[0:1], s[0:1], 2
	s_add_u32 s0, s18, s0
	s_addc_u32 s1, s19, s1
	s_load_dword s0, s[0:1], 0x0
	s_waitcnt lgkmcnt(0)
	s_add_i32 s0, s0, s6
	s_ashr_i32 s1, s0, 31
	s_lshl_b64 s[0:1], s[0:1], 2
	s_add_u32 s0, s16, s0
	s_addc_u32 s1, s17, s1
	s_load_dword s2, s[0:1], 0x0
	s_load_dwordx2 s[10:11], s[4:5], 0x28
	s_waitcnt lgkmcnt(0)
	s_ashr_i32 s3, s2, 31
	s_lshl_b64 s[6:7], s[2:3], 2
	s_add_u32 s0, s10, s6
	s_addc_u32 s1, s11, s7
	s_load_dwordx2 s[2:3], s[0:1], 0x0
	s_load_dwordx2 s[10:11], s[4:5], 0x50
	s_waitcnt lgkmcnt(0)
	s_sub_i32 s9, s3, s12
	v_add_u32_e32 v2, s2, v1
	v_cmp_gt_i32_e32 vcc, s9, v2
	s_and_saveexec_b64 s[16:17], vcc
	s_cbranch_execz .LBB138_9
; %bb.6:
	s_load_dwordx4 s[0:3], s[4:5], 0x30
	s_load_dwordx2 s[18:19], s[4:5], 0x40
	s_mov_b64 s[4:5], 0
	v_mov_b32_e32 v4, 0
	s_waitcnt lgkmcnt(0)
	v_mov_b32_e32 v1, s3
	v_mov_b32_e32 v5, s1
	;; [unrolled: 1-line block ×3, first 2 shown]
.LBB138_7:                              ; =>This Inner Loop Header: Depth=1
	v_ashrrev_i32_e32 v3, 31, v2
	v_lshlrev_b64 v[8:9], 2, v[2:3]
	v_add_co_u32_e32 v8, vcc, s0, v8
	v_addc_co_u32_e32 v9, vcc, v5, v9, vcc
	global_load_dword v7, v[8:9], off
	v_lshlrev_b64 v[8:9], 1, v[2:3]
	v_add_co_u32_e32 v8, vcc, s2, v8
	v_addc_co_u32_e32 v9, vcc, v1, v9, vcc
	global_load_ushort v3, v[8:9], off
	v_add_u32_e32 v2, 0x100, v2
	s_waitcnt vmcnt(1)
	v_subrev_u32_e32 v8, s12, v7
	v_ashrrev_i32_e32 v9, 31, v8
	v_lshlrev_b64 v[8:9], 1, v[8:9]
	v_add_co_u32_e32 v8, vcc, s18, v8
	v_addc_co_u32_e32 v9, vcc, v6, v9, vcc
	global_load_ushort v7, v[8:9], off
	s_waitcnt vmcnt(1)
	v_lshlrev_b32_e32 v3, 16, v3
	v_cmp_le_i32_e32 vcc, s9, v2
	v_mul_f32_e32 v3, s14, v3
	s_or_b64 s[4:5], vcc, s[4:5]
	s_waitcnt vmcnt(0)
	v_lshlrev_b32_e32 v7, 16, v7
	v_fmac_f32_e32 v4, v3, v7
	s_andn2_b64 exec, exec, s[4:5]
	s_cbranch_execnz .LBB138_7
; %bb.8:
	s_or_b64 exec, exec, s[4:5]
.LBB138_9:
	s_or_b64 exec, exec, s[16:17]
	s_movk_i32 s0, 0x80
	v_lshlrev_b32_e32 v1, 2, v0
	v_cmp_gt_u32_e32 vcc, s0, v0
	ds_write_b32 v1, v4
	s_waitcnt lgkmcnt(0)
	s_barrier
	s_and_saveexec_b64 s[0:1], vcc
	s_cbranch_execz .LBB138_11
; %bb.10:
	ds_read2st64_b32 v[2:3], v1 offset1:2
	s_waitcnt lgkmcnt(0)
	v_add_f32_e32 v2, v2, v3
	ds_write_b32 v1, v2
.LBB138_11:
	s_or_b64 exec, exec, s[0:1]
	v_cmp_gt_u32_e32 vcc, 64, v0
	s_waitcnt lgkmcnt(0)
	s_barrier
	s_and_saveexec_b64 s[0:1], vcc
	s_cbranch_execz .LBB138_13
; %bb.12:
	ds_read2st64_b32 v[2:3], v1 offset1:1
	s_waitcnt lgkmcnt(0)
	v_add_f32_e32 v2, v2, v3
	ds_write_b32 v1, v2
.LBB138_13:
	s_or_b64 exec, exec, s[0:1]
	v_cmp_gt_u32_e32 vcc, 32, v0
	s_waitcnt lgkmcnt(0)
	s_barrier
	s_and_saveexec_b64 s[0:1], vcc
	s_cbranch_execz .LBB138_15
; %bb.14:
	ds_read2_b32 v[2:3], v1 offset1:32
	s_waitcnt lgkmcnt(0)
	v_add_f32_e32 v2, v2, v3
	ds_write_b32 v1, v2
.LBB138_15:
	s_or_b64 exec, exec, s[0:1]
	v_cmp_gt_u32_e32 vcc, 16, v0
	s_waitcnt lgkmcnt(0)
	s_barrier
	s_and_saveexec_b64 s[0:1], vcc
	s_cbranch_execz .LBB138_17
; %bb.16:
	ds_read2_b32 v[2:3], v1 offset1:16
	s_waitcnt lgkmcnt(0)
	v_add_f32_e32 v2, v2, v3
	ds_write_b32 v1, v2
.LBB138_17:
	;; [unrolled: 12-line block ×5, first 2 shown]
	s_or_b64 exec, exec, s[0:1]
	v_cmp_eq_u32_e32 vcc, 0, v0
	s_waitcnt lgkmcnt(0)
	s_barrier
	s_and_saveexec_b64 s[0:1], vcc
	s_cbranch_execz .LBB138_25
; %bb.24:
	v_mov_b32_e32 v2, 0
	ds_read_b64 v[0:1], v2
	s_waitcnt lgkmcnt(0)
	v_add_f32_e32 v0, v0, v1
	ds_write_b32 v2, v0
.LBB138_25:
	s_or_b64 exec, exec, s[0:1]
	s_waitcnt lgkmcnt(0)
	s_barrier
	s_and_saveexec_b64 s[0:1], vcc
	s_cbranch_execz .LBB138_29
; %bb.26:
	v_mov_b32_e32 v0, 0
	ds_read_b32 v1, v0
	v_cmp_eq_f32_e64 s[0:1], s8, 0
	s_and_b64 vcc, exec, s[0:1]
	s_cbranch_vccnz .LBB138_28
; %bb.27:
	s_add_u32 s0, s10, s6
	s_addc_u32 s1, s11, s7
	s_load_dword s0, s[0:1], 0x0
	s_waitcnt lgkmcnt(0)
	v_mov_b32_e32 v2, s0
	v_fmac_f32_e32 v1, s8, v2
.LBB138_28:
	s_add_u32 s0, s10, s6
	s_addc_u32 s1, s11, s7
	s_waitcnt lgkmcnt(0)
	global_store_dword v0, v1, s[0:1]
.LBB138_29:
	s_endpgm
	.section	.rodata,"a",@progbits
	.p2align	6, 0x0
	.amdhsa_kernel _ZN9rocsparseL29csrmvn_lrb_medium_rows_kernelILj256Eii18rocsparse_bfloat16S1_ffEEvbT0_PT1_S4_jNS_24const_host_device_scalarIT5_EEPKS2_PKS3_PKT2_PKT3_S7_PT4_21rocsparse_index_base_b
		.amdhsa_group_segment_fixed_size 1024
		.amdhsa_private_segment_fixed_size 0
		.amdhsa_kernarg_size 96
		.amdhsa_user_sgpr_count 6
		.amdhsa_user_sgpr_private_segment_buffer 1
		.amdhsa_user_sgpr_dispatch_ptr 0
		.amdhsa_user_sgpr_queue_ptr 0
		.amdhsa_user_sgpr_kernarg_segment_ptr 1
		.amdhsa_user_sgpr_dispatch_id 0
		.amdhsa_user_sgpr_flat_scratch_init 0
		.amdhsa_user_sgpr_kernarg_preload_length 0
		.amdhsa_user_sgpr_kernarg_preload_offset 0
		.amdhsa_user_sgpr_private_segment_size 0
		.amdhsa_uses_dynamic_stack 0
		.amdhsa_system_sgpr_private_segment_wavefront_offset 0
		.amdhsa_system_sgpr_workgroup_id_x 1
		.amdhsa_system_sgpr_workgroup_id_y 0
		.amdhsa_system_sgpr_workgroup_id_z 0
		.amdhsa_system_sgpr_workgroup_info 0
		.amdhsa_system_vgpr_workitem_id 0
		.amdhsa_next_free_vgpr 10
		.amdhsa_next_free_sgpr 20
		.amdhsa_accum_offset 12
		.amdhsa_reserve_vcc 1
		.amdhsa_reserve_flat_scratch 0
		.amdhsa_float_round_mode_32 0
		.amdhsa_float_round_mode_16_64 0
		.amdhsa_float_denorm_mode_32 3
		.amdhsa_float_denorm_mode_16_64 3
		.amdhsa_dx10_clamp 1
		.amdhsa_ieee_mode 1
		.amdhsa_fp16_overflow 0
		.amdhsa_tg_split 0
		.amdhsa_exception_fp_ieee_invalid_op 0
		.amdhsa_exception_fp_denorm_src 0
		.amdhsa_exception_fp_ieee_div_zero 0
		.amdhsa_exception_fp_ieee_overflow 0
		.amdhsa_exception_fp_ieee_underflow 0
		.amdhsa_exception_fp_ieee_inexact 0
		.amdhsa_exception_int_div_zero 0
	.end_amdhsa_kernel
	.section	.text._ZN9rocsparseL29csrmvn_lrb_medium_rows_kernelILj256Eii18rocsparse_bfloat16S1_ffEEvbT0_PT1_S4_jNS_24const_host_device_scalarIT5_EEPKS2_PKS3_PKT2_PKT3_S7_PT4_21rocsparse_index_base_b,"axG",@progbits,_ZN9rocsparseL29csrmvn_lrb_medium_rows_kernelILj256Eii18rocsparse_bfloat16S1_ffEEvbT0_PT1_S4_jNS_24const_host_device_scalarIT5_EEPKS2_PKS3_PKT2_PKT3_S7_PT4_21rocsparse_index_base_b,comdat
.Lfunc_end138:
	.size	_ZN9rocsparseL29csrmvn_lrb_medium_rows_kernelILj256Eii18rocsparse_bfloat16S1_ffEEvbT0_PT1_S4_jNS_24const_host_device_scalarIT5_EEPKS2_PKS3_PKT2_PKT3_S7_PT4_21rocsparse_index_base_b, .Lfunc_end138-_ZN9rocsparseL29csrmvn_lrb_medium_rows_kernelILj256Eii18rocsparse_bfloat16S1_ffEEvbT0_PT1_S4_jNS_24const_host_device_scalarIT5_EEPKS2_PKS3_PKT2_PKT3_S7_PT4_21rocsparse_index_base_b
                                        ; -- End function
	.section	.AMDGPU.csdata,"",@progbits
; Kernel info:
; codeLenInByte = 940
; NumSgprs: 24
; NumVgprs: 10
; NumAgprs: 0
; TotalNumVgprs: 10
; ScratchSize: 0
; MemoryBound: 0
; FloatMode: 240
; IeeeMode: 1
; LDSByteSize: 1024 bytes/workgroup (compile time only)
; SGPRBlocks: 2
; VGPRBlocks: 1
; NumSGPRsForWavesPerEU: 24
; NumVGPRsForWavesPerEU: 10
; AccumOffset: 12
; Occupancy: 8
; WaveLimiterHint : 1
; COMPUTE_PGM_RSRC2:SCRATCH_EN: 0
; COMPUTE_PGM_RSRC2:USER_SGPR: 6
; COMPUTE_PGM_RSRC2:TRAP_HANDLER: 0
; COMPUTE_PGM_RSRC2:TGID_X_EN: 1
; COMPUTE_PGM_RSRC2:TGID_Y_EN: 0
; COMPUTE_PGM_RSRC2:TGID_Z_EN: 0
; COMPUTE_PGM_RSRC2:TIDIG_COMP_CNT: 0
; COMPUTE_PGM_RSRC3_GFX90A:ACCUM_OFFSET: 2
; COMPUTE_PGM_RSRC3_GFX90A:TG_SPLIT: 0
	.section	.text._ZN9rocsparseL27csrmvn_lrb_long_rows_kernelIii18rocsparse_bfloat16S1_ffEEvbT_PjPT0_S5_jNS_24const_host_device_scalarIT4_EEPKS2_PKS4_PKT1_PKT2_S8_PT3_21rocsparse_index_base_b,"axG",@progbits,_ZN9rocsparseL27csrmvn_lrb_long_rows_kernelIii18rocsparse_bfloat16S1_ffEEvbT_PjPT0_S5_jNS_24const_host_device_scalarIT4_EEPKS2_PKS4_PKT1_PKT2_S8_PT3_21rocsparse_index_base_b,comdat
	.globl	_ZN9rocsparseL27csrmvn_lrb_long_rows_kernelIii18rocsparse_bfloat16S1_ffEEvbT_PjPT0_S5_jNS_24const_host_device_scalarIT4_EEPKS2_PKS4_PKT1_PKT2_S8_PT3_21rocsparse_index_base_b ; -- Begin function _ZN9rocsparseL27csrmvn_lrb_long_rows_kernelIii18rocsparse_bfloat16S1_ffEEvbT_PjPT0_S5_jNS_24const_host_device_scalarIT4_EEPKS2_PKS4_PKT1_PKT2_S8_PT3_21rocsparse_index_base_b
	.p2align	8
	.type	_ZN9rocsparseL27csrmvn_lrb_long_rows_kernelIii18rocsparse_bfloat16S1_ffEEvbT_PjPT0_S5_jNS_24const_host_device_scalarIT4_EEPKS2_PKS4_PKT1_PKT2_S8_PT3_21rocsparse_index_base_b,@function
_ZN9rocsparseL27csrmvn_lrb_long_rows_kernelIii18rocsparse_bfloat16S1_ffEEvbT_PjPT0_S5_jNS_24const_host_device_scalarIT4_EEPKS2_PKS4_PKT1_PKT2_S8_PT3_21rocsparse_index_base_b: ; @_ZN9rocsparseL27csrmvn_lrb_long_rows_kernelIii18rocsparse_bfloat16S1_ffEEvbT_PjPT0_S5_jNS_24const_host_device_scalarIT4_EEPKS2_PKS4_PKT1_PKT2_S8_PT3_21rocsparse_index_base_b
; %bb.0:
	s_load_dwordx2 s[16:17], s[4:5], 0x60
	s_load_dwordx2 s[18:19], s[4:5], 0x28
	;; [unrolled: 1-line block ×3, first 2 shown]
	s_waitcnt lgkmcnt(0)
	s_bitcmp1_b32 s17, 0
	s_cselect_b64 s[2:3], -1, 0
	s_xor_b64 s[0:1], s[2:3], -1
	s_and_b64 vcc, exec, s[2:3]
	s_cbranch_vccnz .LBB139_2
; %bb.1:
	s_load_dword s18, s[18:19], 0x0
.LBB139_2:
	s_andn2_b64 vcc, exec, s[0:1]
	s_cbranch_vccnz .LBB139_4
; %bb.3:
	s_load_dword s8, s[8:9], 0x0
.LBB139_4:
	s_waitcnt lgkmcnt(0)
	v_cmp_neq_f32_e64 s[0:1], s18, 0
	v_cmp_neq_f32_e64 s[2:3], s8, 1.0
	s_or_b64 s[0:1], s[0:1], s[2:3]
	s_andn2_b64 vcc, exec, s[0:1]
	s_mov_b32 s1, 0
	s_cbranch_vccnz .LBB139_39
; %bb.5:
	s_load_dword s0, s[4:5], 0x20
	s_load_dwordx2 s[2:3], s[4:5], 0x18
	s_waitcnt lgkmcnt(0)
	s_lshl_b64 s[10:11], s[0:1], 2
	s_add_u32 s10, s2, s10
	s_addc_u32 s11, s3, s11
	s_lshl_b32 s0, -1, s0
	s_not_b32 s0, s0
	s_mul_hi_u32 s0, s0, 0x2aaaaaab
	s_lshr_b32 s7, s0, 7
	s_add_i32 s9, s7, 1
	v_cvt_f32_u32_e32 v1, s9
	s_load_dwordx4 s[0:3], s[4:5], 0x8
	s_load_dword s12, s[10:11], 0x0
	s_not_b32 s7, s7
	v_rcp_iflag_f32_e32 v1, v1
	v_mul_f32_e32 v1, 0x4f7ffffe, v1
	v_cvt_u32_f32_e32 v1, v1
	v_readfirstlane_b32 s10, v1
	s_mul_i32 s7, s7, s10
	s_mul_hi_u32 s7, s10, s7
	s_add_i32 s10, s10, s7
	s_mul_hi_u32 s7, s6, s10
	s_mul_i32 s10, s7, s9
	s_sub_i32 s10, s6, s10
	s_add_i32 s11, s7, 1
	s_sub_i32 s13, s10, s9
	s_cmp_ge_u32 s10, s9
	s_cselect_b32 s7, s11, s7
	s_cselect_b32 s10, s13, s10
	s_add_i32 s11, s7, 1
	s_cmp_ge_u32 s10, s9
	s_cselect_b32 s7, s11, s7
	s_waitcnt lgkmcnt(0)
	s_add_i32 s10, s7, s12
	s_mul_i32 s14, s7, s9
	s_ashr_i32 s11, s10, 31
	s_sub_i32 s19, s6, s14
	s_lshl_b64 s[10:11], s[10:11], 2
	s_add_u32 s10, s2, s10
	s_addc_u32 s11, s3, s11
	s_load_dword s12, s[10:11], 0x0
	s_load_dwordx2 s[20:21], s[4:5], 0x30
	s_load_dwordx2 s[2:3], s[4:5], 0x58
	v_or_b32_e32 v1, s19, v0
	v_cmp_eq_u32_e32 vcc, 0, v1
	s_waitcnt lgkmcnt(0)
	s_ashr_i32 s13, s12, 31
	s_lshl_b64 s[12:13], s[12:13], 2
	s_add_u32 s10, s20, s12
	s_addc_u32 s11, s21, s13
	s_ashr_i32 s7, s6, 31
	s_lshl_b64 s[6:7], s[6:7], 2
	s_add_u32 s6, s0, s6
	s_addc_u32 s7, s1, s7
	s_load_dwordx2 s[10:11], s[10:11], 0x0
	v_mov_b32_e32 v1, 0
	s_load_dword s17, s[6:7], 0x0
	s_and_saveexec_b64 s[20:21], vcc
	s_cbranch_execz .LBB139_9
; %bb.6:
	s_add_u32 s24, s2, s12
	s_addc_u32 s25, s3, s13
	s_load_dword s24, s[24:25], 0x0
	s_mov_b64 s[22:23], exec
	v_mbcnt_lo_u32_b32 v2, s22, 0
	v_mbcnt_hi_u32_b32 v2, s23, v2
	v_add_f32_e64 v1, s8, -1.0
	v_cmp_eq_u32_e32 vcc, 0, v2
	s_waitcnt vmcnt(0) expcnt(0) lgkmcnt(0)
	s_and_saveexec_b64 s[8:9], vcc
	s_cbranch_execz .LBB139_8
; %bb.7:
	s_ashr_i32 s15, s14, 31
	s_lshl_b64 s[26:27], s[14:15], 2
	s_add_u32 s26, s0, s26
	s_addc_u32 s27, s1, s27
	s_bcnt1_i32_b64 s15, s[22:23]
	s_and_b32 s15, s15, 1
	v_mov_b32_e32 v2, 0
	v_mov_b32_e32 v3, s15
	global_atomic_xor v2, v3, s[26:27]
.LBB139_8:
	s_or_b64 exec, exec, s[8:9]
	v_mul_f32_e32 v1, s24, v1
.LBB139_9:
	s_or_b64 exec, exec, s[20:21]
	s_mul_i32 s8, s19, 0x300
	s_sub_i32 s8, s8, s16
	s_waitcnt lgkmcnt(0)
	s_add_i32 s8, s8, s10
	s_sub_i32 s9, s11, s16
	s_add_i32 s10, s8, 0x300
	s_min_i32 s15, s10, s9
	v_add_u32_e32 v2, s8, v0
	v_cmp_gt_i32_e32 vcc, s15, v2
	s_and_saveexec_b64 s[20:21], vcc
	s_cbranch_execz .LBB139_13
; %bb.10:
	s_load_dwordx4 s[8:11], s[4:5], 0x38
	s_load_dwordx2 s[22:23], s[4:5], 0x48
	s_mov_b64 s[4:5], 0
	s_waitcnt lgkmcnt(0)
	v_mov_b32_e32 v4, s11
	v_mov_b32_e32 v5, s9
	;; [unrolled: 1-line block ×3, first 2 shown]
.LBB139_11:                             ; =>This Inner Loop Header: Depth=1
	v_ashrrev_i32_e32 v3, 31, v2
	v_lshlrev_b64 v[8:9], 2, v[2:3]
	v_add_co_u32_e32 v8, vcc, s8, v8
	v_addc_co_u32_e32 v9, vcc, v5, v9, vcc
	global_load_dword v7, v[8:9], off
	v_lshlrev_b64 v[8:9], 1, v[2:3]
	v_add_co_u32_e32 v8, vcc, s10, v8
	v_addc_co_u32_e32 v9, vcc, v4, v9, vcc
	global_load_ushort v3, v[8:9], off
	v_add_u32_e32 v2, 0x100, v2
	s_waitcnt vmcnt(1)
	v_subrev_u32_e32 v8, s16, v7
	v_ashrrev_i32_e32 v9, 31, v8
	v_lshlrev_b64 v[8:9], 1, v[8:9]
	v_add_co_u32_e32 v8, vcc, s22, v8
	v_addc_co_u32_e32 v9, vcc, v6, v9, vcc
	global_load_ushort v7, v[8:9], off
	s_waitcnt vmcnt(1)
	v_lshlrev_b32_e32 v3, 16, v3
	v_cmp_le_i32_e32 vcc, s15, v2
	v_mul_f32_e32 v3, s18, v3
	s_or_b64 s[4:5], vcc, s[4:5]
	s_waitcnt vmcnt(0)
	v_lshlrev_b32_e32 v7, 16, v7
	v_fmac_f32_e32 v1, v3, v7
	s_andn2_b64 exec, exec, s[4:5]
	s_cbranch_execnz .LBB139_11
; %bb.12:
	s_or_b64 exec, exec, s[4:5]
.LBB139_13:
	s_or_b64 exec, exec, s[20:21]
	s_movk_i32 s4, 0x80
	v_lshlrev_b32_e32 v2, 2, v0
	v_cmp_gt_u32_e32 vcc, s4, v0
	ds_write_b32 v2, v1
	s_waitcnt lgkmcnt(0)
	s_barrier
	s_and_saveexec_b64 s[4:5], vcc
	s_cbranch_execz .LBB139_15
; %bb.14:
	ds_read2st64_b32 v[4:5], v2 offset1:2
	s_waitcnt lgkmcnt(0)
	v_add_f32_e32 v1, v4, v5
	ds_write_b32 v2, v1
.LBB139_15:
	s_or_b64 exec, exec, s[4:5]
	v_cmp_gt_u32_e32 vcc, 64, v0
	s_waitcnt lgkmcnt(0)
	s_barrier
	s_and_saveexec_b64 s[4:5], vcc
	s_cbranch_execz .LBB139_17
; %bb.16:
	ds_read2st64_b32 v[4:5], v2 offset1:1
	s_waitcnt lgkmcnt(0)
	v_add_f32_e32 v1, v4, v5
	ds_write_b32 v2, v1
.LBB139_17:
	s_or_b64 exec, exec, s[4:5]
	v_cmp_gt_u32_e32 vcc, 32, v0
	s_waitcnt lgkmcnt(0)
	s_barrier
	s_and_saveexec_b64 s[4:5], vcc
	s_cbranch_execz .LBB139_19
; %bb.18:
	ds_read2_b32 v[4:5], v2 offset1:32
	s_waitcnt lgkmcnt(0)
	v_add_f32_e32 v1, v4, v5
	ds_write_b32 v2, v1
.LBB139_19:
	s_or_b64 exec, exec, s[4:5]
	v_cmp_gt_u32_e32 vcc, 16, v0
	s_waitcnt lgkmcnt(0)
	s_barrier
	s_and_saveexec_b64 s[4:5], vcc
	s_cbranch_execz .LBB139_21
; %bb.20:
	ds_read2_b32 v[4:5], v2 offset1:16
	s_waitcnt lgkmcnt(0)
	v_add_f32_e32 v1, v4, v5
	ds_write_b32 v2, v1
.LBB139_21:
	;; [unrolled: 12-line block ×5, first 2 shown]
	s_or_b64 exec, exec, s[4:5]
	v_cmp_eq_u32_e32 vcc, 0, v0
	s_waitcnt lgkmcnt(0)
	s_barrier
	s_and_saveexec_b64 s[4:5], vcc
	s_cbranch_execz .LBB139_29
; %bb.28:
	v_mov_b32_e32 v2, 0
	ds_read_b64 v[0:1], v2
	s_waitcnt lgkmcnt(0)
	v_add_f32_e32 v0, v0, v1
	ds_write_b32 v2, v0
.LBB139_29:
	s_or_b64 exec, exec, s[4:5]
	s_waitcnt lgkmcnt(0)
	s_barrier
	s_and_saveexec_b64 s[4:5], vcc
	s_cbranch_execz .LBB139_39
; %bb.30:
	s_cmp_eq_u32 s19, 0
	s_cbranch_scc1 .LBB139_36
; %bb.31:
	s_ashr_i32 s15, s14, 31
	s_lshl_b64 s[4:5], s[14:15], 2
	s_add_u32 s0, s0, s4
	s_addc_u32 s1, s1, s5
	v_mov_b32_e32 v0, 0
	s_branch .LBB139_33
.LBB139_32:                             ;   in Loop: Header=BB139_33 Depth=1
	s_or_b64 exec, exec, s[4:5]
	s_waitcnt vmcnt(0)
	v_readfirstlane_b32 s4, v1
	s_cmp_eq_u32 s4, s17
	s_cbranch_scc0 .LBB139_35
.LBB139_33:                             ; =>This Inner Loop Header: Depth=1
	v_mbcnt_lo_u32_b32 v1, exec_lo, 0
	v_mbcnt_hi_u32_b32 v1, exec_hi, v1
	v_cmp_eq_u32_e32 vcc, 0, v1
                                        ; implicit-def: $vgpr1
	s_and_saveexec_b64 s[4:5], vcc
	s_cbranch_execz .LBB139_32
; %bb.34:                               ;   in Loop: Header=BB139_33 Depth=1
	global_load_dword v1, v0, s[0:1] glc
	s_branch .LBB139_32
.LBB139_35:
	v_mov_b32_e32 v0, 0
	global_load_dword v1, v0, s[6:7]
	s_waitcnt vmcnt(0)
	v_xor_b32_e32 v1, 1, v1
	global_store_dword v0, v1, s[6:7]
.LBB139_36:
	s_mov_b64 s[4:5], exec
	v_mbcnt_lo_u32_b32 v0, s4, 0
	v_mbcnt_hi_u32_b32 v0, s5, v0
	v_cmp_eq_u32_e32 vcc, 0, v0
	s_and_b64 s[0:1], exec, vcc
	s_mov_b64 exec, s[0:1]
	s_cbranch_execz .LBB139_39
; %bb.37:
	s_add_u32 s0, s2, s12
	s_addc_u32 s1, s3, s13
	v_mov_b32_e32 v2, 0
	global_load_dword v1, v2, s[0:1]
	ds_read_b32 v0, v2
	s_bcnt1_i32_b64 s2, s[4:5]
	v_cvt_f32_ubyte0_e32 v3, s2
	s_mov_b64 s[2:3], 0
	s_waitcnt lgkmcnt(0)
	v_mul_f32_e32 v3, v0, v3
.LBB139_38:                             ; =>This Inner Loop Header: Depth=1
	s_waitcnt vmcnt(0)
	v_add_f32_e32 v0, v1, v3
	global_atomic_cmpswap v0, v2, v[0:1], s[0:1] glc
	s_waitcnt vmcnt(0)
	v_cmp_eq_u32_e32 vcc, v0, v1
	s_or_b64 s[2:3], vcc, s[2:3]
	v_mov_b32_e32 v1, v0
	s_andn2_b64 exec, exec, s[2:3]
	s_cbranch_execnz .LBB139_38
.LBB139_39:
	s_endpgm
	.section	.rodata,"a",@progbits
	.p2align	6, 0x0
	.amdhsa_kernel _ZN9rocsparseL27csrmvn_lrb_long_rows_kernelIii18rocsparse_bfloat16S1_ffEEvbT_PjPT0_S5_jNS_24const_host_device_scalarIT4_EEPKS2_PKS4_PKT1_PKT2_S8_PT3_21rocsparse_index_base_b
		.amdhsa_group_segment_fixed_size 1024
		.amdhsa_private_segment_fixed_size 0
		.amdhsa_kernarg_size 104
		.amdhsa_user_sgpr_count 6
		.amdhsa_user_sgpr_private_segment_buffer 1
		.amdhsa_user_sgpr_dispatch_ptr 0
		.amdhsa_user_sgpr_queue_ptr 0
		.amdhsa_user_sgpr_kernarg_segment_ptr 1
		.amdhsa_user_sgpr_dispatch_id 0
		.amdhsa_user_sgpr_flat_scratch_init 0
		.amdhsa_user_sgpr_kernarg_preload_length 0
		.amdhsa_user_sgpr_kernarg_preload_offset 0
		.amdhsa_user_sgpr_private_segment_size 0
		.amdhsa_uses_dynamic_stack 0
		.amdhsa_system_sgpr_private_segment_wavefront_offset 0
		.amdhsa_system_sgpr_workgroup_id_x 1
		.amdhsa_system_sgpr_workgroup_id_y 0
		.amdhsa_system_sgpr_workgroup_id_z 0
		.amdhsa_system_sgpr_workgroup_info 0
		.amdhsa_system_vgpr_workitem_id 0
		.amdhsa_next_free_vgpr 10
		.amdhsa_next_free_sgpr 28
		.amdhsa_accum_offset 12
		.amdhsa_reserve_vcc 1
		.amdhsa_reserve_flat_scratch 0
		.amdhsa_float_round_mode_32 0
		.amdhsa_float_round_mode_16_64 0
		.amdhsa_float_denorm_mode_32 3
		.amdhsa_float_denorm_mode_16_64 3
		.amdhsa_dx10_clamp 1
		.amdhsa_ieee_mode 1
		.amdhsa_fp16_overflow 0
		.amdhsa_tg_split 0
		.amdhsa_exception_fp_ieee_invalid_op 0
		.amdhsa_exception_fp_denorm_src 0
		.amdhsa_exception_fp_ieee_div_zero 0
		.amdhsa_exception_fp_ieee_overflow 0
		.amdhsa_exception_fp_ieee_underflow 0
		.amdhsa_exception_fp_ieee_inexact 0
		.amdhsa_exception_int_div_zero 0
	.end_amdhsa_kernel
	.section	.text._ZN9rocsparseL27csrmvn_lrb_long_rows_kernelIii18rocsparse_bfloat16S1_ffEEvbT_PjPT0_S5_jNS_24const_host_device_scalarIT4_EEPKS2_PKS4_PKT1_PKT2_S8_PT3_21rocsparse_index_base_b,"axG",@progbits,_ZN9rocsparseL27csrmvn_lrb_long_rows_kernelIii18rocsparse_bfloat16S1_ffEEvbT_PjPT0_S5_jNS_24const_host_device_scalarIT4_EEPKS2_PKS4_PKT1_PKT2_S8_PT3_21rocsparse_index_base_b,comdat
.Lfunc_end139:
	.size	_ZN9rocsparseL27csrmvn_lrb_long_rows_kernelIii18rocsparse_bfloat16S1_ffEEvbT_PjPT0_S5_jNS_24const_host_device_scalarIT4_EEPKS2_PKS4_PKT1_PKT2_S8_PT3_21rocsparse_index_base_b, .Lfunc_end139-_ZN9rocsparseL27csrmvn_lrb_long_rows_kernelIii18rocsparse_bfloat16S1_ffEEvbT_PjPT0_S5_jNS_24const_host_device_scalarIT4_EEPKS2_PKS4_PKT1_PKT2_S8_PT3_21rocsparse_index_base_b
                                        ; -- End function
	.section	.AMDGPU.csdata,"",@progbits
; Kernel info:
; codeLenInByte = 1404
; NumSgprs: 32
; NumVgprs: 10
; NumAgprs: 0
; TotalNumVgprs: 10
; ScratchSize: 0
; MemoryBound: 0
; FloatMode: 240
; IeeeMode: 1
; LDSByteSize: 1024 bytes/workgroup (compile time only)
; SGPRBlocks: 3
; VGPRBlocks: 1
; NumSGPRsForWavesPerEU: 32
; NumVGPRsForWavesPerEU: 10
; AccumOffset: 12
; Occupancy: 8
; WaveLimiterHint : 1
; COMPUTE_PGM_RSRC2:SCRATCH_EN: 0
; COMPUTE_PGM_RSRC2:USER_SGPR: 6
; COMPUTE_PGM_RSRC2:TRAP_HANDLER: 0
; COMPUTE_PGM_RSRC2:TGID_X_EN: 1
; COMPUTE_PGM_RSRC2:TGID_Y_EN: 0
; COMPUTE_PGM_RSRC2:TGID_Z_EN: 0
; COMPUTE_PGM_RSRC2:TIDIG_COMP_CNT: 0
; COMPUTE_PGM_RSRC3_GFX90A:ACCUM_OFFSET: 2
; COMPUTE_PGM_RSRC3_GFX90A:TG_SPLIT: 0
	.section	.text._ZN9rocsparseL28csrmvn_lrb_short_rows_kernelIli18rocsparse_bfloat16S1_ffEEvbT_PT0_S4_jNS_24const_host_device_scalarIT4_EEPKS2_PKS3_PKT1_PKT2_S7_PT3_21rocsparse_index_base_b,"axG",@progbits,_ZN9rocsparseL28csrmvn_lrb_short_rows_kernelIli18rocsparse_bfloat16S1_ffEEvbT_PT0_S4_jNS_24const_host_device_scalarIT4_EEPKS2_PKS3_PKT1_PKT2_S7_PT3_21rocsparse_index_base_b,comdat
	.globl	_ZN9rocsparseL28csrmvn_lrb_short_rows_kernelIli18rocsparse_bfloat16S1_ffEEvbT_PT0_S4_jNS_24const_host_device_scalarIT4_EEPKS2_PKS3_PKT1_PKT2_S7_PT3_21rocsparse_index_base_b ; -- Begin function _ZN9rocsparseL28csrmvn_lrb_short_rows_kernelIli18rocsparse_bfloat16S1_ffEEvbT_PT0_S4_jNS_24const_host_device_scalarIT4_EEPKS2_PKS3_PKT1_PKT2_S7_PT3_21rocsparse_index_base_b
	.p2align	8
	.type	_ZN9rocsparseL28csrmvn_lrb_short_rows_kernelIli18rocsparse_bfloat16S1_ffEEvbT_PT0_S4_jNS_24const_host_device_scalarIT4_EEPKS2_PKS3_PKT1_PKT2_S7_PT3_21rocsparse_index_base_b,@function
_ZN9rocsparseL28csrmvn_lrb_short_rows_kernelIli18rocsparse_bfloat16S1_ffEEvbT_PT0_S4_jNS_24const_host_device_scalarIT4_EEPKS2_PKS3_PKT1_PKT2_S7_PT3_21rocsparse_index_base_b: ; @_ZN9rocsparseL28csrmvn_lrb_short_rows_kernelIli18rocsparse_bfloat16S1_ffEEvbT_PT0_S4_jNS_24const_host_device_scalarIT4_EEPKS2_PKS3_PKT1_PKT2_S7_PT3_21rocsparse_index_base_b
; %bb.0:
	s_load_dwordx2 s[20:21], s[4:5], 0x60
	s_load_dwordx2 s[22:23], s[4:5], 0x28
	;; [unrolled: 1-line block ×3, first 2 shown]
	s_waitcnt lgkmcnt(0)
	s_bitcmp1_b32 s21, 0
	s_cselect_b64 s[2:3], -1, 0
	s_xor_b64 s[0:1], s[2:3], -1
	s_and_b64 vcc, exec, s[2:3]
	s_cbranch_vccnz .LBB140_2
; %bb.1:
	s_load_dword s22, s[22:23], 0x0
.LBB140_2:
	s_andn2_b64 vcc, exec, s[0:1]
	s_cbranch_vccnz .LBB140_4
; %bb.3:
	s_load_dword s16, s[16:17], 0x0
.LBB140_4:
	s_waitcnt lgkmcnt(0)
	v_cmp_neq_f32_e64 s[0:1], s22, 0
	v_cmp_neq_f32_e64 s[2:3], s16, 1.0
	s_or_b64 s[0:1], s[0:1], s[2:3]
	s_andn2_b64 vcc, exec, s[0:1]
	s_mov_b32 s19, 0
	s_cbranch_vccnz .LBB140_18
; %bb.5:
	s_load_dword s18, s[4:5], 0x20
	s_load_dwordx4 s[0:3], s[4:5], 0x10
	s_mov_b32 s9, s19
	s_waitcnt lgkmcnt(0)
	s_lshl_b64 s[10:11], s[18:19], 2
	s_add_u32 s10, s2, s10
	s_addc_u32 s11, s3, s11
	s_add_i32 s8, s18, 1
	s_lshl_b64 s[8:9], s[8:9], 2
	s_add_u32 s2, s2, s8
	s_addc_u32 s3, s3, s9
	s_load_dword s17, s[10:11], 0x0
	s_load_dword s7, s[2:3], 0x0
	s_lshl_b32 s19, s6, 8
	s_add_i32 s3, s19, 0x100
	s_waitcnt lgkmcnt(0)
	s_sub_i32 s2, s7, s17
	s_min_u32 s21, s2, s3
	s_cmp_gt_u32 s18, 23
	s_cbranch_scc1 .LBB140_12
; %bb.6:
	s_load_dwordx8 s[8:15], s[4:5], 0x30
	s_mov_b32 s24, 0
	v_mov_b32_e32 v9, 0
	s_lshl_b32 s23, 0x100, s18
	v_bfe_u32 v6, v0, 0, s18
	v_mov_b32_e32 v7, v9
	v_lshl_add_u32 v1, v0, 2, 0
	s_mov_b32 s25, s24
	s_branch .LBB140_9
.LBB140_7:                              ;   in Loop: Header=BB140_9 Depth=1
	s_or_b64 exec, exec, s[6:7]
	ds_write_b32 v1, v4
.LBB140_8:                              ;   in Loop: Header=BB140_9 Depth=1
	s_or_b64 exec, exec, s[2:3]
	s_addk_i32 s25, 0x100
	s_cmp_ge_u32 s25, s23
	v_add_u32_e32 v1, 0x400, v1
	s_cbranch_scc1 .LBB140_12
.LBB140_9:                              ; =>This Inner Loop Header: Depth=1
	v_add_u32_e32 v2, s25, v0
	v_lshrrev_b32_e32 v2, s18, v2
	v_add_u32_e32 v2, s19, v2
	v_cmp_gt_u32_e32 vcc, s21, v2
	s_and_saveexec_b64 s[2:3], vcc
	s_cbranch_execz .LBB140_8
; %bb.10:                               ;   in Loop: Header=BB140_9 Depth=1
	v_add_u32_e32 v8, s17, v2
	v_lshlrev_b64 v[2:3], 2, v[8:9]
	v_mov_b32_e32 v4, s1
	v_add_co_u32_e32 v2, vcc, s0, v2
	v_addc_co_u32_e32 v3, vcc, v4, v3, vcc
	global_load_dword v2, v[2:3], off
	s_waitcnt lgkmcnt(0)
	v_mov_b32_e32 v4, s9
	s_waitcnt vmcnt(0)
	v_ashrrev_i32_e32 v3, 31, v2
	v_lshlrev_b64 v[2:3], 3, v[2:3]
	v_add_co_u32_e32 v2, vcc, s8, v2
	v_addc_co_u32_e32 v3, vcc, v4, v3, vcc
	global_load_dwordx4 v[2:5], v[2:3], off
	s_waitcnt vmcnt(0)
	v_sub_co_u32_e32 v4, vcc, v4, v2
	v_subb_co_u32_e32 v5, vcc, v5, v3, vcc
	v_cmp_gt_i64_e32 vcc, v[4:5], v[6:7]
	v_mov_b32_e32 v4, 0
	s_and_saveexec_b64 s[6:7], vcc
	s_cbranch_execz .LBB140_7
; %bb.11:                               ;   in Loop: Header=BB140_9 Depth=1
	v_mov_b32_e32 v4, s24
	v_subrev_co_u32_e32 v2, vcc, s20, v2
	v_subb_co_u32_e32 v3, vcc, v3, v4, vcc
	v_add_co_u32_e32 v2, vcc, v2, v6
	v_addc_co_u32_e32 v3, vcc, 0, v3, vcc
	v_lshlrev_b64 v[4:5], 2, v[2:3]
	v_mov_b32_e32 v8, s11
	v_add_co_u32_e32 v4, vcc, s10, v4
	v_addc_co_u32_e32 v5, vcc, v8, v5, vcc
	global_load_dword v4, v[4:5], off
	v_lshlrev_b64 v[2:3], 1, v[2:3]
	v_mov_b32_e32 v5, s13
	v_add_co_u32_e32 v2, vcc, s12, v2
	v_addc_co_u32_e32 v3, vcc, v5, v3, vcc
	global_load_ushort v5, v[2:3], off
	v_mov_b32_e32 v8, s15
	s_waitcnt vmcnt(1)
	v_subrev_u32_e32 v2, s20, v4
	v_ashrrev_i32_e32 v3, 31, v2
	v_lshlrev_b64 v[2:3], 1, v[2:3]
	v_add_co_u32_e32 v2, vcc, s14, v2
	v_addc_co_u32_e32 v3, vcc, v8, v3, vcc
	global_load_ushort v2, v[2:3], off
	s_waitcnt vmcnt(1)
	v_lshlrev_b32_e32 v3, 16, v5
	v_mul_f32_e32 v3, s22, v3
	s_waitcnt vmcnt(0)
	v_lshlrev_b32_e32 v2, 16, v2
	v_mul_f32_e32 v4, v3, v2
	s_branch .LBB140_7
.LBB140_12:
	s_sub_i32 s2, s21, s19
	v_cmp_gt_u32_e32 vcc, s2, v0
	s_waitcnt lgkmcnt(0)
	s_barrier
	s_and_saveexec_b64 s[2:3], vcc
	s_cbranch_execz .LBB140_18
; %bb.13:
	s_add_i32 s17, s17, s19
	v_add_u32_e32 v2, s17, v0
	v_mov_b32_e32 v3, 0
	v_lshlrev_b64 v[4:5], 2, v[2:3]
	v_mov_b32_e32 v1, s1
	v_add_co_u32_e32 v4, vcc, s0, v4
	v_addc_co_u32_e32 v5, vcc, v1, v5, vcc
	global_load_dword v4, v[4:5], off
	s_load_dwordx2 s[0:1], s[4:5], 0x58
	v_lshlrev_b32_e32 v0, s18, v0
	v_lshl_add_u32 v0, v0, 2, 0
	s_mov_b32 s2, 1
.LBB140_14:                             ; =>This Inner Loop Header: Depth=1
	ds_read_b32 v1, v0
	s_lshr_b32 s3, s2, s18
	s_add_i32 s2, s2, 1
	v_add_u32_e32 v0, 4, v0
	s_cmp_lg_u32 s3, 0
	s_waitcnt lgkmcnt(0)
	v_add_f32_e32 v3, v3, v1
	s_cbranch_scc0 .LBB140_14
; %bb.15:
	v_cmp_neq_f32_e64 s[2:3], s16, 0
	s_waitcnt vmcnt(0)
	v_ashrrev_i32_e32 v5, 31, v4
	s_and_b64 vcc, exec, s[2:3]
	v_lshlrev_b64 v[0:1], 2, v[4:5]
	s_cbranch_vccz .LBB140_17
; %bb.16:
	v_mov_b32_e32 v2, s1
	v_add_co_u32_e32 v4, vcc, s0, v0
	v_addc_co_u32_e32 v5, vcc, v2, v1, vcc
	global_load_dword v2, v[4:5], off
	s_waitcnt vmcnt(0)
	v_fmac_f32_e32 v3, s16, v2
.LBB140_17:
	v_mov_b32_e32 v2, s1
	v_add_co_u32_e32 v0, vcc, s0, v0
	v_addc_co_u32_e32 v1, vcc, v2, v1, vcc
	global_store_dword v[0:1], v3, off
.LBB140_18:
	s_endpgm
	.section	.rodata,"a",@progbits
	.p2align	6, 0x0
	.amdhsa_kernel _ZN9rocsparseL28csrmvn_lrb_short_rows_kernelIli18rocsparse_bfloat16S1_ffEEvbT_PT0_S4_jNS_24const_host_device_scalarIT4_EEPKS2_PKS3_PKT1_PKT2_S7_PT3_21rocsparse_index_base_b
		.amdhsa_group_segment_fixed_size 0
		.amdhsa_private_segment_fixed_size 0
		.amdhsa_kernarg_size 104
		.amdhsa_user_sgpr_count 6
		.amdhsa_user_sgpr_private_segment_buffer 1
		.amdhsa_user_sgpr_dispatch_ptr 0
		.amdhsa_user_sgpr_queue_ptr 0
		.amdhsa_user_sgpr_kernarg_segment_ptr 1
		.amdhsa_user_sgpr_dispatch_id 0
		.amdhsa_user_sgpr_flat_scratch_init 0
		.amdhsa_user_sgpr_kernarg_preload_length 0
		.amdhsa_user_sgpr_kernarg_preload_offset 0
		.amdhsa_user_sgpr_private_segment_size 0
		.amdhsa_uses_dynamic_stack 0
		.amdhsa_system_sgpr_private_segment_wavefront_offset 0
		.amdhsa_system_sgpr_workgroup_id_x 1
		.amdhsa_system_sgpr_workgroup_id_y 0
		.amdhsa_system_sgpr_workgroup_id_z 0
		.amdhsa_system_sgpr_workgroup_info 0
		.amdhsa_system_vgpr_workitem_id 0
		.amdhsa_next_free_vgpr 10
		.amdhsa_next_free_sgpr 26
		.amdhsa_accum_offset 12
		.amdhsa_reserve_vcc 1
		.amdhsa_reserve_flat_scratch 0
		.amdhsa_float_round_mode_32 0
		.amdhsa_float_round_mode_16_64 0
		.amdhsa_float_denorm_mode_32 3
		.amdhsa_float_denorm_mode_16_64 3
		.amdhsa_dx10_clamp 1
		.amdhsa_ieee_mode 1
		.amdhsa_fp16_overflow 0
		.amdhsa_tg_split 0
		.amdhsa_exception_fp_ieee_invalid_op 0
		.amdhsa_exception_fp_denorm_src 0
		.amdhsa_exception_fp_ieee_div_zero 0
		.amdhsa_exception_fp_ieee_overflow 0
		.amdhsa_exception_fp_ieee_underflow 0
		.amdhsa_exception_fp_ieee_inexact 0
		.amdhsa_exception_int_div_zero 0
	.end_amdhsa_kernel
	.section	.text._ZN9rocsparseL28csrmvn_lrb_short_rows_kernelIli18rocsparse_bfloat16S1_ffEEvbT_PT0_S4_jNS_24const_host_device_scalarIT4_EEPKS2_PKS3_PKT1_PKT2_S7_PT3_21rocsparse_index_base_b,"axG",@progbits,_ZN9rocsparseL28csrmvn_lrb_short_rows_kernelIli18rocsparse_bfloat16S1_ffEEvbT_PT0_S4_jNS_24const_host_device_scalarIT4_EEPKS2_PKS3_PKT1_PKT2_S7_PT3_21rocsparse_index_base_b,comdat
.Lfunc_end140:
	.size	_ZN9rocsparseL28csrmvn_lrb_short_rows_kernelIli18rocsparse_bfloat16S1_ffEEvbT_PT0_S4_jNS_24const_host_device_scalarIT4_EEPKS2_PKS3_PKT1_PKT2_S7_PT3_21rocsparse_index_base_b, .Lfunc_end140-_ZN9rocsparseL28csrmvn_lrb_short_rows_kernelIli18rocsparse_bfloat16S1_ffEEvbT_PT0_S4_jNS_24const_host_device_scalarIT4_EEPKS2_PKS3_PKT1_PKT2_S7_PT3_21rocsparse_index_base_b
                                        ; -- End function
	.section	.AMDGPU.csdata,"",@progbits
; Kernel info:
; codeLenInByte = 772
; NumSgprs: 30
; NumVgprs: 10
; NumAgprs: 0
; TotalNumVgprs: 10
; ScratchSize: 0
; MemoryBound: 0
; FloatMode: 240
; IeeeMode: 1
; LDSByteSize: 0 bytes/workgroup (compile time only)
; SGPRBlocks: 3
; VGPRBlocks: 1
; NumSGPRsForWavesPerEU: 30
; NumVGPRsForWavesPerEU: 10
; AccumOffset: 12
; Occupancy: 8
; WaveLimiterHint : 1
; COMPUTE_PGM_RSRC2:SCRATCH_EN: 0
; COMPUTE_PGM_RSRC2:USER_SGPR: 6
; COMPUTE_PGM_RSRC2:TRAP_HANDLER: 0
; COMPUTE_PGM_RSRC2:TGID_X_EN: 1
; COMPUTE_PGM_RSRC2:TGID_Y_EN: 0
; COMPUTE_PGM_RSRC2:TGID_Z_EN: 0
; COMPUTE_PGM_RSRC2:TIDIG_COMP_CNT: 0
; COMPUTE_PGM_RSRC3_GFX90A:ACCUM_OFFSET: 2
; COMPUTE_PGM_RSRC3_GFX90A:TG_SPLIT: 0
	.section	.text._ZN9rocsparseL30csrmvn_lrb_short_rows_2_kernelIli18rocsparse_bfloat16S1_ffEEvbT_PT0_S4_jNS_24const_host_device_scalarIT4_EEPKS2_PKS3_PKT1_PKT2_S7_PT3_21rocsparse_index_base_b,"axG",@progbits,_ZN9rocsparseL30csrmvn_lrb_short_rows_2_kernelIli18rocsparse_bfloat16S1_ffEEvbT_PT0_S4_jNS_24const_host_device_scalarIT4_EEPKS2_PKS3_PKT1_PKT2_S7_PT3_21rocsparse_index_base_b,comdat
	.globl	_ZN9rocsparseL30csrmvn_lrb_short_rows_2_kernelIli18rocsparse_bfloat16S1_ffEEvbT_PT0_S4_jNS_24const_host_device_scalarIT4_EEPKS2_PKS3_PKT1_PKT2_S7_PT3_21rocsparse_index_base_b ; -- Begin function _ZN9rocsparseL30csrmvn_lrb_short_rows_2_kernelIli18rocsparse_bfloat16S1_ffEEvbT_PT0_S4_jNS_24const_host_device_scalarIT4_EEPKS2_PKS3_PKT1_PKT2_S7_PT3_21rocsparse_index_base_b
	.p2align	8
	.type	_ZN9rocsparseL30csrmvn_lrb_short_rows_2_kernelIli18rocsparse_bfloat16S1_ffEEvbT_PT0_S4_jNS_24const_host_device_scalarIT4_EEPKS2_PKS3_PKT1_PKT2_S7_PT3_21rocsparse_index_base_b,@function
_ZN9rocsparseL30csrmvn_lrb_short_rows_2_kernelIli18rocsparse_bfloat16S1_ffEEvbT_PT0_S4_jNS_24const_host_device_scalarIT4_EEPKS2_PKS3_PKT1_PKT2_S7_PT3_21rocsparse_index_base_b: ; @_ZN9rocsparseL30csrmvn_lrb_short_rows_2_kernelIli18rocsparse_bfloat16S1_ffEEvbT_PT0_S4_jNS_24const_host_device_scalarIT4_EEPKS2_PKS3_PKT1_PKT2_S7_PT3_21rocsparse_index_base_b
; %bb.0:
	s_load_dwordx2 s[22:23], s[4:5], 0x60
	s_load_dwordx2 s[20:21], s[4:5], 0x28
	;; [unrolled: 1-line block ×3, first 2 shown]
	s_waitcnt lgkmcnt(0)
	s_bitcmp1_b32 s23, 0
	s_cselect_b64 s[2:3], -1, 0
	s_xor_b64 s[0:1], s[2:3], -1
	s_and_b64 vcc, exec, s[2:3]
	s_cbranch_vccnz .LBB141_2
; %bb.1:
	s_load_dword s20, s[20:21], 0x0
.LBB141_2:
	s_andn2_b64 vcc, exec, s[0:1]
	s_cbranch_vccnz .LBB141_4
; %bb.3:
	s_load_dword s16, s[16:17], 0x0
.LBB141_4:
	s_waitcnt lgkmcnt(0)
	v_cmp_neq_f32_e64 s[0:1], s20, 0
	v_cmp_neq_f32_e64 s[2:3], s16, 1.0
	s_or_b64 s[0:1], s[0:1], s[2:3]
	s_andn2_b64 vcc, exec, s[0:1]
	s_mov_b32 s19, 0
	s_cbranch_vccnz .LBB141_30
; %bb.5:
	s_load_dword s18, s[4:5], 0x20
	s_load_dwordx4 s[0:3], s[4:5], 0x10
	s_mov_b32 s9, s19
	v_mov_b32_e32 v7, 0
	s_waitcnt lgkmcnt(0)
	s_lshl_b64 s[10:11], s[18:19], 2
	s_add_u32 s24, s2, s10
	s_addc_u32 s25, s3, s11
	s_add_i32 s8, s18, 1
	s_lshl_b64 s[8:9], s[8:9], 2
	s_add_u32 s26, s2, s8
	s_addc_u32 s27, s3, s9
	s_load_dword s19, s[24:25], 0x0
	s_load_dword s7, s[26:27], 0x0
	s_load_dwordx2 s[2:3], s[4:5], 0x58
	s_load_dwordx8 s[8:15], s[4:5], 0x30
	s_lshr_b32 s17, 0x400, s18
	s_mul_i32 s21, s17, s6
	s_waitcnt lgkmcnt(0)
	s_sub_i32 s4, s7, s19
	s_add_i32 s5, s21, s17
	v_lshrrev_b32_e32 v1, s18, v0
	s_min_u32 s23, s4, s5
	v_add_u32_e32 v1, s21, v1
	v_bfe_u32 v6, v0, 0, s18
	v_cmp_gt_u32_e32 vcc, s23, v1
	s_and_saveexec_b64 s[4:5], vcc
	s_cbranch_execz .LBB141_9
; %bb.6:
	v_add_u32_e32 v2, s19, v1
	v_mov_b32_e32 v3, v7
	v_lshlrev_b64 v[2:3], 2, v[2:3]
	v_mov_b32_e32 v1, s1
	v_add_co_u32_e32 v2, vcc, s0, v2
	v_addc_co_u32_e32 v3, vcc, v1, v3, vcc
	global_load_dword v2, v[2:3], off
	v_mov_b32_e32 v1, s9
	s_waitcnt vmcnt(0)
	v_ashrrev_i32_e32 v3, 31, v2
	v_lshlrev_b64 v[2:3], 3, v[2:3]
	v_add_co_u32_e32 v2, vcc, s8, v2
	v_addc_co_u32_e32 v3, vcc, v1, v3, vcc
	global_load_dwordx4 v[2:5], v[2:3], off
	v_mov_b32_e32 v1, v7
	s_waitcnt vmcnt(0)
	v_sub_co_u32_e32 v4, vcc, v4, v2
	v_subb_co_u32_e32 v5, vcc, v5, v3, vcc
	v_cmp_gt_i64_e32 vcc, v[4:5], v[6:7]
	s_and_saveexec_b64 s[6:7], vcc
	s_cbranch_execz .LBB141_8
; %bb.7:
	v_subrev_co_u32_e32 v1, vcc, s22, v2
	v_subbrev_co_u32_e32 v3, vcc, 0, v3, vcc
	v_add_co_u32_e32 v2, vcc, v1, v6
	v_addc_co_u32_e32 v3, vcc, 0, v3, vcc
	v_lshlrev_b64 v[4:5], 2, v[2:3]
	v_mov_b32_e32 v1, s11
	v_add_co_u32_e32 v4, vcc, s10, v4
	v_addc_co_u32_e32 v5, vcc, v1, v5, vcc
	global_load_dword v1, v[4:5], off
	v_lshlrev_b64 v[2:3], 1, v[2:3]
	v_mov_b32_e32 v4, s13
	v_add_co_u32_e32 v2, vcc, s12, v2
	v_addc_co_u32_e32 v3, vcc, v4, v3, vcc
	global_load_ushort v4, v[2:3], off
	v_mov_b32_e32 v5, s15
	s_waitcnt vmcnt(1)
	v_subrev_u32_e32 v2, s22, v1
	v_ashrrev_i32_e32 v3, 31, v2
	v_lshlrev_b64 v[2:3], 1, v[2:3]
	v_add_co_u32_e32 v2, vcc, s14, v2
	v_addc_co_u32_e32 v3, vcc, v5, v3, vcc
	global_load_ushort v1, v[2:3], off
	s_waitcnt vmcnt(1)
	v_lshlrev_b32_e32 v2, 16, v4
	v_mul_f32_e32 v2, s20, v2
	s_waitcnt vmcnt(0)
	v_lshlrev_b32_e32 v1, 16, v1
	v_mul_f32_e32 v1, v2, v1
.LBB141_8:
	s_or_b64 exec, exec, s[6:7]
	v_lshlrev_b32_e32 v2, 2, v0
	ds_write_b32 v2, v1
.LBB141_9:
	s_or_b64 exec, exec, s[4:5]
	v_or_b32_e32 v1, 0x100, v0
	v_lshrrev_b32_e32 v1, s18, v1
	v_add_u32_e32 v1, s21, v1
	v_cmp_gt_u32_e32 vcc, s23, v1
	s_and_saveexec_b64 s[4:5], vcc
	s_cbranch_execz .LBB141_13
; %bb.10:
	v_add_u32_e32 v8, s19, v1
	v_mov_b32_e32 v9, 0
	v_lshlrev_b64 v[2:3], 2, v[8:9]
	v_mov_b32_e32 v1, s1
	v_add_co_u32_e32 v2, vcc, s0, v2
	v_addc_co_u32_e32 v3, vcc, v1, v3, vcc
	global_load_dword v2, v[2:3], off
	v_mov_b32_e32 v1, s9
	s_waitcnt vmcnt(0)
	v_ashrrev_i32_e32 v3, 31, v2
	v_lshlrev_b64 v[2:3], 3, v[2:3]
	v_add_co_u32_e32 v2, vcc, s8, v2
	v_addc_co_u32_e32 v3, vcc, v1, v3, vcc
	global_load_dwordx4 v[2:5], v[2:3], off
	s_waitcnt vmcnt(0)
	v_sub_co_u32_e32 v4, vcc, v4, v2
	v_subb_co_u32_e32 v5, vcc, v5, v3, vcc
	v_cmp_gt_i64_e32 vcc, v[4:5], v[6:7]
	s_and_saveexec_b64 s[6:7], vcc
	s_cbranch_execz .LBB141_12
; %bb.11:
	v_subrev_co_u32_e32 v1, vcc, s22, v2
	v_subbrev_co_u32_e32 v3, vcc, 0, v3, vcc
	v_add_co_u32_e32 v2, vcc, v1, v6
	v_addc_co_u32_e32 v3, vcc, 0, v3, vcc
	v_lshlrev_b64 v[4:5], 2, v[2:3]
	v_mov_b32_e32 v1, s11
	v_add_co_u32_e32 v4, vcc, s10, v4
	v_addc_co_u32_e32 v5, vcc, v1, v5, vcc
	global_load_dword v1, v[4:5], off
	v_lshlrev_b64 v[2:3], 1, v[2:3]
	v_mov_b32_e32 v4, s13
	v_add_co_u32_e32 v2, vcc, s12, v2
	v_addc_co_u32_e32 v3, vcc, v4, v3, vcc
	global_load_ushort v4, v[2:3], off
	v_mov_b32_e32 v5, s15
	s_waitcnt vmcnt(1)
	v_subrev_u32_e32 v2, s22, v1
	v_ashrrev_i32_e32 v3, 31, v2
	v_lshlrev_b64 v[2:3], 1, v[2:3]
	v_add_co_u32_e32 v2, vcc, s14, v2
	v_addc_co_u32_e32 v3, vcc, v5, v3, vcc
	global_load_ushort v1, v[2:3], off
	s_waitcnt vmcnt(1)
	v_lshlrev_b32_e32 v2, 16, v4
	v_mul_f32_e32 v2, s20, v2
	s_waitcnt vmcnt(0)
	v_lshlrev_b32_e32 v1, 16, v1
	v_mul_f32_e32 v9, v2, v1
.LBB141_12:
	s_or_b64 exec, exec, s[6:7]
	v_lshlrev_b32_e32 v1, 2, v0
	ds_write_b32 v1, v9 offset:1024
.LBB141_13:
	s_or_b64 exec, exec, s[4:5]
	v_or_b32_e32 v1, 0x200, v0
	v_lshrrev_b32_e32 v1, s18, v1
	v_add_u32_e32 v1, s21, v1
	v_cmp_gt_u32_e32 vcc, s23, v1
	s_and_saveexec_b64 s[4:5], vcc
	s_cbranch_execz .LBB141_17
; %bb.14:
	v_add_u32_e32 v8, s19, v1
	v_mov_b32_e32 v9, 0
	v_lshlrev_b64 v[2:3], 2, v[8:9]
	v_mov_b32_e32 v1, s1
	v_add_co_u32_e32 v2, vcc, s0, v2
	v_addc_co_u32_e32 v3, vcc, v1, v3, vcc
	global_load_dword v2, v[2:3], off
	v_mov_b32_e32 v1, s9
	s_waitcnt vmcnt(0)
	v_ashrrev_i32_e32 v3, 31, v2
	v_lshlrev_b64 v[2:3], 3, v[2:3]
	v_add_co_u32_e32 v2, vcc, s8, v2
	v_addc_co_u32_e32 v3, vcc, v1, v3, vcc
	global_load_dwordx4 v[2:5], v[2:3], off
	s_waitcnt vmcnt(0)
	v_sub_co_u32_e32 v4, vcc, v4, v2
	v_subb_co_u32_e32 v5, vcc, v5, v3, vcc
	v_cmp_gt_i64_e32 vcc, v[4:5], v[6:7]
	s_and_saveexec_b64 s[6:7], vcc
	s_cbranch_execz .LBB141_16
; %bb.15:
	v_subrev_co_u32_e32 v1, vcc, s22, v2
	v_subbrev_co_u32_e32 v3, vcc, 0, v3, vcc
	v_add_co_u32_e32 v2, vcc, v1, v6
	v_addc_co_u32_e32 v3, vcc, 0, v3, vcc
	v_lshlrev_b64 v[4:5], 2, v[2:3]
	v_mov_b32_e32 v1, s11
	v_add_co_u32_e32 v4, vcc, s10, v4
	v_addc_co_u32_e32 v5, vcc, v1, v5, vcc
	global_load_dword v1, v[4:5], off
	v_lshlrev_b64 v[2:3], 1, v[2:3]
	v_mov_b32_e32 v4, s13
	v_add_co_u32_e32 v2, vcc, s12, v2
	v_addc_co_u32_e32 v3, vcc, v4, v3, vcc
	global_load_ushort v4, v[2:3], off
	v_mov_b32_e32 v5, s15
	s_waitcnt vmcnt(1)
	v_subrev_u32_e32 v2, s22, v1
	v_ashrrev_i32_e32 v3, 31, v2
	v_lshlrev_b64 v[2:3], 1, v[2:3]
	v_add_co_u32_e32 v2, vcc, s14, v2
	v_addc_co_u32_e32 v3, vcc, v5, v3, vcc
	global_load_ushort v1, v[2:3], off
	s_waitcnt vmcnt(1)
	v_lshlrev_b32_e32 v2, 16, v4
	v_mul_f32_e32 v2, s20, v2
	s_waitcnt vmcnt(0)
	v_lshlrev_b32_e32 v1, 16, v1
	v_mul_f32_e32 v9, v2, v1
.LBB141_16:
	s_or_b64 exec, exec, s[6:7]
	v_lshlrev_b32_e32 v1, 2, v0
	ds_write_b32 v1, v9 offset:2048
.LBB141_17:
	;; [unrolled: 62-line block ×3, first 2 shown]
	s_or_b64 exec, exec, s[4:5]
	s_cmp_lt_u32 s18, 11
	s_waitcnt lgkmcnt(0)
	s_barrier
	s_cbranch_scc0 .LBB141_30
; %bb.22:
	s_sub_i32 s8, s23, s21
	s_add_i32 s19, s19, s21
	s_mov_b32 s9, 0
	v_cmp_neq_f32_e64 s[4:5], s16, 0
	v_mov_b32_e32 v3, 0
	s_branch .LBB141_25
.LBB141_23:                             ;   in Loop: Header=BB141_25 Depth=1
	v_mov_b32_e32 v2, s3
	v_add_co_u32_e32 v4, vcc, s2, v4
	v_addc_co_u32_e32 v5, vcc, v2, v5, vcc
	global_store_dword v[4:5], v1, off
.LBB141_24:                             ;   in Loop: Header=BB141_25 Depth=1
	s_or_b64 exec, exec, s[6:7]
	s_addk_i32 s9, 0x100
	s_cmp_lt_u32 s9, s17
	s_cbranch_scc0 .LBB141_30
.LBB141_25:                             ; =>This Loop Header: Depth=1
                                        ;     Child Loop BB141_27 Depth 2
	v_add_u32_e32 v1, s9, v0
	v_cmp_gt_u32_e32 vcc, s8, v1
	s_and_saveexec_b64 s[6:7], vcc
	s_cbranch_execz .LBB141_24
; %bb.26:                               ;   in Loop: Header=BB141_25 Depth=1
	v_add_u32_e32 v2, s19, v1
	v_lshlrev_b64 v[4:5], 2, v[2:3]
	v_mov_b32_e32 v2, s1
	v_add_co_u32_e32 v4, vcc, s0, v4
	v_addc_co_u32_e32 v5, vcc, v2, v5, vcc
	global_load_dword v4, v[4:5], off
	v_lshlrev_b32_e32 v1, s18, v1
	v_lshlrev_b32_e32 v2, 2, v1
	s_mov_b32 s10, 1
	v_mov_b32_e32 v1, 0
.LBB141_27:                             ;   Parent Loop BB141_25 Depth=1
                                        ; =>  This Inner Loop Header: Depth=2
	ds_read_b32 v5, v2
	s_lshr_b32 s11, s10, s18
	s_add_i32 s10, s10, 1
	v_add_u32_e32 v2, 4, v2
	s_cmp_lg_u32 s11, 0
	s_waitcnt lgkmcnt(0)
	v_add_f32_e32 v1, v1, v5
	s_cbranch_scc0 .LBB141_27
; %bb.28:                               ;   in Loop: Header=BB141_25 Depth=1
	s_waitcnt vmcnt(0)
	v_ashrrev_i32_e32 v5, 31, v4
	s_and_b64 vcc, exec, s[4:5]
	v_lshlrev_b64 v[4:5], 2, v[4:5]
	s_cbranch_vccz .LBB141_23
; %bb.29:                               ;   in Loop: Header=BB141_25 Depth=1
	v_mov_b32_e32 v2, s3
	v_add_co_u32_e32 v6, vcc, s2, v4
	v_addc_co_u32_e32 v7, vcc, v2, v5, vcc
	global_load_dword v2, v[6:7], off
	s_waitcnt vmcnt(0)
	v_fmac_f32_e32 v1, s16, v2
	s_branch .LBB141_23
.LBB141_30:
	s_endpgm
	.section	.rodata,"a",@progbits
	.p2align	6, 0x0
	.amdhsa_kernel _ZN9rocsparseL30csrmvn_lrb_short_rows_2_kernelIli18rocsparse_bfloat16S1_ffEEvbT_PT0_S4_jNS_24const_host_device_scalarIT4_EEPKS2_PKS3_PKT1_PKT2_S7_PT3_21rocsparse_index_base_b
		.amdhsa_group_segment_fixed_size 4096
		.amdhsa_private_segment_fixed_size 0
		.amdhsa_kernarg_size 104
		.amdhsa_user_sgpr_count 6
		.amdhsa_user_sgpr_private_segment_buffer 1
		.amdhsa_user_sgpr_dispatch_ptr 0
		.amdhsa_user_sgpr_queue_ptr 0
		.amdhsa_user_sgpr_kernarg_segment_ptr 1
		.amdhsa_user_sgpr_dispatch_id 0
		.amdhsa_user_sgpr_flat_scratch_init 0
		.amdhsa_user_sgpr_kernarg_preload_length 0
		.amdhsa_user_sgpr_kernarg_preload_offset 0
		.amdhsa_user_sgpr_private_segment_size 0
		.amdhsa_uses_dynamic_stack 0
		.amdhsa_system_sgpr_private_segment_wavefront_offset 0
		.amdhsa_system_sgpr_workgroup_id_x 1
		.amdhsa_system_sgpr_workgroup_id_y 0
		.amdhsa_system_sgpr_workgroup_id_z 0
		.amdhsa_system_sgpr_workgroup_info 0
		.amdhsa_system_vgpr_workitem_id 0
		.amdhsa_next_free_vgpr 10
		.amdhsa_next_free_sgpr 28
		.amdhsa_accum_offset 12
		.amdhsa_reserve_vcc 1
		.amdhsa_reserve_flat_scratch 0
		.amdhsa_float_round_mode_32 0
		.amdhsa_float_round_mode_16_64 0
		.amdhsa_float_denorm_mode_32 3
		.amdhsa_float_denorm_mode_16_64 3
		.amdhsa_dx10_clamp 1
		.amdhsa_ieee_mode 1
		.amdhsa_fp16_overflow 0
		.amdhsa_tg_split 0
		.amdhsa_exception_fp_ieee_invalid_op 0
		.amdhsa_exception_fp_denorm_src 0
		.amdhsa_exception_fp_ieee_div_zero 0
		.amdhsa_exception_fp_ieee_overflow 0
		.amdhsa_exception_fp_ieee_underflow 0
		.amdhsa_exception_fp_ieee_inexact 0
		.amdhsa_exception_int_div_zero 0
	.end_amdhsa_kernel
	.section	.text._ZN9rocsparseL30csrmvn_lrb_short_rows_2_kernelIli18rocsparse_bfloat16S1_ffEEvbT_PT0_S4_jNS_24const_host_device_scalarIT4_EEPKS2_PKS3_PKT1_PKT2_S7_PT3_21rocsparse_index_base_b,"axG",@progbits,_ZN9rocsparseL30csrmvn_lrb_short_rows_2_kernelIli18rocsparse_bfloat16S1_ffEEvbT_PT0_S4_jNS_24const_host_device_scalarIT4_EEPKS2_PKS3_PKT1_PKT2_S7_PT3_21rocsparse_index_base_b,comdat
.Lfunc_end141:
	.size	_ZN9rocsparseL30csrmvn_lrb_short_rows_2_kernelIli18rocsparse_bfloat16S1_ffEEvbT_PT0_S4_jNS_24const_host_device_scalarIT4_EEPKS2_PKS3_PKT1_PKT2_S7_PT3_21rocsparse_index_base_b, .Lfunc_end141-_ZN9rocsparseL30csrmvn_lrb_short_rows_2_kernelIli18rocsparse_bfloat16S1_ffEEvbT_PT0_S4_jNS_24const_host_device_scalarIT4_EEPKS2_PKS3_PKT1_PKT2_S7_PT3_21rocsparse_index_base_b
                                        ; -- End function
	.section	.AMDGPU.csdata,"",@progbits
; Kernel info:
; codeLenInByte = 1588
; NumSgprs: 32
; NumVgprs: 10
; NumAgprs: 0
; TotalNumVgprs: 10
; ScratchSize: 0
; MemoryBound: 0
; FloatMode: 240
; IeeeMode: 1
; LDSByteSize: 4096 bytes/workgroup (compile time only)
; SGPRBlocks: 3
; VGPRBlocks: 1
; NumSGPRsForWavesPerEU: 32
; NumVGPRsForWavesPerEU: 10
; AccumOffset: 12
; Occupancy: 8
; WaveLimiterHint : 1
; COMPUTE_PGM_RSRC2:SCRATCH_EN: 0
; COMPUTE_PGM_RSRC2:USER_SGPR: 6
; COMPUTE_PGM_RSRC2:TRAP_HANDLER: 0
; COMPUTE_PGM_RSRC2:TGID_X_EN: 1
; COMPUTE_PGM_RSRC2:TGID_Y_EN: 0
; COMPUTE_PGM_RSRC2:TGID_Z_EN: 0
; COMPUTE_PGM_RSRC2:TIDIG_COMP_CNT: 0
; COMPUTE_PGM_RSRC3_GFX90A:ACCUM_OFFSET: 2
; COMPUTE_PGM_RSRC3_GFX90A:TG_SPLIT: 0
	.section	.text._ZN9rocsparseL41csrmvn_lrb_medium_rows_warp_reduce_kernelILj256ELj32Eli18rocsparse_bfloat16S1_ffEEvbT1_lPT2_S4_jNS_24const_host_device_scalarIT6_EEPKS2_PKS3_PKT3_PKT4_S7_PT5_21rocsparse_index_base_b,"axG",@progbits,_ZN9rocsparseL41csrmvn_lrb_medium_rows_warp_reduce_kernelILj256ELj32Eli18rocsparse_bfloat16S1_ffEEvbT1_lPT2_S4_jNS_24const_host_device_scalarIT6_EEPKS2_PKS3_PKT3_PKT4_S7_PT5_21rocsparse_index_base_b,comdat
	.globl	_ZN9rocsparseL41csrmvn_lrb_medium_rows_warp_reduce_kernelILj256ELj32Eli18rocsparse_bfloat16S1_ffEEvbT1_lPT2_S4_jNS_24const_host_device_scalarIT6_EEPKS2_PKS3_PKT3_PKT4_S7_PT5_21rocsparse_index_base_b ; -- Begin function _ZN9rocsparseL41csrmvn_lrb_medium_rows_warp_reduce_kernelILj256ELj32Eli18rocsparse_bfloat16S1_ffEEvbT1_lPT2_S4_jNS_24const_host_device_scalarIT6_EEPKS2_PKS3_PKT3_PKT4_S7_PT5_21rocsparse_index_base_b
	.p2align	8
	.type	_ZN9rocsparseL41csrmvn_lrb_medium_rows_warp_reduce_kernelILj256ELj32Eli18rocsparse_bfloat16S1_ffEEvbT1_lPT2_S4_jNS_24const_host_device_scalarIT6_EEPKS2_PKS3_PKT3_PKT4_S7_PT5_21rocsparse_index_base_b,@function
_ZN9rocsparseL41csrmvn_lrb_medium_rows_warp_reduce_kernelILj256ELj32Eli18rocsparse_bfloat16S1_ffEEvbT1_lPT2_S4_jNS_24const_host_device_scalarIT6_EEPKS2_PKS3_PKT3_PKT4_S7_PT5_21rocsparse_index_base_b: ; @_ZN9rocsparseL41csrmvn_lrb_medium_rows_warp_reduce_kernelILj256ELj32Eli18rocsparse_bfloat16S1_ffEEvbT1_lPT2_S4_jNS_24const_host_device_scalarIT6_EEPKS2_PKS3_PKT3_PKT4_S7_PT5_21rocsparse_index_base_b
; %bb.0:
	s_load_dwordx2 s[2:3], s[4:5], 0x68
	s_load_dwordx2 s[8:9], s[4:5], 0x30
	;; [unrolled: 1-line block ×3, first 2 shown]
	s_waitcnt lgkmcnt(0)
	s_bitcmp1_b32 s3, 0
	s_cselect_b64 s[12:13], -1, 0
	s_xor_b64 s[10:11], s[12:13], -1
	s_and_b64 vcc, exec, s[12:13]
	s_cbranch_vccnz .LBB142_2
; %bb.1:
	s_load_dword s8, s[8:9], 0x0
.LBB142_2:
	s_andn2_b64 vcc, exec, s[10:11]
	s_cbranch_vccnz .LBB142_4
; %bb.3:
	s_load_dword s0, s[0:1], 0x0
.LBB142_4:
	s_waitcnt lgkmcnt(0)
	v_cmp_neq_f32_e64 s[10:11], s8, 0
	v_cmp_neq_f32_e64 s[12:13], s0, 1.0
	s_or_b64 s[10:11], s[10:11], s[12:13]
	s_andn2_b64 vcc, exec, s[10:11]
	s_cbranch_vccnz .LBB142_14
; %bb.5:
	s_load_dwordx2 s[10:11], s[4:5], 0x10
	v_lshrrev_b32_e32 v1, 5, v0
	v_lshl_or_b32 v2, s6, 3, v1
	v_ashrrev_i32_e32 v3, 31, v2
	s_waitcnt lgkmcnt(0)
	v_cmp_gt_i64_e32 vcc, s[10:11], v[2:3]
	s_and_saveexec_b64 s[6:7], vcc
	s_cbranch_execz .LBB142_14
; %bb.6:
	s_load_dword s6, s[4:5], 0x28
	s_load_dwordx4 s[12:15], s[4:5], 0x18
	s_mov_b32 s7, 0
	v_and_b32_e32 v10, 31, v0
	v_mov_b32_e32 v11, 0
	s_waitcnt lgkmcnt(0)
	s_lshl_b64 s[6:7], s[6:7], 2
	s_add_u32 s6, s14, s6
	s_addc_u32 s7, s15, s7
	s_load_dword s1, s[6:7], 0x0
	v_mov_b32_e32 v1, s13
	s_load_dwordx2 s[6:7], s[4:5], 0x38
	s_waitcnt lgkmcnt(0)
	v_add_u32_e32 v2, s1, v2
	v_ashrrev_i32_e32 v3, 31, v2
	v_lshlrev_b64 v[2:3], 2, v[2:3]
	v_add_co_u32_e32 v2, vcc, s12, v2
	v_addc_co_u32_e32 v3, vcc, v1, v3, vcc
	global_load_dword v2, v[2:3], off
	v_mov_b32_e32 v1, s7
	s_waitcnt vmcnt(0)
	v_ashrrev_i32_e32 v3, 31, v2
	v_lshlrev_b64 v[4:5], 3, v[2:3]
	v_add_co_u32_e32 v4, vcc, s6, v4
	v_addc_co_u32_e32 v5, vcc, v1, v5, vcc
	global_load_dwordx4 v[4:7], v[4:5], off
	v_subrev_co_u32_e32 v8, vcc, s2, v10
	s_load_dwordx2 s[6:7], s[4:5], 0x60
	v_subb_co_u32_e64 v9, s[10:11], 0, 0, vcc
	s_waitcnt vmcnt(0)
	v_subrev_co_u32_e32 v0, vcc, s2, v6
	v_subbrev_co_u32_e32 v1, vcc, 0, v7, vcc
	v_add_co_u32_e32 v4, vcc, v4, v8
	v_addc_co_u32_e32 v5, vcc, v5, v9, vcc
	v_cmp_lt_i64_e32 vcc, v[4:5], v[0:1]
	s_and_saveexec_b64 s[10:11], vcc
	s_cbranch_execz .LBB142_10
; %bb.7:
	s_load_dwordx4 s[16:19], s[4:5], 0x40
	s_load_dwordx2 s[12:13], s[4:5], 0x50
	v_lshlrev_b64 v[6:7], 1, v[4:5]
	s_mov_b64 s[4:5], 0
	s_waitcnt lgkmcnt(0)
	v_mov_b32_e32 v8, s19
	v_add_co_u32_e32 v6, vcc, s18, v6
	v_addc_co_u32_e32 v7, vcc, v8, v7, vcc
	v_lshlrev_b64 v[8:9], 2, v[4:5]
	v_mov_b32_e32 v11, s17
	v_add_co_u32_e32 v8, vcc, s16, v8
	v_addc_co_u32_e32 v9, vcc, v11, v9, vcc
	v_mov_b32_e32 v11, 0
	v_mov_b32_e32 v12, s13
.LBB142_8:                              ; =>This Inner Loop Header: Depth=1
	global_load_dword v13, v[8:9], off
	global_load_ushort v16, v[6:7], off
	s_waitcnt vmcnt(1)
	v_subrev_u32_e32 v14, s2, v13
	v_ashrrev_i32_e32 v15, 31, v14
	v_lshlrev_b64 v[14:15], 1, v[14:15]
	v_add_co_u32_e32 v14, vcc, s12, v14
	v_addc_co_u32_e32 v15, vcc, v12, v15, vcc
	global_load_ushort v13, v[14:15], off
	v_add_co_u32_e32 v4, vcc, 32, v4
	v_addc_co_u32_e32 v5, vcc, 0, v5, vcc
	v_add_co_u32_e32 v6, vcc, 64, v6
	v_addc_co_u32_e32 v7, vcc, 0, v7, vcc
	;; [unrolled: 2-line block ×3, first 2 shown]
	s_waitcnt vmcnt(1)
	v_lshlrev_b32_e32 v14, 16, v16
	v_cmp_ge_i64_e32 vcc, v[4:5], v[0:1]
	v_mul_f32_e32 v14, s8, v14
	s_or_b64 s[4:5], vcc, s[4:5]
	s_waitcnt vmcnt(0)
	v_lshlrev_b32_e32 v13, 16, v13
	v_fmac_f32_e32 v11, v14, v13
	s_andn2_b64 exec, exec, s[4:5]
	s_cbranch_execnz .LBB142_8
; %bb.9:
	s_or_b64 exec, exec, s[4:5]
.LBB142_10:
	s_or_b64 exec, exec, s[10:11]
	v_mov_b32_dpp v0, v11 row_shr:1 row_mask:0xf bank_mask:0xf
	v_add_f32_e32 v0, v11, v0
	v_cmp_eq_u32_e32 vcc, 31, v10
	s_nop 0
	v_mov_b32_dpp v1, v0 row_shr:2 row_mask:0xf bank_mask:0xf
	v_add_f32_e32 v0, v0, v1
	s_nop 1
	v_mov_b32_dpp v1, v0 row_shr:4 row_mask:0xf bank_mask:0xe
	v_add_f32_e32 v0, v0, v1
	s_nop 1
	v_mov_b32_dpp v1, v0 row_shr:8 row_mask:0xf bank_mask:0xc
	v_add_f32_e32 v0, v0, v1
	s_nop 1
	v_mov_b32_dpp v1, v0 row_bcast:15 row_mask:0xa bank_mask:0xf
	s_and_b64 exec, exec, vcc
	s_cbranch_execz .LBB142_14
; %bb.11:
	v_cmp_eq_f32_e64 s[2:3], s0, 0
	v_add_f32_e32 v4, v0, v1
	s_and_b64 vcc, exec, s[2:3]
	v_lshlrev_b64 v[0:1], 2, v[2:3]
	s_cbranch_vccnz .LBB142_13
; %bb.12:
	s_waitcnt lgkmcnt(0)
	v_mov_b32_e32 v3, s7
	v_add_co_u32_e32 v2, vcc, s6, v0
	v_addc_co_u32_e32 v3, vcc, v3, v1, vcc
	global_load_dword v2, v[2:3], off
	s_waitcnt vmcnt(0)
	v_fmac_f32_e32 v4, s0, v2
.LBB142_13:
	s_waitcnt lgkmcnt(0)
	v_mov_b32_e32 v2, s7
	v_add_co_u32_e32 v0, vcc, s6, v0
	v_addc_co_u32_e32 v1, vcc, v2, v1, vcc
	global_store_dword v[0:1], v4, off
.LBB142_14:
	s_endpgm
	.section	.rodata,"a",@progbits
	.p2align	6, 0x0
	.amdhsa_kernel _ZN9rocsparseL41csrmvn_lrb_medium_rows_warp_reduce_kernelILj256ELj32Eli18rocsparse_bfloat16S1_ffEEvbT1_lPT2_S4_jNS_24const_host_device_scalarIT6_EEPKS2_PKS3_PKT3_PKT4_S7_PT5_21rocsparse_index_base_b
		.amdhsa_group_segment_fixed_size 0
		.amdhsa_private_segment_fixed_size 0
		.amdhsa_kernarg_size 112
		.amdhsa_user_sgpr_count 6
		.amdhsa_user_sgpr_private_segment_buffer 1
		.amdhsa_user_sgpr_dispatch_ptr 0
		.amdhsa_user_sgpr_queue_ptr 0
		.amdhsa_user_sgpr_kernarg_segment_ptr 1
		.amdhsa_user_sgpr_dispatch_id 0
		.amdhsa_user_sgpr_flat_scratch_init 0
		.amdhsa_user_sgpr_kernarg_preload_length 0
		.amdhsa_user_sgpr_kernarg_preload_offset 0
		.amdhsa_user_sgpr_private_segment_size 0
		.amdhsa_uses_dynamic_stack 0
		.amdhsa_system_sgpr_private_segment_wavefront_offset 0
		.amdhsa_system_sgpr_workgroup_id_x 1
		.amdhsa_system_sgpr_workgroup_id_y 0
		.amdhsa_system_sgpr_workgroup_id_z 0
		.amdhsa_system_sgpr_workgroup_info 0
		.amdhsa_system_vgpr_workitem_id 0
		.amdhsa_next_free_vgpr 17
		.amdhsa_next_free_sgpr 20
		.amdhsa_accum_offset 20
		.amdhsa_reserve_vcc 1
		.amdhsa_reserve_flat_scratch 0
		.amdhsa_float_round_mode_32 0
		.amdhsa_float_round_mode_16_64 0
		.amdhsa_float_denorm_mode_32 3
		.amdhsa_float_denorm_mode_16_64 3
		.amdhsa_dx10_clamp 1
		.amdhsa_ieee_mode 1
		.amdhsa_fp16_overflow 0
		.amdhsa_tg_split 0
		.amdhsa_exception_fp_ieee_invalid_op 0
		.amdhsa_exception_fp_denorm_src 0
		.amdhsa_exception_fp_ieee_div_zero 0
		.amdhsa_exception_fp_ieee_overflow 0
		.amdhsa_exception_fp_ieee_underflow 0
		.amdhsa_exception_fp_ieee_inexact 0
		.amdhsa_exception_int_div_zero 0
	.end_amdhsa_kernel
	.section	.text._ZN9rocsparseL41csrmvn_lrb_medium_rows_warp_reduce_kernelILj256ELj32Eli18rocsparse_bfloat16S1_ffEEvbT1_lPT2_S4_jNS_24const_host_device_scalarIT6_EEPKS2_PKS3_PKT3_PKT4_S7_PT5_21rocsparse_index_base_b,"axG",@progbits,_ZN9rocsparseL41csrmvn_lrb_medium_rows_warp_reduce_kernelILj256ELj32Eli18rocsparse_bfloat16S1_ffEEvbT1_lPT2_S4_jNS_24const_host_device_scalarIT6_EEPKS2_PKS3_PKT3_PKT4_S7_PT5_21rocsparse_index_base_b,comdat
.Lfunc_end142:
	.size	_ZN9rocsparseL41csrmvn_lrb_medium_rows_warp_reduce_kernelILj256ELj32Eli18rocsparse_bfloat16S1_ffEEvbT1_lPT2_S4_jNS_24const_host_device_scalarIT6_EEPKS2_PKS3_PKT3_PKT4_S7_PT5_21rocsparse_index_base_b, .Lfunc_end142-_ZN9rocsparseL41csrmvn_lrb_medium_rows_warp_reduce_kernelILj256ELj32Eli18rocsparse_bfloat16S1_ffEEvbT1_lPT2_S4_jNS_24const_host_device_scalarIT6_EEPKS2_PKS3_PKT3_PKT4_S7_PT5_21rocsparse_index_base_b
                                        ; -- End function
	.section	.AMDGPU.csdata,"",@progbits
; Kernel info:
; codeLenInByte = 704
; NumSgprs: 24
; NumVgprs: 17
; NumAgprs: 0
; TotalNumVgprs: 17
; ScratchSize: 0
; MemoryBound: 0
; FloatMode: 240
; IeeeMode: 1
; LDSByteSize: 0 bytes/workgroup (compile time only)
; SGPRBlocks: 2
; VGPRBlocks: 2
; NumSGPRsForWavesPerEU: 24
; NumVGPRsForWavesPerEU: 17
; AccumOffset: 20
; Occupancy: 8
; WaveLimiterHint : 1
; COMPUTE_PGM_RSRC2:SCRATCH_EN: 0
; COMPUTE_PGM_RSRC2:USER_SGPR: 6
; COMPUTE_PGM_RSRC2:TRAP_HANDLER: 0
; COMPUTE_PGM_RSRC2:TGID_X_EN: 1
; COMPUTE_PGM_RSRC2:TGID_Y_EN: 0
; COMPUTE_PGM_RSRC2:TGID_Z_EN: 0
; COMPUTE_PGM_RSRC2:TIDIG_COMP_CNT: 0
; COMPUTE_PGM_RSRC3_GFX90A:ACCUM_OFFSET: 4
; COMPUTE_PGM_RSRC3_GFX90A:TG_SPLIT: 0
	.section	.text._ZN9rocsparseL41csrmvn_lrb_medium_rows_warp_reduce_kernelILj256ELj64Eli18rocsparse_bfloat16S1_ffEEvbT1_lPT2_S4_jNS_24const_host_device_scalarIT6_EEPKS2_PKS3_PKT3_PKT4_S7_PT5_21rocsparse_index_base_b,"axG",@progbits,_ZN9rocsparseL41csrmvn_lrb_medium_rows_warp_reduce_kernelILj256ELj64Eli18rocsparse_bfloat16S1_ffEEvbT1_lPT2_S4_jNS_24const_host_device_scalarIT6_EEPKS2_PKS3_PKT3_PKT4_S7_PT5_21rocsparse_index_base_b,comdat
	.globl	_ZN9rocsparseL41csrmvn_lrb_medium_rows_warp_reduce_kernelILj256ELj64Eli18rocsparse_bfloat16S1_ffEEvbT1_lPT2_S4_jNS_24const_host_device_scalarIT6_EEPKS2_PKS3_PKT3_PKT4_S7_PT5_21rocsparse_index_base_b ; -- Begin function _ZN9rocsparseL41csrmvn_lrb_medium_rows_warp_reduce_kernelILj256ELj64Eli18rocsparse_bfloat16S1_ffEEvbT1_lPT2_S4_jNS_24const_host_device_scalarIT6_EEPKS2_PKS3_PKT3_PKT4_S7_PT5_21rocsparse_index_base_b
	.p2align	8
	.type	_ZN9rocsparseL41csrmvn_lrb_medium_rows_warp_reduce_kernelILj256ELj64Eli18rocsparse_bfloat16S1_ffEEvbT1_lPT2_S4_jNS_24const_host_device_scalarIT6_EEPKS2_PKS3_PKT3_PKT4_S7_PT5_21rocsparse_index_base_b,@function
_ZN9rocsparseL41csrmvn_lrb_medium_rows_warp_reduce_kernelILj256ELj64Eli18rocsparse_bfloat16S1_ffEEvbT1_lPT2_S4_jNS_24const_host_device_scalarIT6_EEPKS2_PKS3_PKT3_PKT4_S7_PT5_21rocsparse_index_base_b: ; @_ZN9rocsparseL41csrmvn_lrb_medium_rows_warp_reduce_kernelILj256ELj64Eli18rocsparse_bfloat16S1_ffEEvbT1_lPT2_S4_jNS_24const_host_device_scalarIT6_EEPKS2_PKS3_PKT3_PKT4_S7_PT5_21rocsparse_index_base_b
; %bb.0:
	s_load_dwordx2 s[8:9], s[4:5], 0x68
	s_load_dwordx2 s[10:11], s[4:5], 0x30
	;; [unrolled: 1-line block ×3, first 2 shown]
	s_waitcnt lgkmcnt(0)
	s_bitcmp1_b32 s9, 0
	s_cselect_b64 s[12:13], -1, 0
	s_xor_b64 s[0:1], s[12:13], -1
	s_and_b64 vcc, exec, s[12:13]
	s_cbranch_vccnz .LBB143_2
; %bb.1:
	s_load_dword s10, s[10:11], 0x0
.LBB143_2:
	s_andn2_b64 vcc, exec, s[0:1]
	s_cbranch_vccnz .LBB143_4
; %bb.3:
	s_load_dword s2, s[2:3], 0x0
.LBB143_4:
	s_waitcnt lgkmcnt(0)
	v_cmp_neq_f32_e64 s[0:1], s10, 0
	v_cmp_neq_f32_e64 s[12:13], s2, 1.0
	s_or_b64 s[0:1], s[0:1], s[12:13]
	s_andn2_b64 vcc, exec, s[0:1]
	s_cbranch_vccnz .LBB143_14
; %bb.5:
	s_load_dwordx2 s[0:1], s[4:5], 0x10
	v_lshrrev_b32_e32 v1, 6, v0
	v_lshl_or_b32 v2, s6, 2, v1
	v_ashrrev_i32_e32 v3, 31, v2
	s_waitcnt lgkmcnt(0)
	v_cmp_gt_i64_e32 vcc, s[0:1], v[2:3]
	s_and_saveexec_b64 s[0:1], vcc
	s_cbranch_execz .LBB143_14
; %bb.6:
	s_load_dword s0, s[4:5], 0x28
	s_load_dwordx4 s[12:15], s[4:5], 0x18
	s_mov_b32 s1, 0
	v_and_b32_e32 v10, 63, v0
	v_mov_b32_e32 v11, 0
	s_waitcnt lgkmcnt(0)
	s_lshl_b64 s[0:1], s[0:1], 2
	s_add_u32 s0, s14, s0
	s_addc_u32 s1, s15, s1
	s_load_dword s0, s[0:1], 0x0
	v_mov_b32_e32 v1, s13
	s_load_dwordx2 s[6:7], s[4:5], 0x60
	s_waitcnt lgkmcnt(0)
	v_add_u32_e32 v2, s0, v2
	v_ashrrev_i32_e32 v3, 31, v2
	v_lshlrev_b64 v[2:3], 2, v[2:3]
	v_add_co_u32_e32 v2, vcc, s12, v2
	v_addc_co_u32_e32 v3, vcc, v1, v3, vcc
	global_load_dword v2, v[2:3], off
	s_load_dwordx2 s[0:1], s[4:5], 0x38
	s_waitcnt lgkmcnt(0)
	v_mov_b32_e32 v1, s1
	s_waitcnt vmcnt(0)
	v_ashrrev_i32_e32 v3, 31, v2
	v_lshlrev_b64 v[4:5], 3, v[2:3]
	v_add_co_u32_e32 v4, vcc, s0, v4
	v_addc_co_u32_e32 v5, vcc, v1, v5, vcc
	global_load_dwordx4 v[4:7], v[4:5], off
	v_subrev_co_u32_e32 v8, vcc, s8, v10
	v_subb_co_u32_e64 v9, s[0:1], 0, 0, vcc
	s_waitcnt vmcnt(0)
	v_subrev_co_u32_e32 v0, vcc, s8, v6
	v_subbrev_co_u32_e32 v1, vcc, 0, v7, vcc
	v_add_co_u32_e32 v4, vcc, v4, v8
	v_addc_co_u32_e32 v5, vcc, v5, v9, vcc
	v_cmp_lt_i64_e32 vcc, v[4:5], v[0:1]
	s_and_saveexec_b64 s[12:13], vcc
	s_cbranch_execz .LBB143_10
; %bb.7:
	s_load_dwordx4 s[16:19], s[4:5], 0x40
	s_load_dwordx2 s[14:15], s[4:5], 0x50
	v_lshlrev_b64 v[6:7], 1, v[4:5]
	s_mov_b64 s[4:5], 0
	s_waitcnt lgkmcnt(0)
	v_mov_b32_e32 v8, s19
	v_add_co_u32_e32 v6, vcc, s18, v6
	v_addc_co_u32_e32 v7, vcc, v8, v7, vcc
	v_lshlrev_b64 v[8:9], 2, v[4:5]
	v_mov_b32_e32 v11, s17
	v_add_co_u32_e32 v8, vcc, s16, v8
	v_addc_co_u32_e32 v9, vcc, v11, v9, vcc
	v_mov_b32_e32 v11, 0
	v_mov_b32_e32 v12, s15
.LBB143_8:                              ; =>This Inner Loop Header: Depth=1
	global_load_dword v13, v[8:9], off
	global_load_ushort v16, v[6:7], off
	s_waitcnt vmcnt(1)
	v_subrev_u32_e32 v14, s8, v13
	v_ashrrev_i32_e32 v15, 31, v14
	v_lshlrev_b64 v[14:15], 1, v[14:15]
	v_add_co_u32_e32 v14, vcc, s14, v14
	v_addc_co_u32_e32 v15, vcc, v12, v15, vcc
	global_load_ushort v13, v[14:15], off
	v_add_co_u32_e32 v4, vcc, 64, v4
	v_addc_co_u32_e32 v5, vcc, 0, v5, vcc
	v_add_co_u32_e32 v6, vcc, 0x80, v6
	v_addc_co_u32_e32 v7, vcc, 0, v7, vcc
	s_waitcnt vmcnt(1)
	v_lshlrev_b32_e32 v14, 16, v16
	v_add_co_u32_e32 v8, vcc, 0x100, v8
	v_cmp_ge_i64_e64 s[0:1], v[4:5], v[0:1]
	v_mul_f32_e32 v14, s10, v14
	v_addc_co_u32_e32 v9, vcc, 0, v9, vcc
	s_or_b64 s[4:5], s[0:1], s[4:5]
	s_waitcnt vmcnt(0)
	v_lshlrev_b32_e32 v13, 16, v13
	v_fmac_f32_e32 v11, v14, v13
	s_andn2_b64 exec, exec, s[4:5]
	s_cbranch_execnz .LBB143_8
; %bb.9:
	s_or_b64 exec, exec, s[4:5]
.LBB143_10:
	s_or_b64 exec, exec, s[12:13]
	v_mov_b32_dpp v0, v11 row_shr:1 row_mask:0xf bank_mask:0xf
	v_add_f32_e32 v0, v11, v0
	v_cmp_eq_u32_e32 vcc, 63, v10
	s_nop 0
	v_mov_b32_dpp v1, v0 row_shr:2 row_mask:0xf bank_mask:0xf
	v_add_f32_e32 v0, v0, v1
	s_nop 1
	v_mov_b32_dpp v1, v0 row_shr:4 row_mask:0xf bank_mask:0xe
	v_add_f32_e32 v0, v0, v1
	;; [unrolled: 3-line block ×3, first 2 shown]
	s_nop 1
	v_mov_b32_dpp v1, v0 row_bcast:15 row_mask:0xa bank_mask:0xf
	v_add_f32_e32 v0, v0, v1
	s_nop 1
	v_mov_b32_dpp v1, v0 row_bcast:31 row_mask:0xc bank_mask:0xf
	s_and_b64 exec, exec, vcc
	s_cbranch_execz .LBB143_14
; %bb.11:
	v_cmp_eq_f32_e64 s[0:1], s2, 0
	v_add_f32_e32 v4, v0, v1
	s_and_b64 vcc, exec, s[0:1]
	v_lshlrev_b64 v[0:1], 2, v[2:3]
	s_cbranch_vccnz .LBB143_13
; %bb.12:
	v_mov_b32_e32 v3, s7
	v_add_co_u32_e32 v2, vcc, s6, v0
	v_addc_co_u32_e32 v3, vcc, v3, v1, vcc
	global_load_dword v2, v[2:3], off
	s_waitcnt vmcnt(0)
	v_fmac_f32_e32 v4, s2, v2
.LBB143_13:
	v_mov_b32_e32 v2, s7
	v_add_co_u32_e32 v0, vcc, s6, v0
	v_addc_co_u32_e32 v1, vcc, v2, v1, vcc
	global_store_dword v[0:1], v4, off
.LBB143_14:
	s_endpgm
	.section	.rodata,"a",@progbits
	.p2align	6, 0x0
	.amdhsa_kernel _ZN9rocsparseL41csrmvn_lrb_medium_rows_warp_reduce_kernelILj256ELj64Eli18rocsparse_bfloat16S1_ffEEvbT1_lPT2_S4_jNS_24const_host_device_scalarIT6_EEPKS2_PKS3_PKT3_PKT4_S7_PT5_21rocsparse_index_base_b
		.amdhsa_group_segment_fixed_size 0
		.amdhsa_private_segment_fixed_size 0
		.amdhsa_kernarg_size 112
		.amdhsa_user_sgpr_count 6
		.amdhsa_user_sgpr_private_segment_buffer 1
		.amdhsa_user_sgpr_dispatch_ptr 0
		.amdhsa_user_sgpr_queue_ptr 0
		.amdhsa_user_sgpr_kernarg_segment_ptr 1
		.amdhsa_user_sgpr_dispatch_id 0
		.amdhsa_user_sgpr_flat_scratch_init 0
		.amdhsa_user_sgpr_kernarg_preload_length 0
		.amdhsa_user_sgpr_kernarg_preload_offset 0
		.amdhsa_user_sgpr_private_segment_size 0
		.amdhsa_uses_dynamic_stack 0
		.amdhsa_system_sgpr_private_segment_wavefront_offset 0
		.amdhsa_system_sgpr_workgroup_id_x 1
		.amdhsa_system_sgpr_workgroup_id_y 0
		.amdhsa_system_sgpr_workgroup_id_z 0
		.amdhsa_system_sgpr_workgroup_info 0
		.amdhsa_system_vgpr_workitem_id 0
		.amdhsa_next_free_vgpr 17
		.amdhsa_next_free_sgpr 20
		.amdhsa_accum_offset 20
		.amdhsa_reserve_vcc 1
		.amdhsa_reserve_flat_scratch 0
		.amdhsa_float_round_mode_32 0
		.amdhsa_float_round_mode_16_64 0
		.amdhsa_float_denorm_mode_32 3
		.amdhsa_float_denorm_mode_16_64 3
		.amdhsa_dx10_clamp 1
		.amdhsa_ieee_mode 1
		.amdhsa_fp16_overflow 0
		.amdhsa_tg_split 0
		.amdhsa_exception_fp_ieee_invalid_op 0
		.amdhsa_exception_fp_denorm_src 0
		.amdhsa_exception_fp_ieee_div_zero 0
		.amdhsa_exception_fp_ieee_overflow 0
		.amdhsa_exception_fp_ieee_underflow 0
		.amdhsa_exception_fp_ieee_inexact 0
		.amdhsa_exception_int_div_zero 0
	.end_amdhsa_kernel
	.section	.text._ZN9rocsparseL41csrmvn_lrb_medium_rows_warp_reduce_kernelILj256ELj64Eli18rocsparse_bfloat16S1_ffEEvbT1_lPT2_S4_jNS_24const_host_device_scalarIT6_EEPKS2_PKS3_PKT3_PKT4_S7_PT5_21rocsparse_index_base_b,"axG",@progbits,_ZN9rocsparseL41csrmvn_lrb_medium_rows_warp_reduce_kernelILj256ELj64Eli18rocsparse_bfloat16S1_ffEEvbT1_lPT2_S4_jNS_24const_host_device_scalarIT6_EEPKS2_PKS3_PKT3_PKT4_S7_PT5_21rocsparse_index_base_b,comdat
.Lfunc_end143:
	.size	_ZN9rocsparseL41csrmvn_lrb_medium_rows_warp_reduce_kernelILj256ELj64Eli18rocsparse_bfloat16S1_ffEEvbT1_lPT2_S4_jNS_24const_host_device_scalarIT6_EEPKS2_PKS3_PKT3_PKT4_S7_PT5_21rocsparse_index_base_b, .Lfunc_end143-_ZN9rocsparseL41csrmvn_lrb_medium_rows_warp_reduce_kernelILj256ELj64Eli18rocsparse_bfloat16S1_ffEEvbT1_lPT2_S4_jNS_24const_host_device_scalarIT6_EEPKS2_PKS3_PKT3_PKT4_S7_PT5_21rocsparse_index_base_b
                                        ; -- End function
	.section	.AMDGPU.csdata,"",@progbits
; Kernel info:
; codeLenInByte = 724
; NumSgprs: 24
; NumVgprs: 17
; NumAgprs: 0
; TotalNumVgprs: 17
; ScratchSize: 0
; MemoryBound: 0
; FloatMode: 240
; IeeeMode: 1
; LDSByteSize: 0 bytes/workgroup (compile time only)
; SGPRBlocks: 2
; VGPRBlocks: 2
; NumSGPRsForWavesPerEU: 24
; NumVGPRsForWavesPerEU: 17
; AccumOffset: 20
; Occupancy: 8
; WaveLimiterHint : 1
; COMPUTE_PGM_RSRC2:SCRATCH_EN: 0
; COMPUTE_PGM_RSRC2:USER_SGPR: 6
; COMPUTE_PGM_RSRC2:TRAP_HANDLER: 0
; COMPUTE_PGM_RSRC2:TGID_X_EN: 1
; COMPUTE_PGM_RSRC2:TGID_Y_EN: 0
; COMPUTE_PGM_RSRC2:TGID_Z_EN: 0
; COMPUTE_PGM_RSRC2:TIDIG_COMP_CNT: 0
; COMPUTE_PGM_RSRC3_GFX90A:ACCUM_OFFSET: 4
; COMPUTE_PGM_RSRC3_GFX90A:TG_SPLIT: 0
	.section	.text._ZN9rocsparseL29csrmvn_lrb_medium_rows_kernelILj256Eli18rocsparse_bfloat16S1_ffEEvbT0_PT1_S4_jNS_24const_host_device_scalarIT5_EEPKS2_PKS3_PKT2_PKT3_S7_PT4_21rocsparse_index_base_b,"axG",@progbits,_ZN9rocsparseL29csrmvn_lrb_medium_rows_kernelILj256Eli18rocsparse_bfloat16S1_ffEEvbT0_PT1_S4_jNS_24const_host_device_scalarIT5_EEPKS2_PKS3_PKT2_PKT3_S7_PT4_21rocsparse_index_base_b,comdat
	.globl	_ZN9rocsparseL29csrmvn_lrb_medium_rows_kernelILj256Eli18rocsparse_bfloat16S1_ffEEvbT0_PT1_S4_jNS_24const_host_device_scalarIT5_EEPKS2_PKS3_PKT2_PKT3_S7_PT4_21rocsparse_index_base_b ; -- Begin function _ZN9rocsparseL29csrmvn_lrb_medium_rows_kernelILj256Eli18rocsparse_bfloat16S1_ffEEvbT0_PT1_S4_jNS_24const_host_device_scalarIT5_EEPKS2_PKS3_PKT2_PKT3_S7_PT4_21rocsparse_index_base_b
	.p2align	8
	.type	_ZN9rocsparseL29csrmvn_lrb_medium_rows_kernelILj256Eli18rocsparse_bfloat16S1_ffEEvbT0_PT1_S4_jNS_24const_host_device_scalarIT5_EEPKS2_PKS3_PKT2_PKT3_S7_PT4_21rocsparse_index_base_b,@function
_ZN9rocsparseL29csrmvn_lrb_medium_rows_kernelILj256Eli18rocsparse_bfloat16S1_ffEEvbT0_PT1_S4_jNS_24const_host_device_scalarIT5_EEPKS2_PKS3_PKT2_PKT3_S7_PT4_21rocsparse_index_base_b: ; @_ZN9rocsparseL29csrmvn_lrb_medium_rows_kernelILj256Eli18rocsparse_bfloat16S1_ffEEvbT0_PT1_S4_jNS_24const_host_device_scalarIT5_EEPKS2_PKS3_PKT2_PKT3_S7_PT4_21rocsparse_index_base_b
; %bb.0:
	s_load_dwordx2 s[10:11], s[4:5], 0x60
	s_load_dwordx2 s[12:13], s[4:5], 0x28
	;; [unrolled: 1-line block ×3, first 2 shown]
	s_waitcnt lgkmcnt(0)
	s_bitcmp1_b32 s11, 0
	s_cselect_b64 s[8:9], -1, 0
	s_xor_b64 s[0:1], s[8:9], -1
	s_and_b64 vcc, exec, s[8:9]
	s_cbranch_vccnz .LBB144_2
; %bb.1:
	s_load_dword s12, s[12:13], 0x0
.LBB144_2:
	s_andn2_b64 vcc, exec, s[0:1]
	s_cbranch_vccnz .LBB144_4
; %bb.3:
	s_load_dword s2, s[2:3], 0x0
.LBB144_4:
	s_waitcnt lgkmcnt(0)
	v_cmp_neq_f32_e64 s[0:1], s12, 0
	v_cmp_neq_f32_e64 s[8:9], s2, 1.0
	s_or_b64 s[0:1], s[0:1], s[8:9]
	s_andn2_b64 vcc, exec, s[0:1]
	s_mov_b32 s1, 0
	s_cbranch_vccnz .LBB144_29
; %bb.5:
	s_load_dword s0, s[4:5], 0x20
	s_load_dwordx4 s[16:19], s[4:5], 0x10
	v_subrev_co_u32_e32 v1, vcc, s10, v0
	v_mov_b32_e32 v8, 0
	s_waitcnt lgkmcnt(0)
	s_lshl_b64 s[0:1], s[0:1], 2
	s_add_u32 s0, s18, s0
	s_addc_u32 s1, s19, s1
	s_load_dword s0, s[0:1], 0x0
	s_waitcnt lgkmcnt(0)
	s_add_i32 s0, s0, s6
	s_ashr_i32 s1, s0, 31
	s_lshl_b64 s[0:1], s[0:1], 2
	s_add_u32 s0, s16, s0
	s_addc_u32 s1, s17, s1
	s_load_dword s8, s[0:1], 0x0
	s_load_dwordx2 s[14:15], s[4:5], 0x30
	s_load_dwordx2 s[6:7], s[4:5], 0x58
	s_waitcnt lgkmcnt(0)
	s_ashr_i32 s9, s8, 31
	s_lshl_b64 s[0:1], s[8:9], 3
	s_add_u32 s0, s14, s0
	s_addc_u32 s1, s15, s1
	s_load_dwordx4 s[16:19], s[0:1], 0x0
	v_subb_co_u32_e64 v3, s[0:1], 0, 0, vcc
	s_waitcnt lgkmcnt(0)
	s_sub_u32 s14, s18, s10
	v_mov_b32_e32 v4, s17
	v_add_co_u32_e32 v2, vcc, s16, v1
	s_subb_u32 s15, s19, 0
	v_addc_co_u32_e32 v3, vcc, v4, v3, vcc
	v_cmp_gt_i64_e32 vcc, s[14:15], v[2:3]
	s_and_saveexec_b64 s[16:17], vcc
	s_cbranch_execz .LBB144_9
; %bb.6:
	s_load_dwordx4 s[20:23], s[4:5], 0x38
	s_load_dwordx2 s[18:19], s[4:5], 0x48
	v_lshlrev_b64 v[4:5], 1, v[2:3]
	v_lshlrev_b64 v[6:7], 2, v[2:3]
	s_mov_b64 s[4:5], 0
	s_waitcnt lgkmcnt(0)
	v_mov_b32_e32 v1, s23
	v_add_co_u32_e32 v4, vcc, s22, v4
	v_addc_co_u32_e32 v5, vcc, v1, v5, vcc
	v_mov_b32_e32 v1, s21
	v_add_co_u32_e32 v6, vcc, s20, v6
	v_addc_co_u32_e32 v7, vcc, v1, v7, vcc
	v_mov_b32_e32 v8, 0
	v_mov_b32_e32 v1, s19
	s_movk_i32 s3, 0x100
.LBB144_7:                              ; =>This Inner Loop Header: Depth=1
	global_load_dword v9, v[6:7], off
	global_load_ushort v12, v[4:5], off
	s_waitcnt vmcnt(1)
	v_subrev_u32_e32 v10, s10, v9
	v_ashrrev_i32_e32 v11, 31, v10
	v_lshlrev_b64 v[10:11], 1, v[10:11]
	v_add_co_u32_e32 v10, vcc, s18, v10
	v_addc_co_u32_e32 v11, vcc, v1, v11, vcc
	global_load_ushort v9, v[10:11], off
	v_add_co_u32_e32 v2, vcc, s3, v2
	v_addc_co_u32_e32 v3, vcc, 0, v3, vcc
	v_add_co_u32_e32 v4, vcc, 0x200, v4
	v_addc_co_u32_e32 v5, vcc, 0, v5, vcc
	s_waitcnt vmcnt(1)
	v_lshlrev_b32_e32 v10, 16, v12
	v_add_co_u32_e32 v6, vcc, 0x400, v6
	v_cmp_le_i64_e64 s[0:1], s[14:15], v[2:3]
	v_mul_f32_e32 v10, s12, v10
	v_addc_co_u32_e32 v7, vcc, 0, v7, vcc
	s_or_b64 s[4:5], s[0:1], s[4:5]
	s_waitcnt vmcnt(0)
	v_lshlrev_b32_e32 v9, 16, v9
	v_fmac_f32_e32 v8, v10, v9
	s_andn2_b64 exec, exec, s[4:5]
	s_cbranch_execnz .LBB144_7
; %bb.8:
	s_or_b64 exec, exec, s[4:5]
.LBB144_9:
	s_or_b64 exec, exec, s[16:17]
	s_movk_i32 s0, 0x80
	v_lshlrev_b32_e32 v1, 2, v0
	v_cmp_gt_u32_e32 vcc, s0, v0
	ds_write_b32 v1, v8
	s_waitcnt lgkmcnt(0)
	s_barrier
	s_and_saveexec_b64 s[0:1], vcc
	s_cbranch_execz .LBB144_11
; %bb.10:
	ds_read2st64_b32 v[2:3], v1 offset1:2
	s_waitcnt lgkmcnt(0)
	v_add_f32_e32 v2, v2, v3
	ds_write_b32 v1, v2
.LBB144_11:
	s_or_b64 exec, exec, s[0:1]
	v_cmp_gt_u32_e32 vcc, 64, v0
	s_waitcnt lgkmcnt(0)
	s_barrier
	s_and_saveexec_b64 s[0:1], vcc
	s_cbranch_execz .LBB144_13
; %bb.12:
	ds_read2st64_b32 v[2:3], v1 offset1:1
	s_waitcnt lgkmcnt(0)
	v_add_f32_e32 v2, v2, v3
	ds_write_b32 v1, v2
.LBB144_13:
	s_or_b64 exec, exec, s[0:1]
	v_cmp_gt_u32_e32 vcc, 32, v0
	s_waitcnt lgkmcnt(0)
	s_barrier
	s_and_saveexec_b64 s[0:1], vcc
	s_cbranch_execz .LBB144_15
; %bb.14:
	ds_read2_b32 v[2:3], v1 offset1:32
	s_waitcnt lgkmcnt(0)
	v_add_f32_e32 v2, v2, v3
	ds_write_b32 v1, v2
.LBB144_15:
	s_or_b64 exec, exec, s[0:1]
	v_cmp_gt_u32_e32 vcc, 16, v0
	s_waitcnt lgkmcnt(0)
	s_barrier
	s_and_saveexec_b64 s[0:1], vcc
	s_cbranch_execz .LBB144_17
; %bb.16:
	ds_read2_b32 v[2:3], v1 offset1:16
	s_waitcnt lgkmcnt(0)
	v_add_f32_e32 v2, v2, v3
	ds_write_b32 v1, v2
.LBB144_17:
	;; [unrolled: 12-line block ×5, first 2 shown]
	s_or_b64 exec, exec, s[0:1]
	v_cmp_eq_u32_e32 vcc, 0, v0
	s_waitcnt lgkmcnt(0)
	s_barrier
	s_and_saveexec_b64 s[0:1], vcc
	s_cbranch_execz .LBB144_25
; %bb.24:
	v_mov_b32_e32 v2, 0
	ds_read_b64 v[0:1], v2
	s_waitcnt lgkmcnt(0)
	v_add_f32_e32 v0, v0, v1
	ds_write_b32 v2, v0
.LBB144_25:
	s_or_b64 exec, exec, s[0:1]
	s_waitcnt lgkmcnt(0)
	s_barrier
	s_and_saveexec_b64 s[0:1], vcc
	s_cbranch_execz .LBB144_29
; %bb.26:
	v_mov_b32_e32 v0, 0
	ds_read_b32 v1, v0
	v_cmp_eq_f32_e64 s[0:1], s2, 0
	s_and_b64 vcc, exec, s[0:1]
	s_cbranch_vccnz .LBB144_28
; %bb.27:
	s_lshl_b64 s[0:1], s[8:9], 2
	s_add_u32 s0, s6, s0
	s_addc_u32 s1, s7, s1
	s_load_dword s0, s[0:1], 0x0
	s_waitcnt lgkmcnt(0)
	v_mov_b32_e32 v2, s0
	v_fmac_f32_e32 v1, s2, v2
.LBB144_28:
	s_lshl_b64 s[0:1], s[8:9], 2
	s_add_u32 s0, s6, s0
	s_addc_u32 s1, s7, s1
	s_waitcnt lgkmcnt(0)
	global_store_dword v0, v1, s[0:1]
.LBB144_29:
	s_endpgm
	.section	.rodata,"a",@progbits
	.p2align	6, 0x0
	.amdhsa_kernel _ZN9rocsparseL29csrmvn_lrb_medium_rows_kernelILj256Eli18rocsparse_bfloat16S1_ffEEvbT0_PT1_S4_jNS_24const_host_device_scalarIT5_EEPKS2_PKS3_PKT2_PKT3_S7_PT4_21rocsparse_index_base_b
		.amdhsa_group_segment_fixed_size 1024
		.amdhsa_private_segment_fixed_size 0
		.amdhsa_kernarg_size 104
		.amdhsa_user_sgpr_count 6
		.amdhsa_user_sgpr_private_segment_buffer 1
		.amdhsa_user_sgpr_dispatch_ptr 0
		.amdhsa_user_sgpr_queue_ptr 0
		.amdhsa_user_sgpr_kernarg_segment_ptr 1
		.amdhsa_user_sgpr_dispatch_id 0
		.amdhsa_user_sgpr_flat_scratch_init 0
		.amdhsa_user_sgpr_kernarg_preload_length 0
		.amdhsa_user_sgpr_kernarg_preload_offset 0
		.amdhsa_user_sgpr_private_segment_size 0
		.amdhsa_uses_dynamic_stack 0
		.amdhsa_system_sgpr_private_segment_wavefront_offset 0
		.amdhsa_system_sgpr_workgroup_id_x 1
		.amdhsa_system_sgpr_workgroup_id_y 0
		.amdhsa_system_sgpr_workgroup_id_z 0
		.amdhsa_system_sgpr_workgroup_info 0
		.amdhsa_system_vgpr_workitem_id 0
		.amdhsa_next_free_vgpr 13
		.amdhsa_next_free_sgpr 24
		.amdhsa_accum_offset 16
		.amdhsa_reserve_vcc 1
		.amdhsa_reserve_flat_scratch 0
		.amdhsa_float_round_mode_32 0
		.amdhsa_float_round_mode_16_64 0
		.amdhsa_float_denorm_mode_32 3
		.amdhsa_float_denorm_mode_16_64 3
		.amdhsa_dx10_clamp 1
		.amdhsa_ieee_mode 1
		.amdhsa_fp16_overflow 0
		.amdhsa_tg_split 0
		.amdhsa_exception_fp_ieee_invalid_op 0
		.amdhsa_exception_fp_denorm_src 0
		.amdhsa_exception_fp_ieee_div_zero 0
		.amdhsa_exception_fp_ieee_overflow 0
		.amdhsa_exception_fp_ieee_underflow 0
		.amdhsa_exception_fp_ieee_inexact 0
		.amdhsa_exception_int_div_zero 0
	.end_amdhsa_kernel
	.section	.text._ZN9rocsparseL29csrmvn_lrb_medium_rows_kernelILj256Eli18rocsparse_bfloat16S1_ffEEvbT0_PT1_S4_jNS_24const_host_device_scalarIT5_EEPKS2_PKS3_PKT2_PKT3_S7_PT4_21rocsparse_index_base_b,"axG",@progbits,_ZN9rocsparseL29csrmvn_lrb_medium_rows_kernelILj256Eli18rocsparse_bfloat16S1_ffEEvbT0_PT1_S4_jNS_24const_host_device_scalarIT5_EEPKS2_PKS3_PKT2_PKT3_S7_PT4_21rocsparse_index_base_b,comdat
.Lfunc_end144:
	.size	_ZN9rocsparseL29csrmvn_lrb_medium_rows_kernelILj256Eli18rocsparse_bfloat16S1_ffEEvbT0_PT1_S4_jNS_24const_host_device_scalarIT5_EEPKS2_PKS3_PKT2_PKT3_S7_PT4_21rocsparse_index_base_b, .Lfunc_end144-_ZN9rocsparseL29csrmvn_lrb_medium_rows_kernelILj256Eli18rocsparse_bfloat16S1_ffEEvbT0_PT1_S4_jNS_24const_host_device_scalarIT5_EEPKS2_PKS3_PKT2_PKT3_S7_PT4_21rocsparse_index_base_b
                                        ; -- End function
	.section	.AMDGPU.csdata,"",@progbits
; Kernel info:
; codeLenInByte = 996
; NumSgprs: 28
; NumVgprs: 13
; NumAgprs: 0
; TotalNumVgprs: 13
; ScratchSize: 0
; MemoryBound: 0
; FloatMode: 240
; IeeeMode: 1
; LDSByteSize: 1024 bytes/workgroup (compile time only)
; SGPRBlocks: 3
; VGPRBlocks: 1
; NumSGPRsForWavesPerEU: 28
; NumVGPRsForWavesPerEU: 13
; AccumOffset: 16
; Occupancy: 8
; WaveLimiterHint : 1
; COMPUTE_PGM_RSRC2:SCRATCH_EN: 0
; COMPUTE_PGM_RSRC2:USER_SGPR: 6
; COMPUTE_PGM_RSRC2:TRAP_HANDLER: 0
; COMPUTE_PGM_RSRC2:TGID_X_EN: 1
; COMPUTE_PGM_RSRC2:TGID_Y_EN: 0
; COMPUTE_PGM_RSRC2:TGID_Z_EN: 0
; COMPUTE_PGM_RSRC2:TIDIG_COMP_CNT: 0
; COMPUTE_PGM_RSRC3_GFX90A:ACCUM_OFFSET: 3
; COMPUTE_PGM_RSRC3_GFX90A:TG_SPLIT: 0
	.section	.text._ZN9rocsparseL27csrmvn_lrb_long_rows_kernelIli18rocsparse_bfloat16S1_ffEEvbT_PjPT0_S5_jNS_24const_host_device_scalarIT4_EEPKS2_PKS4_PKT1_PKT2_S8_PT3_21rocsparse_index_base_b,"axG",@progbits,_ZN9rocsparseL27csrmvn_lrb_long_rows_kernelIli18rocsparse_bfloat16S1_ffEEvbT_PjPT0_S5_jNS_24const_host_device_scalarIT4_EEPKS2_PKS4_PKT1_PKT2_S8_PT3_21rocsparse_index_base_b,comdat
	.globl	_ZN9rocsparseL27csrmvn_lrb_long_rows_kernelIli18rocsparse_bfloat16S1_ffEEvbT_PjPT0_S5_jNS_24const_host_device_scalarIT4_EEPKS2_PKS4_PKT1_PKT2_S8_PT3_21rocsparse_index_base_b ; -- Begin function _ZN9rocsparseL27csrmvn_lrb_long_rows_kernelIli18rocsparse_bfloat16S1_ffEEvbT_PjPT0_S5_jNS_24const_host_device_scalarIT4_EEPKS2_PKS4_PKT1_PKT2_S8_PT3_21rocsparse_index_base_b
	.p2align	8
	.type	_ZN9rocsparseL27csrmvn_lrb_long_rows_kernelIli18rocsparse_bfloat16S1_ffEEvbT_PjPT0_S5_jNS_24const_host_device_scalarIT4_EEPKS2_PKS4_PKT1_PKT2_S8_PT3_21rocsparse_index_base_b,@function
_ZN9rocsparseL27csrmvn_lrb_long_rows_kernelIli18rocsparse_bfloat16S1_ffEEvbT_PjPT0_S5_jNS_24const_host_device_scalarIT4_EEPKS2_PKS4_PKT1_PKT2_S8_PT3_21rocsparse_index_base_b: ; @_ZN9rocsparseL27csrmvn_lrb_long_rows_kernelIli18rocsparse_bfloat16S1_ffEEvbT_PjPT0_S5_jNS_24const_host_device_scalarIT4_EEPKS2_PKS4_PKT1_PKT2_S8_PT3_21rocsparse_index_base_b
; %bb.0:
	s_load_dwordx2 s[16:17], s[4:5], 0x68
	s_load_dwordx2 s[18:19], s[4:5], 0x30
	;; [unrolled: 1-line block ×3, first 2 shown]
	s_waitcnt lgkmcnt(0)
	s_bitcmp1_b32 s17, 0
	s_cselect_b64 s[2:3], -1, 0
	s_xor_b64 s[0:1], s[2:3], -1
	s_and_b64 vcc, exec, s[2:3]
	s_cbranch_vccnz .LBB145_2
; %bb.1:
	s_load_dword s18, s[18:19], 0x0
.LBB145_2:
	s_andn2_b64 vcc, exec, s[0:1]
	s_cbranch_vccnz .LBB145_4
; %bb.3:
	s_load_dword s20, s[20:21], 0x0
.LBB145_4:
	s_waitcnt lgkmcnt(0)
	v_cmp_neq_f32_e64 s[0:1], s18, 0
	v_cmp_neq_f32_e64 s[2:3], s20, 1.0
	s_or_b64 s[0:1], s[0:1], s[2:3]
	s_andn2_b64 vcc, exec, s[0:1]
	s_mov_b32 s1, 0
	s_cbranch_vccnz .LBB145_39
; %bb.5:
	s_load_dword s0, s[4:5], 0x28
	s_load_dwordx2 s[2:3], s[4:5], 0x20
	s_waitcnt lgkmcnt(0)
	s_lshl_b64 s[8:9], s[0:1], 2
	s_add_u32 s2, s2, s8
	s_addc_u32 s3, s3, s9
	s_lshl_b32 s0, -1, s0
	s_not_b32 s0, s0
	s_mul_hi_u32 s0, s0, 0x2aaaaaab
	s_lshr_b32 s0, s0, 7
	s_add_i32 s1, s0, 1
	v_cvt_f32_u32_e32 v1, s1
	s_load_dwordx4 s[8:11], s[4:5], 0x10
	s_load_dword s7, s[2:3], 0x0
	s_not_b32 s0, s0
	v_rcp_iflag_f32_e32 v1, v1
	v_mul_f32_e32 v1, 0x4f7ffffe, v1
	v_cvt_u32_f32_e32 v1, v1
	v_readfirstlane_b32 s2, v1
	s_mul_i32 s0, s0, s2
	s_mul_hi_u32 s0, s2, s0
	s_add_i32 s2, s2, s0
	s_mul_hi_u32 s0, s6, s2
	s_mul_i32 s2, s0, s1
	s_sub_i32 s2, s6, s2
	s_add_i32 s3, s0, 1
	s_sub_i32 s12, s2, s1
	s_cmp_ge_u32 s2, s1
	s_cselect_b32 s0, s3, s0
	s_cselect_b32 s2, s12, s2
	s_add_i32 s3, s0, 1
	s_cmp_ge_u32 s2, s1
	s_cselect_b32 s0, s3, s0
	s_mul_i32 s14, s0, s1
	s_waitcnt lgkmcnt(0)
	s_add_i32 s0, s0, s7
	s_ashr_i32 s1, s0, 31
	s_sub_i32 s19, s6, s14
	s_lshl_b64 s[0:1], s[0:1], 2
	s_add_u32 s0, s10, s0
	s_addc_u32 s1, s11, s1
	s_load_dword s12, s[0:1], 0x0
	s_load_dwordx2 s[2:3], s[4:5], 0x38
	s_load_dwordx2 s[10:11], s[4:5], 0x60
	v_or_b32_e32 v1, s19, v0
	v_cmp_eq_u32_e32 vcc, 0, v1
	s_waitcnt lgkmcnt(0)
	s_ashr_i32 s13, s12, 31
	s_lshl_b64 s[0:1], s[12:13], 3
	s_add_u32 s0, s2, s0
	s_addc_u32 s1, s3, s1
	s_ashr_i32 s7, s6, 31
	s_lshl_b64 s[6:7], s[6:7], 2
	s_add_u32 s6, s8, s6
	s_addc_u32 s7, s9, s7
	s_load_dwordx4 s[0:3], s[0:1], 0x0
	v_mov_b32_e32 v1, 0
	s_load_dword s17, s[6:7], 0x0
	s_and_saveexec_b64 s[22:23], vcc
	s_cbranch_execz .LBB145_9
; %bb.6:
	s_lshl_b64 s[26:27], s[12:13], 2
	s_add_u32 s26, s10, s26
	s_addc_u32 s27, s11, s27
	s_load_dword s26, s[26:27], 0x0
	s_mov_b64 s[24:25], exec
	v_mbcnt_lo_u32_b32 v2, s24, 0
	v_mbcnt_hi_u32_b32 v2, s25, v2
	v_add_f32_e64 v1, s20, -1.0
	v_cmp_eq_u32_e32 vcc, 0, v2
	s_waitcnt vmcnt(0) expcnt(0) lgkmcnt(0)
	s_and_saveexec_b64 s[20:21], vcc
	s_cbranch_execz .LBB145_8
; %bb.7:
	s_ashr_i32 s15, s14, 31
	s_lshl_b64 s[28:29], s[14:15], 2
	s_add_u32 s28, s8, s28
	s_addc_u32 s29, s9, s29
	s_bcnt1_i32_b64 s15, s[24:25]
	s_and_b32 s15, s15, 1
	v_mov_b32_e32 v2, 0
	v_mov_b32_e32 v3, s15
	global_atomic_xor v2, v3, s[28:29]
.LBB145_8:
	s_or_b64 exec, exec, s[20:21]
	v_mul_f32_e32 v1, s26, v1
.LBB145_9:
	s_or_b64 exec, exec, s[22:23]
	s_mul_i32 s20, s19, 3
	s_mov_b32 s21, 0
	s_lshl_b64 s[20:21], s[20:21], 8
	s_waitcnt lgkmcnt(0)
	s_sub_u32 s0, s0, s16
	s_subb_u32 s1, s1, 0
	s_add_u32 s15, s0, s20
	s_addc_u32 s22, s1, s21
	s_sub_u32 s0, s2, s16
	s_subb_u32 s1, s3, 0
	s_add_u32 s2, s15, 0x300
	s_addc_u32 s3, s22, 0
	v_pk_mov_b32 v[2:3], s[0:1], s[0:1] op_sel:[0,1]
	v_cmp_lt_i64_e32 vcc, s[2:3], v[2:3]
	s_and_b64 s[20:21], vcc, exec
	v_mov_b32_e32 v3, s22
	v_add_co_u32_e32 v2, vcc, s15, v0
	s_cselect_b32 s3, s3, s1
	s_cselect_b32 s2, s2, s0
	v_addc_co_u32_e32 v3, vcc, 0, v3, vcc
	v_cmp_gt_i64_e32 vcc, s[2:3], v[2:3]
	s_and_saveexec_b64 s[20:21], vcc
	s_cbranch_execz .LBB145_13
; %bb.10:
	s_load_dwordx4 s[24:27], s[4:5], 0x40
	s_load_dwordx2 s[22:23], s[4:5], 0x50
	v_lshlrev_b64 v[4:5], 1, v[2:3]
	s_mov_b64 s[4:5], 0
	s_movk_i32 s15, 0x100
	s_waitcnt lgkmcnt(0)
	v_mov_b32_e32 v6, s27
	v_add_co_u32_e32 v4, vcc, s26, v4
	v_addc_co_u32_e32 v5, vcc, v6, v5, vcc
	v_lshlrev_b64 v[6:7], 2, v[2:3]
	v_mov_b32_e32 v8, s25
	v_add_co_u32_e32 v6, vcc, s24, v6
	v_addc_co_u32_e32 v7, vcc, v8, v7, vcc
	v_mov_b32_e32 v8, s23
.LBB145_11:                             ; =>This Inner Loop Header: Depth=1
	global_load_dword v9, v[6:7], off
	global_load_ushort v12, v[4:5], off
	s_waitcnt vmcnt(1)
	v_subrev_u32_e32 v10, s16, v9
	v_ashrrev_i32_e32 v11, 31, v10
	v_lshlrev_b64 v[10:11], 1, v[10:11]
	v_add_co_u32_e32 v10, vcc, s22, v10
	v_addc_co_u32_e32 v11, vcc, v8, v11, vcc
	global_load_ushort v9, v[10:11], off
	v_add_co_u32_e32 v2, vcc, s15, v2
	v_addc_co_u32_e32 v3, vcc, 0, v3, vcc
	v_add_co_u32_e32 v4, vcc, 0x200, v4
	v_addc_co_u32_e32 v5, vcc, 0, v5, vcc
	s_waitcnt vmcnt(1)
	v_lshlrev_b32_e32 v10, 16, v12
	v_add_co_u32_e32 v6, vcc, 0x400, v6
	v_cmp_le_i64_e64 s[0:1], s[2:3], v[2:3]
	v_mul_f32_e32 v10, s18, v10
	v_addc_co_u32_e32 v7, vcc, 0, v7, vcc
	s_or_b64 s[4:5], s[0:1], s[4:5]
	s_waitcnt vmcnt(0)
	v_lshlrev_b32_e32 v9, 16, v9
	v_fmac_f32_e32 v1, v10, v9
	s_andn2_b64 exec, exec, s[4:5]
	s_cbranch_execnz .LBB145_11
; %bb.12:
	s_or_b64 exec, exec, s[4:5]
.LBB145_13:
	s_or_b64 exec, exec, s[20:21]
	s_movk_i32 s0, 0x80
	v_lshlrev_b32_e32 v2, 2, v0
	v_cmp_gt_u32_e32 vcc, s0, v0
	ds_write_b32 v2, v1
	s_waitcnt lgkmcnt(0)
	s_barrier
	s_and_saveexec_b64 s[0:1], vcc
	s_cbranch_execz .LBB145_15
; %bb.14:
	ds_read2st64_b32 v[4:5], v2 offset1:2
	s_waitcnt lgkmcnt(0)
	v_add_f32_e32 v1, v4, v5
	ds_write_b32 v2, v1
.LBB145_15:
	s_or_b64 exec, exec, s[0:1]
	v_cmp_gt_u32_e32 vcc, 64, v0
	s_waitcnt lgkmcnt(0)
	s_barrier
	s_and_saveexec_b64 s[0:1], vcc
	s_cbranch_execz .LBB145_17
; %bb.16:
	ds_read2st64_b32 v[4:5], v2 offset1:1
	s_waitcnt lgkmcnt(0)
	v_add_f32_e32 v1, v4, v5
	ds_write_b32 v2, v1
.LBB145_17:
	s_or_b64 exec, exec, s[0:1]
	v_cmp_gt_u32_e32 vcc, 32, v0
	s_waitcnt lgkmcnt(0)
	s_barrier
	s_and_saveexec_b64 s[0:1], vcc
	s_cbranch_execz .LBB145_19
; %bb.18:
	ds_read2_b32 v[4:5], v2 offset1:32
	s_waitcnt lgkmcnt(0)
	v_add_f32_e32 v1, v4, v5
	ds_write_b32 v2, v1
.LBB145_19:
	s_or_b64 exec, exec, s[0:1]
	v_cmp_gt_u32_e32 vcc, 16, v0
	s_waitcnt lgkmcnt(0)
	s_barrier
	s_and_saveexec_b64 s[0:1], vcc
	s_cbranch_execz .LBB145_21
; %bb.20:
	ds_read2_b32 v[4:5], v2 offset1:16
	s_waitcnt lgkmcnt(0)
	v_add_f32_e32 v1, v4, v5
	ds_write_b32 v2, v1
.LBB145_21:
	;; [unrolled: 12-line block ×5, first 2 shown]
	s_or_b64 exec, exec, s[0:1]
	v_cmp_eq_u32_e32 vcc, 0, v0
	s_waitcnt lgkmcnt(0)
	s_barrier
	s_and_saveexec_b64 s[0:1], vcc
	s_cbranch_execz .LBB145_29
; %bb.28:
	v_mov_b32_e32 v2, 0
	ds_read_b64 v[0:1], v2
	s_waitcnt lgkmcnt(0)
	v_add_f32_e32 v0, v0, v1
	ds_write_b32 v2, v0
.LBB145_29:
	s_or_b64 exec, exec, s[0:1]
	s_waitcnt lgkmcnt(0)
	s_barrier
	s_and_saveexec_b64 s[0:1], vcc
	s_cbranch_execz .LBB145_39
; %bb.30:
	s_cmp_eq_u32 s19, 0
	s_cbranch_scc1 .LBB145_36
; %bb.31:
	s_ashr_i32 s15, s14, 31
	s_lshl_b64 s[0:1], s[14:15], 2
	s_add_u32 s0, s8, s0
	s_addc_u32 s1, s9, s1
	v_mov_b32_e32 v0, 0
	s_branch .LBB145_33
.LBB145_32:                             ;   in Loop: Header=BB145_33 Depth=1
	s_or_b64 exec, exec, s[2:3]
	s_waitcnt vmcnt(0)
	v_readfirstlane_b32 s2, v1
	s_cmp_eq_u32 s2, s17
	s_cbranch_scc0 .LBB145_35
.LBB145_33:                             ; =>This Inner Loop Header: Depth=1
	v_mbcnt_lo_u32_b32 v1, exec_lo, 0
	v_mbcnt_hi_u32_b32 v1, exec_hi, v1
	v_cmp_eq_u32_e32 vcc, 0, v1
                                        ; implicit-def: $vgpr1
	s_and_saveexec_b64 s[2:3], vcc
	s_cbranch_execz .LBB145_32
; %bb.34:                               ;   in Loop: Header=BB145_33 Depth=1
	global_load_dword v1, v0, s[0:1] glc
	s_branch .LBB145_32
.LBB145_35:
	v_mov_b32_e32 v0, 0
	global_load_dword v1, v0, s[6:7]
	s_waitcnt vmcnt(0)
	v_xor_b32_e32 v1, 1, v1
	global_store_dword v0, v1, s[6:7]
.LBB145_36:
	s_mov_b64 s[2:3], exec
	v_mbcnt_lo_u32_b32 v0, s2, 0
	v_mbcnt_hi_u32_b32 v0, s3, v0
	v_cmp_eq_u32_e32 vcc, 0, v0
	s_and_b64 s[0:1], exec, vcc
	s_mov_b64 exec, s[0:1]
	s_cbranch_execz .LBB145_39
; %bb.37:
	s_lshl_b64 s[0:1], s[12:13], 2
	s_add_u32 s0, s10, s0
	s_addc_u32 s1, s11, s1
	v_mov_b32_e32 v2, 0
	global_load_dword v1, v2, s[0:1]
	ds_read_b32 v0, v2
	s_bcnt1_i32_b64 s2, s[2:3]
	v_cvt_f32_ubyte0_e32 v3, s2
	s_mov_b64 s[2:3], 0
	s_waitcnt lgkmcnt(0)
	v_mul_f32_e32 v3, v0, v3
.LBB145_38:                             ; =>This Inner Loop Header: Depth=1
	s_waitcnt vmcnt(0)
	v_add_f32_e32 v0, v1, v3
	global_atomic_cmpswap v0, v2, v[0:1], s[0:1] glc
	s_waitcnt vmcnt(0)
	v_cmp_eq_u32_e32 vcc, v0, v1
	s_or_b64 s[2:3], vcc, s[2:3]
	v_mov_b32_e32 v1, v0
	s_andn2_b64 exec, exec, s[2:3]
	s_cbranch_execnz .LBB145_38
.LBB145_39:
	s_endpgm
	.section	.rodata,"a",@progbits
	.p2align	6, 0x0
	.amdhsa_kernel _ZN9rocsparseL27csrmvn_lrb_long_rows_kernelIli18rocsparse_bfloat16S1_ffEEvbT_PjPT0_S5_jNS_24const_host_device_scalarIT4_EEPKS2_PKS4_PKT1_PKT2_S8_PT3_21rocsparse_index_base_b
		.amdhsa_group_segment_fixed_size 1024
		.amdhsa_private_segment_fixed_size 0
		.amdhsa_kernarg_size 112
		.amdhsa_user_sgpr_count 6
		.amdhsa_user_sgpr_private_segment_buffer 1
		.amdhsa_user_sgpr_dispatch_ptr 0
		.amdhsa_user_sgpr_queue_ptr 0
		.amdhsa_user_sgpr_kernarg_segment_ptr 1
		.amdhsa_user_sgpr_dispatch_id 0
		.amdhsa_user_sgpr_flat_scratch_init 0
		.amdhsa_user_sgpr_kernarg_preload_length 0
		.amdhsa_user_sgpr_kernarg_preload_offset 0
		.amdhsa_user_sgpr_private_segment_size 0
		.amdhsa_uses_dynamic_stack 0
		.amdhsa_system_sgpr_private_segment_wavefront_offset 0
		.amdhsa_system_sgpr_workgroup_id_x 1
		.amdhsa_system_sgpr_workgroup_id_y 0
		.amdhsa_system_sgpr_workgroup_id_z 0
		.amdhsa_system_sgpr_workgroup_info 0
		.amdhsa_system_vgpr_workitem_id 0
		.amdhsa_next_free_vgpr 13
		.amdhsa_next_free_sgpr 30
		.amdhsa_accum_offset 16
		.amdhsa_reserve_vcc 1
		.amdhsa_reserve_flat_scratch 0
		.amdhsa_float_round_mode_32 0
		.amdhsa_float_round_mode_16_64 0
		.amdhsa_float_denorm_mode_32 3
		.amdhsa_float_denorm_mode_16_64 3
		.amdhsa_dx10_clamp 1
		.amdhsa_ieee_mode 1
		.amdhsa_fp16_overflow 0
		.amdhsa_tg_split 0
		.amdhsa_exception_fp_ieee_invalid_op 0
		.amdhsa_exception_fp_denorm_src 0
		.amdhsa_exception_fp_ieee_div_zero 0
		.amdhsa_exception_fp_ieee_overflow 0
		.amdhsa_exception_fp_ieee_underflow 0
		.amdhsa_exception_fp_ieee_inexact 0
		.amdhsa_exception_int_div_zero 0
	.end_amdhsa_kernel
	.section	.text._ZN9rocsparseL27csrmvn_lrb_long_rows_kernelIli18rocsparse_bfloat16S1_ffEEvbT_PjPT0_S5_jNS_24const_host_device_scalarIT4_EEPKS2_PKS4_PKT1_PKT2_S8_PT3_21rocsparse_index_base_b,"axG",@progbits,_ZN9rocsparseL27csrmvn_lrb_long_rows_kernelIli18rocsparse_bfloat16S1_ffEEvbT_PjPT0_S5_jNS_24const_host_device_scalarIT4_EEPKS2_PKS4_PKT1_PKT2_S8_PT3_21rocsparse_index_base_b,comdat
.Lfunc_end145:
	.size	_ZN9rocsparseL27csrmvn_lrb_long_rows_kernelIli18rocsparse_bfloat16S1_ffEEvbT_PjPT0_S5_jNS_24const_host_device_scalarIT4_EEPKS2_PKS4_PKT1_PKT2_S8_PT3_21rocsparse_index_base_b, .Lfunc_end145-_ZN9rocsparseL27csrmvn_lrb_long_rows_kernelIli18rocsparse_bfloat16S1_ffEEvbT_PjPT0_S5_jNS_24const_host_device_scalarIT4_EEPKS2_PKS4_PKT1_PKT2_S8_PT3_21rocsparse_index_base_b
                                        ; -- End function
	.section	.AMDGPU.csdata,"",@progbits
; Kernel info:
; codeLenInByte = 1488
; NumSgprs: 34
; NumVgprs: 13
; NumAgprs: 0
; TotalNumVgprs: 13
; ScratchSize: 0
; MemoryBound: 0
; FloatMode: 240
; IeeeMode: 1
; LDSByteSize: 1024 bytes/workgroup (compile time only)
; SGPRBlocks: 4
; VGPRBlocks: 1
; NumSGPRsForWavesPerEU: 34
; NumVGPRsForWavesPerEU: 13
; AccumOffset: 16
; Occupancy: 8
; WaveLimiterHint : 1
; COMPUTE_PGM_RSRC2:SCRATCH_EN: 0
; COMPUTE_PGM_RSRC2:USER_SGPR: 6
; COMPUTE_PGM_RSRC2:TRAP_HANDLER: 0
; COMPUTE_PGM_RSRC2:TGID_X_EN: 1
; COMPUTE_PGM_RSRC2:TGID_Y_EN: 0
; COMPUTE_PGM_RSRC2:TGID_Z_EN: 0
; COMPUTE_PGM_RSRC2:TIDIG_COMP_CNT: 0
; COMPUTE_PGM_RSRC3_GFX90A:ACCUM_OFFSET: 3
; COMPUTE_PGM_RSRC3_GFX90A:TG_SPLIT: 0
	.section	.text._ZN9rocsparseL28csrmvn_lrb_short_rows_kernelIll18rocsparse_bfloat16S1_ffEEvbT_PT0_S4_jNS_24const_host_device_scalarIT4_EEPKS2_PKS3_PKT1_PKT2_S7_PT3_21rocsparse_index_base_b,"axG",@progbits,_ZN9rocsparseL28csrmvn_lrb_short_rows_kernelIll18rocsparse_bfloat16S1_ffEEvbT_PT0_S4_jNS_24const_host_device_scalarIT4_EEPKS2_PKS3_PKT1_PKT2_S7_PT3_21rocsparse_index_base_b,comdat
	.globl	_ZN9rocsparseL28csrmvn_lrb_short_rows_kernelIll18rocsparse_bfloat16S1_ffEEvbT_PT0_S4_jNS_24const_host_device_scalarIT4_EEPKS2_PKS3_PKT1_PKT2_S7_PT3_21rocsparse_index_base_b ; -- Begin function _ZN9rocsparseL28csrmvn_lrb_short_rows_kernelIll18rocsparse_bfloat16S1_ffEEvbT_PT0_S4_jNS_24const_host_device_scalarIT4_EEPKS2_PKS3_PKT1_PKT2_S7_PT3_21rocsparse_index_base_b
	.p2align	8
	.type	_ZN9rocsparseL28csrmvn_lrb_short_rows_kernelIll18rocsparse_bfloat16S1_ffEEvbT_PT0_S4_jNS_24const_host_device_scalarIT4_EEPKS2_PKS3_PKT1_PKT2_S7_PT3_21rocsparse_index_base_b,@function
_ZN9rocsparseL28csrmvn_lrb_short_rows_kernelIll18rocsparse_bfloat16S1_ffEEvbT_PT0_S4_jNS_24const_host_device_scalarIT4_EEPKS2_PKS3_PKT1_PKT2_S7_PT3_21rocsparse_index_base_b: ; @_ZN9rocsparseL28csrmvn_lrb_short_rows_kernelIll18rocsparse_bfloat16S1_ffEEvbT_PT0_S4_jNS_24const_host_device_scalarIT4_EEPKS2_PKS3_PKT1_PKT2_S7_PT3_21rocsparse_index_base_b
; %bb.0:
	s_load_dwordx2 s[20:21], s[4:5], 0x60
	s_load_dwordx2 s[22:23], s[4:5], 0x28
	;; [unrolled: 1-line block ×3, first 2 shown]
	s_waitcnt lgkmcnt(0)
	s_bitcmp1_b32 s21, 0
	s_cselect_b64 s[2:3], -1, 0
	s_xor_b64 s[0:1], s[2:3], -1
	s_and_b64 vcc, exec, s[2:3]
	s_cbranch_vccnz .LBB146_2
; %bb.1:
	s_load_dword s22, s[22:23], 0x0
.LBB146_2:
	s_andn2_b64 vcc, exec, s[0:1]
	s_cbranch_vccnz .LBB146_4
; %bb.3:
	s_load_dword s16, s[16:17], 0x0
.LBB146_4:
	s_waitcnt lgkmcnt(0)
	v_cmp_neq_f32_e64 s[0:1], s22, 0
	v_cmp_neq_f32_e64 s[2:3], s16, 1.0
	s_or_b64 s[0:1], s[0:1], s[2:3]
	s_andn2_b64 vcc, exec, s[0:1]
	s_mov_b32 s19, 0
	s_cbranch_vccnz .LBB146_18
; %bb.5:
	s_load_dword s18, s[4:5], 0x20
	s_load_dwordx4 s[0:3], s[4:5], 0x10
	s_mov_b32 s9, s19
	s_waitcnt lgkmcnt(0)
	s_lshl_b64 s[10:11], s[18:19], 3
	s_add_u32 s10, s2, s10
	s_addc_u32 s11, s3, s11
	s_add_i32 s8, s18, 1
	s_lshl_b64 s[8:9], s[8:9], 3
	s_add_u32 s8, s2, s8
	s_addc_u32 s9, s3, s9
	s_load_dwordx2 s[2:3], s[10:11], 0x0
	s_load_dword s7, s[8:9], 0x0
	s_lshl_b32 s6, s6, 8
	s_add_i32 s8, s6, 0x100
	s_waitcnt lgkmcnt(0)
	s_sub_i32 s7, s7, s2
	s_min_u32 s7, s7, s8
	s_cmp_gt_u32 s18, 23
	s_cbranch_scc1 .LBB146_12
; %bb.6:
	s_load_dwordx8 s[8:15], s[4:5], 0x30
	s_lshl_b32 s17, 0x100, s18
	s_lshl_b64 s[24:25], s[2:3], 3
	s_add_u32 s19, s0, s24
	s_mov_b32 s23, 0
	v_mov_b32_e32 v9, 0
	s_addc_u32 s21, s1, s25
	v_bfe_u32 v6, v0, 0, s18
	v_mov_b32_e32 v7, v9
	v_lshl_add_u32 v1, v0, 2, 0
	s_mov_b32 s28, s23
	s_branch .LBB146_9
.LBB146_7:                              ;   in Loop: Header=BB146_9 Depth=1
	s_or_b64 exec, exec, s[26:27]
	ds_write_b32 v1, v4
.LBB146_8:                              ;   in Loop: Header=BB146_9 Depth=1
	s_or_b64 exec, exec, s[24:25]
	s_addk_i32 s28, 0x100
	s_cmp_ge_u32 s28, s17
	v_add_u32_e32 v1, 0x400, v1
	s_cbranch_scc1 .LBB146_12
.LBB146_9:                              ; =>This Inner Loop Header: Depth=1
	v_add_u32_e32 v2, s28, v0
	v_lshrrev_b32_e32 v2, s18, v2
	v_add_u32_e32 v8, s6, v2
	v_cmp_gt_u32_e32 vcc, s7, v8
	s_and_saveexec_b64 s[24:25], vcc
	s_cbranch_execz .LBB146_8
; %bb.10:                               ;   in Loop: Header=BB146_9 Depth=1
	v_lshlrev_b64 v[2:3], 3, v[8:9]
	v_mov_b32_e32 v4, s21
	v_add_co_u32_e32 v2, vcc, s19, v2
	v_addc_co_u32_e32 v3, vcc, v4, v3, vcc
	global_load_dwordx2 v[2:3], v[2:3], off
	s_waitcnt lgkmcnt(0)
	v_mov_b32_e32 v4, s9
	s_waitcnt vmcnt(0)
	v_lshlrev_b64 v[2:3], 3, v[2:3]
	v_add_co_u32_e32 v2, vcc, s8, v2
	v_addc_co_u32_e32 v3, vcc, v4, v3, vcc
	global_load_dwordx4 v[2:5], v[2:3], off
	s_waitcnt vmcnt(0)
	v_sub_co_u32_e32 v4, vcc, v4, v2
	v_subb_co_u32_e32 v5, vcc, v5, v3, vcc
	v_cmp_gt_i64_e32 vcc, v[4:5], v[6:7]
	v_mov_b32_e32 v4, 0
	s_and_saveexec_b64 s[26:27], vcc
	s_cbranch_execz .LBB146_7
; %bb.11:                               ;   in Loop: Header=BB146_9 Depth=1
	v_mov_b32_e32 v8, s23
	v_subrev_co_u32_e32 v2, vcc, s20, v2
	v_subb_co_u32_e32 v3, vcc, v3, v8, vcc
	v_add_co_u32_e32 v2, vcc, v2, v6
	v_addc_co_u32_e32 v3, vcc, 0, v3, vcc
	v_lshlrev_b64 v[4:5], 3, v[2:3]
	v_mov_b32_e32 v10, s11
	v_add_co_u32_e32 v4, vcc, s10, v4
	v_addc_co_u32_e32 v5, vcc, v10, v5, vcc
	global_load_dwordx2 v[4:5], v[4:5], off
	v_lshlrev_b64 v[2:3], 1, v[2:3]
	v_mov_b32_e32 v10, s13
	v_add_co_u32_e32 v2, vcc, s12, v2
	v_addc_co_u32_e32 v3, vcc, v10, v3, vcc
	global_load_ushort v10, v[2:3], off
	v_mov_b32_e32 v11, s15
	s_waitcnt vmcnt(1)
	v_subrev_co_u32_e32 v2, vcc, s20, v4
	v_subb_co_u32_e32 v3, vcc, v5, v8, vcc
	v_lshlrev_b64 v[2:3], 1, v[2:3]
	v_add_co_u32_e32 v2, vcc, s14, v2
	v_addc_co_u32_e32 v3, vcc, v11, v3, vcc
	global_load_ushort v2, v[2:3], off
	s_waitcnt vmcnt(1)
	v_lshlrev_b32_e32 v3, 16, v10
	v_mul_f32_e32 v3, s22, v3
	s_waitcnt vmcnt(0)
	v_lshlrev_b32_e32 v2, 16, v2
	v_mul_f32_e32 v4, v3, v2
	s_branch .LBB146_7
.LBB146_12:
	s_sub_i32 s7, s7, s6
	v_cmp_gt_u32_e32 vcc, s7, v0
	s_waitcnt lgkmcnt(0)
	s_barrier
	s_and_saveexec_b64 s[8:9], vcc
	s_cbranch_execz .LBB146_18
; %bb.13:
	s_lshl_b64 s[2:3], s[2:3], 3
	s_mov_b32 s7, 0
	s_add_u32 s2, s0, s2
	s_addc_u32 s3, s1, s3
	s_lshl_b64 s[0:1], s[6:7], 3
	s_add_u32 s0, s2, s0
	s_addc_u32 s1, s3, s1
	v_lshlrev_b32_e32 v1, 3, v0
	global_load_dwordx2 v[2:3], v1, s[0:1]
	s_load_dwordx2 s[0:1], s[4:5], 0x58
	v_lshlrev_b32_e32 v0, s18, v0
	v_lshl_add_u32 v0, v0, 2, 0
	s_mov_b32 s2, 1
	v_mov_b32_e32 v4, 0
.LBB146_14:                             ; =>This Inner Loop Header: Depth=1
	ds_read_b32 v1, v0
	s_lshr_b32 s3, s2, s18
	s_add_i32 s2, s2, 1
	v_add_u32_e32 v0, 4, v0
	s_cmp_lg_u32 s3, 0
	s_waitcnt lgkmcnt(0)
	v_add_f32_e32 v4, v4, v1
	s_cbranch_scc0 .LBB146_14
; %bb.15:
	v_cmp_neq_f32_e64 s[2:3], s16, 0
	s_and_b64 vcc, exec, s[2:3]
	s_waitcnt vmcnt(0)
	v_lshlrev_b64 v[0:1], 2, v[2:3]
	s_cbranch_vccz .LBB146_17
; %bb.16:
	v_mov_b32_e32 v3, s1
	v_add_co_u32_e32 v2, vcc, s0, v0
	v_addc_co_u32_e32 v3, vcc, v3, v1, vcc
	global_load_dword v2, v[2:3], off
	s_waitcnt vmcnt(0)
	v_fmac_f32_e32 v4, s16, v2
.LBB146_17:
	v_mov_b32_e32 v2, s1
	v_add_co_u32_e32 v0, vcc, s0, v0
	v_addc_co_u32_e32 v1, vcc, v2, v1, vcc
	global_store_dword v[0:1], v4, off
.LBB146_18:
	s_endpgm
	.section	.rodata,"a",@progbits
	.p2align	6, 0x0
	.amdhsa_kernel _ZN9rocsparseL28csrmvn_lrb_short_rows_kernelIll18rocsparse_bfloat16S1_ffEEvbT_PT0_S4_jNS_24const_host_device_scalarIT4_EEPKS2_PKS3_PKT1_PKT2_S7_PT3_21rocsparse_index_base_b
		.amdhsa_group_segment_fixed_size 0
		.amdhsa_private_segment_fixed_size 0
		.amdhsa_kernarg_size 104
		.amdhsa_user_sgpr_count 6
		.amdhsa_user_sgpr_private_segment_buffer 1
		.amdhsa_user_sgpr_dispatch_ptr 0
		.amdhsa_user_sgpr_queue_ptr 0
		.amdhsa_user_sgpr_kernarg_segment_ptr 1
		.amdhsa_user_sgpr_dispatch_id 0
		.amdhsa_user_sgpr_flat_scratch_init 0
		.amdhsa_user_sgpr_kernarg_preload_length 0
		.amdhsa_user_sgpr_kernarg_preload_offset 0
		.amdhsa_user_sgpr_private_segment_size 0
		.amdhsa_uses_dynamic_stack 0
		.amdhsa_system_sgpr_private_segment_wavefront_offset 0
		.amdhsa_system_sgpr_workgroup_id_x 1
		.amdhsa_system_sgpr_workgroup_id_y 0
		.amdhsa_system_sgpr_workgroup_id_z 0
		.amdhsa_system_sgpr_workgroup_info 0
		.amdhsa_system_vgpr_workitem_id 0
		.amdhsa_next_free_vgpr 12
		.amdhsa_next_free_sgpr 29
		.amdhsa_accum_offset 12
		.amdhsa_reserve_vcc 1
		.amdhsa_reserve_flat_scratch 0
		.amdhsa_float_round_mode_32 0
		.amdhsa_float_round_mode_16_64 0
		.amdhsa_float_denorm_mode_32 3
		.amdhsa_float_denorm_mode_16_64 3
		.amdhsa_dx10_clamp 1
		.amdhsa_ieee_mode 1
		.amdhsa_fp16_overflow 0
		.amdhsa_tg_split 0
		.amdhsa_exception_fp_ieee_invalid_op 0
		.amdhsa_exception_fp_denorm_src 0
		.amdhsa_exception_fp_ieee_div_zero 0
		.amdhsa_exception_fp_ieee_overflow 0
		.amdhsa_exception_fp_ieee_underflow 0
		.amdhsa_exception_fp_ieee_inexact 0
		.amdhsa_exception_int_div_zero 0
	.end_amdhsa_kernel
	.section	.text._ZN9rocsparseL28csrmvn_lrb_short_rows_kernelIll18rocsparse_bfloat16S1_ffEEvbT_PT0_S4_jNS_24const_host_device_scalarIT4_EEPKS2_PKS3_PKT1_PKT2_S7_PT3_21rocsparse_index_base_b,"axG",@progbits,_ZN9rocsparseL28csrmvn_lrb_short_rows_kernelIll18rocsparse_bfloat16S1_ffEEvbT_PT0_S4_jNS_24const_host_device_scalarIT4_EEPKS2_PKS3_PKT1_PKT2_S7_PT3_21rocsparse_index_base_b,comdat
.Lfunc_end146:
	.size	_ZN9rocsparseL28csrmvn_lrb_short_rows_kernelIll18rocsparse_bfloat16S1_ffEEvbT_PT0_S4_jNS_24const_host_device_scalarIT4_EEPKS2_PKS3_PKT1_PKT2_S7_PT3_21rocsparse_index_base_b, .Lfunc_end146-_ZN9rocsparseL28csrmvn_lrb_short_rows_kernelIll18rocsparse_bfloat16S1_ffEEvbT_PT0_S4_jNS_24const_host_device_scalarIT4_EEPKS2_PKS3_PKT1_PKT2_S7_PT3_21rocsparse_index_base_b
                                        ; -- End function
	.section	.AMDGPU.csdata,"",@progbits
; Kernel info:
; codeLenInByte = 776
; NumSgprs: 33
; NumVgprs: 12
; NumAgprs: 0
; TotalNumVgprs: 12
; ScratchSize: 0
; MemoryBound: 0
; FloatMode: 240
; IeeeMode: 1
; LDSByteSize: 0 bytes/workgroup (compile time only)
; SGPRBlocks: 4
; VGPRBlocks: 1
; NumSGPRsForWavesPerEU: 33
; NumVGPRsForWavesPerEU: 12
; AccumOffset: 12
; Occupancy: 8
; WaveLimiterHint : 1
; COMPUTE_PGM_RSRC2:SCRATCH_EN: 0
; COMPUTE_PGM_RSRC2:USER_SGPR: 6
; COMPUTE_PGM_RSRC2:TRAP_HANDLER: 0
; COMPUTE_PGM_RSRC2:TGID_X_EN: 1
; COMPUTE_PGM_RSRC2:TGID_Y_EN: 0
; COMPUTE_PGM_RSRC2:TGID_Z_EN: 0
; COMPUTE_PGM_RSRC2:TIDIG_COMP_CNT: 0
; COMPUTE_PGM_RSRC3_GFX90A:ACCUM_OFFSET: 2
; COMPUTE_PGM_RSRC3_GFX90A:TG_SPLIT: 0
	.section	.text._ZN9rocsparseL30csrmvn_lrb_short_rows_2_kernelIll18rocsparse_bfloat16S1_ffEEvbT_PT0_S4_jNS_24const_host_device_scalarIT4_EEPKS2_PKS3_PKT1_PKT2_S7_PT3_21rocsparse_index_base_b,"axG",@progbits,_ZN9rocsparseL30csrmvn_lrb_short_rows_2_kernelIll18rocsparse_bfloat16S1_ffEEvbT_PT0_S4_jNS_24const_host_device_scalarIT4_EEPKS2_PKS3_PKT1_PKT2_S7_PT3_21rocsparse_index_base_b,comdat
	.globl	_ZN9rocsparseL30csrmvn_lrb_short_rows_2_kernelIll18rocsparse_bfloat16S1_ffEEvbT_PT0_S4_jNS_24const_host_device_scalarIT4_EEPKS2_PKS3_PKT1_PKT2_S7_PT3_21rocsparse_index_base_b ; -- Begin function _ZN9rocsparseL30csrmvn_lrb_short_rows_2_kernelIll18rocsparse_bfloat16S1_ffEEvbT_PT0_S4_jNS_24const_host_device_scalarIT4_EEPKS2_PKS3_PKT1_PKT2_S7_PT3_21rocsparse_index_base_b
	.p2align	8
	.type	_ZN9rocsparseL30csrmvn_lrb_short_rows_2_kernelIll18rocsparse_bfloat16S1_ffEEvbT_PT0_S4_jNS_24const_host_device_scalarIT4_EEPKS2_PKS3_PKT1_PKT2_S7_PT3_21rocsparse_index_base_b,@function
_ZN9rocsparseL30csrmvn_lrb_short_rows_2_kernelIll18rocsparse_bfloat16S1_ffEEvbT_PT0_S4_jNS_24const_host_device_scalarIT4_EEPKS2_PKS3_PKT1_PKT2_S7_PT3_21rocsparse_index_base_b: ; @_ZN9rocsparseL30csrmvn_lrb_short_rows_2_kernelIll18rocsparse_bfloat16S1_ffEEvbT_PT0_S4_jNS_24const_host_device_scalarIT4_EEPKS2_PKS3_PKT1_PKT2_S7_PT3_21rocsparse_index_base_b
; %bb.0:
	s_load_dwordx2 s[20:21], s[4:5], 0x60
	s_load_dwordx2 s[18:19], s[4:5], 0x28
	;; [unrolled: 1-line block ×3, first 2 shown]
	s_waitcnt lgkmcnt(0)
	s_bitcmp1_b32 s21, 0
	s_cselect_b64 s[8:9], -1, 0
	s_xor_b64 s[2:3], s[8:9], -1
	s_and_b64 vcc, exec, s[8:9]
	s_cbranch_vccnz .LBB147_2
; %bb.1:
	s_load_dword s18, s[18:19], 0x0
.LBB147_2:
	s_andn2_b64 vcc, exec, s[2:3]
	s_cbranch_vccnz .LBB147_4
; %bb.3:
	s_load_dword s0, s[0:1], 0x0
.LBB147_4:
	s_waitcnt lgkmcnt(0)
	v_cmp_neq_f32_e64 s[2:3], s18, 0
	v_cmp_neq_f32_e64 s[8:9], s0, 1.0
	s_or_b64 s[2:3], s[2:3], s[8:9]
	s_andn2_b64 vcc, exec, s[2:3]
	s_mov_b32 s3, 0
	s_cbranch_vccnz .LBB147_30
; %bb.5:
	s_load_dword s2, s[4:5], 0x20
	s_load_dwordx4 s[24:27], s[4:5], 0x10
	s_mov_b32 s9, s3
	v_mov_b32_e32 v7, 0
	s_waitcnt lgkmcnt(0)
	s_lshl_b64 s[10:11], s[2:3], 3
	s_add_u32 s22, s26, s10
	s_addc_u32 s23, s27, s11
	s_add_i32 s8, s2, 1
	s_lshl_b64 s[8:9], s[8:9], 3
	s_add_u32 s26, s26, s8
	s_addc_u32 s27, s27, s9
	s_load_dwordx2 s[28:29], s[22:23], 0x0
	s_load_dword s3, s[26:27], 0x0
	s_load_dwordx2 s[16:17], s[4:5], 0x58
	s_load_dwordx8 s[8:15], s[4:5], 0x30
	s_lshr_b32 s1, 0x400, s2
	s_mul_i32 s4, s1, s6
	s_waitcnt lgkmcnt(0)
	s_sub_i32 s3, s3, s28
	s_add_i32 s5, s4, s1
	s_min_u32 s5, s3, s5
	s_lshl_b64 s[6:7], s[28:29], 3
	v_lshrrev_b32_e32 v1, s2, v0
	s_add_u32 s3, s24, s6
	v_add_u32_e32 v2, s4, v1
	s_addc_u32 s19, s25, s7
	v_bfe_u32 v6, v0, 0, s2
	v_cmp_gt_u32_e32 vcc, s5, v2
	s_and_saveexec_b64 s[6:7], vcc
	s_cbranch_execz .LBB147_9
; %bb.6:
	v_mov_b32_e32 v3, v7
	v_lshlrev_b64 v[2:3], 3, v[2:3]
	v_mov_b32_e32 v1, s19
	v_add_co_u32_e32 v2, vcc, s3, v2
	v_addc_co_u32_e32 v3, vcc, v1, v3, vcc
	global_load_dwordx2 v[2:3], v[2:3], off
	v_mov_b32_e32 v1, s9
	s_waitcnt vmcnt(0)
	v_lshlrev_b64 v[2:3], 3, v[2:3]
	v_add_co_u32_e32 v2, vcc, s8, v2
	v_addc_co_u32_e32 v3, vcc, v1, v3, vcc
	global_load_dwordx4 v[2:5], v[2:3], off
	v_mov_b32_e32 v1, v7
	s_waitcnt vmcnt(0)
	v_sub_co_u32_e32 v4, vcc, v4, v2
	v_subb_co_u32_e32 v5, vcc, v5, v3, vcc
	v_cmp_gt_i64_e32 vcc, v[4:5], v[6:7]
	s_and_saveexec_b64 s[22:23], vcc
	s_cbranch_execz .LBB147_8
; %bb.7:
	v_subrev_co_u32_e32 v1, vcc, s20, v2
	v_subbrev_co_u32_e32 v3, vcc, 0, v3, vcc
	v_add_co_u32_e32 v2, vcc, v1, v6
	v_addc_co_u32_e32 v3, vcc, 0, v3, vcc
	v_lshlrev_b64 v[4:5], 3, v[2:3]
	v_mov_b32_e32 v1, s11
	v_add_co_u32_e32 v4, vcc, s10, v4
	v_addc_co_u32_e32 v5, vcc, v1, v5, vcc
	global_load_dwordx2 v[4:5], v[4:5], off
	v_lshlrev_b64 v[2:3], 1, v[2:3]
	v_mov_b32_e32 v1, s13
	v_add_co_u32_e32 v2, vcc, s12, v2
	v_addc_co_u32_e32 v3, vcc, v1, v3, vcc
	global_load_ushort v1, v[2:3], off
	v_mov_b32_e32 v8, s15
	s_waitcnt vmcnt(1)
	v_subrev_co_u32_e32 v2, vcc, s20, v4
	v_subbrev_co_u32_e32 v3, vcc, 0, v5, vcc
	v_lshlrev_b64 v[2:3], 1, v[2:3]
	v_add_co_u32_e32 v2, vcc, s14, v2
	v_addc_co_u32_e32 v3, vcc, v8, v3, vcc
	global_load_ushort v2, v[2:3], off
	s_waitcnt vmcnt(1)
	v_lshlrev_b32_e32 v1, 16, v1
	v_mul_f32_e32 v1, s18, v1
	s_waitcnt vmcnt(0)
	v_lshlrev_b32_e32 v2, 16, v2
	v_mul_f32_e32 v1, v1, v2
.LBB147_8:
	s_or_b64 exec, exec, s[22:23]
	v_lshlrev_b32_e32 v2, 2, v0
	ds_write_b32 v2, v1
.LBB147_9:
	s_or_b64 exec, exec, s[6:7]
	v_or_b32_e32 v1, 0x100, v0
	v_lshrrev_b32_e32 v1, s2, v1
	v_add_u32_e32 v8, s4, v1
	v_cmp_gt_u32_e32 vcc, s5, v8
	s_and_saveexec_b64 s[6:7], vcc
	s_cbranch_execz .LBB147_13
; %bb.10:
	v_mov_b32_e32 v9, 0
	v_lshlrev_b64 v[2:3], 3, v[8:9]
	v_mov_b32_e32 v1, s19
	v_add_co_u32_e32 v2, vcc, s3, v2
	v_addc_co_u32_e32 v3, vcc, v1, v3, vcc
	global_load_dwordx2 v[2:3], v[2:3], off
	v_mov_b32_e32 v1, s9
	s_waitcnt vmcnt(0)
	v_lshlrev_b64 v[2:3], 3, v[2:3]
	v_add_co_u32_e32 v2, vcc, s8, v2
	v_addc_co_u32_e32 v3, vcc, v1, v3, vcc
	global_load_dwordx4 v[2:5], v[2:3], off
	s_waitcnt vmcnt(0)
	v_sub_co_u32_e32 v4, vcc, v4, v2
	v_subb_co_u32_e32 v5, vcc, v5, v3, vcc
	v_cmp_gt_i64_e32 vcc, v[4:5], v[6:7]
	s_and_saveexec_b64 s[22:23], vcc
	s_cbranch_execz .LBB147_12
; %bb.11:
	v_subrev_co_u32_e32 v1, vcc, s20, v2
	v_subbrev_co_u32_e32 v3, vcc, 0, v3, vcc
	v_add_co_u32_e32 v2, vcc, v1, v6
	v_addc_co_u32_e32 v3, vcc, 0, v3, vcc
	v_lshlrev_b64 v[4:5], 3, v[2:3]
	v_mov_b32_e32 v1, s11
	v_add_co_u32_e32 v4, vcc, s10, v4
	v_addc_co_u32_e32 v5, vcc, v1, v5, vcc
	global_load_dwordx2 v[4:5], v[4:5], off
	v_lshlrev_b64 v[2:3], 1, v[2:3]
	v_mov_b32_e32 v1, s13
	v_add_co_u32_e32 v2, vcc, s12, v2
	v_addc_co_u32_e32 v3, vcc, v1, v3, vcc
	global_load_ushort v1, v[2:3], off
	v_mov_b32_e32 v8, s15
	s_waitcnt vmcnt(1)
	v_subrev_co_u32_e32 v2, vcc, s20, v4
	v_subbrev_co_u32_e32 v3, vcc, 0, v5, vcc
	v_lshlrev_b64 v[2:3], 1, v[2:3]
	v_add_co_u32_e32 v2, vcc, s14, v2
	v_addc_co_u32_e32 v3, vcc, v8, v3, vcc
	global_load_ushort v2, v[2:3], off
	s_waitcnt vmcnt(1)
	v_lshlrev_b32_e32 v1, 16, v1
	v_mul_f32_e32 v1, s18, v1
	s_waitcnt vmcnt(0)
	v_lshlrev_b32_e32 v2, 16, v2
	v_mul_f32_e32 v9, v1, v2
.LBB147_12:
	s_or_b64 exec, exec, s[22:23]
	v_lshlrev_b32_e32 v1, 2, v0
	ds_write_b32 v1, v9 offset:1024
.LBB147_13:
	s_or_b64 exec, exec, s[6:7]
	v_or_b32_e32 v1, 0x200, v0
	v_lshrrev_b32_e32 v1, s2, v1
	v_add_u32_e32 v8, s4, v1
	v_cmp_gt_u32_e32 vcc, s5, v8
	s_and_saveexec_b64 s[6:7], vcc
	s_cbranch_execz .LBB147_17
; %bb.14:
	v_mov_b32_e32 v9, 0
	v_lshlrev_b64 v[2:3], 3, v[8:9]
	v_mov_b32_e32 v1, s19
	v_add_co_u32_e32 v2, vcc, s3, v2
	v_addc_co_u32_e32 v3, vcc, v1, v3, vcc
	global_load_dwordx2 v[2:3], v[2:3], off
	v_mov_b32_e32 v1, s9
	s_waitcnt vmcnt(0)
	v_lshlrev_b64 v[2:3], 3, v[2:3]
	v_add_co_u32_e32 v2, vcc, s8, v2
	v_addc_co_u32_e32 v3, vcc, v1, v3, vcc
	global_load_dwordx4 v[2:5], v[2:3], off
	s_waitcnt vmcnt(0)
	v_sub_co_u32_e32 v4, vcc, v4, v2
	v_subb_co_u32_e32 v5, vcc, v5, v3, vcc
	v_cmp_gt_i64_e32 vcc, v[4:5], v[6:7]
	s_and_saveexec_b64 s[22:23], vcc
	s_cbranch_execz .LBB147_16
; %bb.15:
	v_subrev_co_u32_e32 v1, vcc, s20, v2
	v_subbrev_co_u32_e32 v3, vcc, 0, v3, vcc
	v_add_co_u32_e32 v2, vcc, v1, v6
	v_addc_co_u32_e32 v3, vcc, 0, v3, vcc
	v_lshlrev_b64 v[4:5], 3, v[2:3]
	v_mov_b32_e32 v1, s11
	v_add_co_u32_e32 v4, vcc, s10, v4
	v_addc_co_u32_e32 v5, vcc, v1, v5, vcc
	global_load_dwordx2 v[4:5], v[4:5], off
	v_lshlrev_b64 v[2:3], 1, v[2:3]
	v_mov_b32_e32 v1, s13
	v_add_co_u32_e32 v2, vcc, s12, v2
	v_addc_co_u32_e32 v3, vcc, v1, v3, vcc
	global_load_ushort v1, v[2:3], off
	v_mov_b32_e32 v8, s15
	s_waitcnt vmcnt(1)
	v_subrev_co_u32_e32 v2, vcc, s20, v4
	v_subbrev_co_u32_e32 v3, vcc, 0, v5, vcc
	v_lshlrev_b64 v[2:3], 1, v[2:3]
	v_add_co_u32_e32 v2, vcc, s14, v2
	v_addc_co_u32_e32 v3, vcc, v8, v3, vcc
	global_load_ushort v2, v[2:3], off
	s_waitcnt vmcnt(1)
	v_lshlrev_b32_e32 v1, 16, v1
	v_mul_f32_e32 v1, s18, v1
	s_waitcnt vmcnt(0)
	v_lshlrev_b32_e32 v2, 16, v2
	v_mul_f32_e32 v9, v1, v2
.LBB147_16:
	s_or_b64 exec, exec, s[22:23]
	v_lshlrev_b32_e32 v1, 2, v0
	ds_write_b32 v1, v9 offset:2048
.LBB147_17:
	;; [unrolled: 60-line block ×3, first 2 shown]
	s_or_b64 exec, exec, s[6:7]
	s_cmp_lt_u32 s2, 11
	s_waitcnt lgkmcnt(0)
	s_barrier
	s_cbranch_scc0 .LBB147_30
; %bb.22:
	s_sub_i32 s10, s5, s4
	s_mov_b32 s5, 0
	s_lshl_b64 s[6:7], s[4:5], 3
	s_add_u32 s3, s3, s6
	s_addc_u32 s4, s19, s7
	v_cmp_neq_f32_e64 s[6:7], s0, 0
	v_mov_b32_e32 v3, 0
	s_branch .LBB147_25
.LBB147_23:                             ;   in Loop: Header=BB147_25 Depth=1
	v_mov_b32_e32 v2, s17
	v_add_co_u32_e32 v4, vcc, s16, v4
	v_addc_co_u32_e32 v5, vcc, v2, v5, vcc
	global_store_dword v[4:5], v1, off
.LBB147_24:                             ;   in Loop: Header=BB147_25 Depth=1
	s_or_b64 exec, exec, s[8:9]
	s_addk_i32 s5, 0x100
	s_cmp_lt_u32 s5, s1
	s_cbranch_scc0 .LBB147_30
.LBB147_25:                             ; =>This Loop Header: Depth=1
                                        ;     Child Loop BB147_27 Depth 2
	v_add_u32_e32 v2, s5, v0
	v_cmp_gt_u32_e32 vcc, s10, v2
	s_and_saveexec_b64 s[8:9], vcc
	s_cbranch_execz .LBB147_24
; %bb.26:                               ;   in Loop: Header=BB147_25 Depth=1
	v_lshlrev_b64 v[4:5], 3, v[2:3]
	v_mov_b32_e32 v1, s4
	v_add_co_u32_e32 v4, vcc, s3, v4
	v_addc_co_u32_e32 v5, vcc, v1, v5, vcc
	global_load_dwordx2 v[4:5], v[4:5], off
	v_lshlrev_b32_e32 v1, s2, v2
	v_lshlrev_b32_e32 v2, 2, v1
	s_mov_b32 s11, 1
	v_mov_b32_e32 v1, 0
.LBB147_27:                             ;   Parent Loop BB147_25 Depth=1
                                        ; =>  This Inner Loop Header: Depth=2
	ds_read_b32 v6, v2
	s_lshr_b32 s12, s11, s2
	s_add_i32 s11, s11, 1
	v_add_u32_e32 v2, 4, v2
	s_cmp_lg_u32 s12, 0
	s_waitcnt lgkmcnt(0)
	v_add_f32_e32 v1, v1, v6
	s_cbranch_scc0 .LBB147_27
; %bb.28:                               ;   in Loop: Header=BB147_25 Depth=1
	s_and_b64 vcc, exec, s[6:7]
	s_waitcnt vmcnt(0)
	v_lshlrev_b64 v[4:5], 2, v[4:5]
	s_cbranch_vccz .LBB147_23
; %bb.29:                               ;   in Loop: Header=BB147_25 Depth=1
	v_mov_b32_e32 v2, s17
	v_add_co_u32_e32 v6, vcc, s16, v4
	v_addc_co_u32_e32 v7, vcc, v2, v5, vcc
	global_load_dword v2, v[6:7], off
	s_waitcnt vmcnt(0)
	v_fmac_f32_e32 v1, s0, v2
	s_branch .LBB147_23
.LBB147_30:
	s_endpgm
	.section	.rodata,"a",@progbits
	.p2align	6, 0x0
	.amdhsa_kernel _ZN9rocsparseL30csrmvn_lrb_short_rows_2_kernelIll18rocsparse_bfloat16S1_ffEEvbT_PT0_S4_jNS_24const_host_device_scalarIT4_EEPKS2_PKS3_PKT1_PKT2_S7_PT3_21rocsparse_index_base_b
		.amdhsa_group_segment_fixed_size 4096
		.amdhsa_private_segment_fixed_size 0
		.amdhsa_kernarg_size 104
		.amdhsa_user_sgpr_count 6
		.amdhsa_user_sgpr_private_segment_buffer 1
		.amdhsa_user_sgpr_dispatch_ptr 0
		.amdhsa_user_sgpr_queue_ptr 0
		.amdhsa_user_sgpr_kernarg_segment_ptr 1
		.amdhsa_user_sgpr_dispatch_id 0
		.amdhsa_user_sgpr_flat_scratch_init 0
		.amdhsa_user_sgpr_kernarg_preload_length 0
		.amdhsa_user_sgpr_kernarg_preload_offset 0
		.amdhsa_user_sgpr_private_segment_size 0
		.amdhsa_uses_dynamic_stack 0
		.amdhsa_system_sgpr_private_segment_wavefront_offset 0
		.amdhsa_system_sgpr_workgroup_id_x 1
		.amdhsa_system_sgpr_workgroup_id_y 0
		.amdhsa_system_sgpr_workgroup_id_z 0
		.amdhsa_system_sgpr_workgroup_info 0
		.amdhsa_system_vgpr_workitem_id 0
		.amdhsa_next_free_vgpr 10
		.amdhsa_next_free_sgpr 30
		.amdhsa_accum_offset 12
		.amdhsa_reserve_vcc 1
		.amdhsa_reserve_flat_scratch 0
		.amdhsa_float_round_mode_32 0
		.amdhsa_float_round_mode_16_64 0
		.amdhsa_float_denorm_mode_32 3
		.amdhsa_float_denorm_mode_16_64 3
		.amdhsa_dx10_clamp 1
		.amdhsa_ieee_mode 1
		.amdhsa_fp16_overflow 0
		.amdhsa_tg_split 0
		.amdhsa_exception_fp_ieee_invalid_op 0
		.amdhsa_exception_fp_denorm_src 0
		.amdhsa_exception_fp_ieee_div_zero 0
		.amdhsa_exception_fp_ieee_overflow 0
		.amdhsa_exception_fp_ieee_underflow 0
		.amdhsa_exception_fp_ieee_inexact 0
		.amdhsa_exception_int_div_zero 0
	.end_amdhsa_kernel
	.section	.text._ZN9rocsparseL30csrmvn_lrb_short_rows_2_kernelIll18rocsparse_bfloat16S1_ffEEvbT_PT0_S4_jNS_24const_host_device_scalarIT4_EEPKS2_PKS3_PKT1_PKT2_S7_PT3_21rocsparse_index_base_b,"axG",@progbits,_ZN9rocsparseL30csrmvn_lrb_short_rows_2_kernelIll18rocsparse_bfloat16S1_ffEEvbT_PT0_S4_jNS_24const_host_device_scalarIT4_EEPKS2_PKS3_PKT1_PKT2_S7_PT3_21rocsparse_index_base_b,comdat
.Lfunc_end147:
	.size	_ZN9rocsparseL30csrmvn_lrb_short_rows_2_kernelIll18rocsparse_bfloat16S1_ffEEvbT_PT0_S4_jNS_24const_host_device_scalarIT4_EEPKS2_PKS3_PKT1_PKT2_S7_PT3_21rocsparse_index_base_b, .Lfunc_end147-_ZN9rocsparseL30csrmvn_lrb_short_rows_2_kernelIll18rocsparse_bfloat16S1_ffEEvbT_PT0_S4_jNS_24const_host_device_scalarIT4_EEPKS2_PKS3_PKT1_PKT2_S7_PT3_21rocsparse_index_base_b
                                        ; -- End function
	.section	.AMDGPU.csdata,"",@progbits
; Kernel info:
; codeLenInByte = 1568
; NumSgprs: 34
; NumVgprs: 10
; NumAgprs: 0
; TotalNumVgprs: 10
; ScratchSize: 0
; MemoryBound: 0
; FloatMode: 240
; IeeeMode: 1
; LDSByteSize: 4096 bytes/workgroup (compile time only)
; SGPRBlocks: 4
; VGPRBlocks: 1
; NumSGPRsForWavesPerEU: 34
; NumVGPRsForWavesPerEU: 10
; AccumOffset: 12
; Occupancy: 8
; WaveLimiterHint : 1
; COMPUTE_PGM_RSRC2:SCRATCH_EN: 0
; COMPUTE_PGM_RSRC2:USER_SGPR: 6
; COMPUTE_PGM_RSRC2:TRAP_HANDLER: 0
; COMPUTE_PGM_RSRC2:TGID_X_EN: 1
; COMPUTE_PGM_RSRC2:TGID_Y_EN: 0
; COMPUTE_PGM_RSRC2:TGID_Z_EN: 0
; COMPUTE_PGM_RSRC2:TIDIG_COMP_CNT: 0
; COMPUTE_PGM_RSRC3_GFX90A:ACCUM_OFFSET: 2
; COMPUTE_PGM_RSRC3_GFX90A:TG_SPLIT: 0
	.section	.text._ZN9rocsparseL41csrmvn_lrb_medium_rows_warp_reduce_kernelILj256ELj32Ell18rocsparse_bfloat16S1_ffEEvbT1_lPT2_S4_jNS_24const_host_device_scalarIT6_EEPKS2_PKS3_PKT3_PKT4_S7_PT5_21rocsparse_index_base_b,"axG",@progbits,_ZN9rocsparseL41csrmvn_lrb_medium_rows_warp_reduce_kernelILj256ELj32Ell18rocsparse_bfloat16S1_ffEEvbT1_lPT2_S4_jNS_24const_host_device_scalarIT6_EEPKS2_PKS3_PKT3_PKT4_S7_PT5_21rocsparse_index_base_b,comdat
	.globl	_ZN9rocsparseL41csrmvn_lrb_medium_rows_warp_reduce_kernelILj256ELj32Ell18rocsparse_bfloat16S1_ffEEvbT1_lPT2_S4_jNS_24const_host_device_scalarIT6_EEPKS2_PKS3_PKT3_PKT4_S7_PT5_21rocsparse_index_base_b ; -- Begin function _ZN9rocsparseL41csrmvn_lrb_medium_rows_warp_reduce_kernelILj256ELj32Ell18rocsparse_bfloat16S1_ffEEvbT1_lPT2_S4_jNS_24const_host_device_scalarIT6_EEPKS2_PKS3_PKT3_PKT4_S7_PT5_21rocsparse_index_base_b
	.p2align	8
	.type	_ZN9rocsparseL41csrmvn_lrb_medium_rows_warp_reduce_kernelILj256ELj32Ell18rocsparse_bfloat16S1_ffEEvbT1_lPT2_S4_jNS_24const_host_device_scalarIT6_EEPKS2_PKS3_PKT3_PKT4_S7_PT5_21rocsparse_index_base_b,@function
_ZN9rocsparseL41csrmvn_lrb_medium_rows_warp_reduce_kernelILj256ELj32Ell18rocsparse_bfloat16S1_ffEEvbT1_lPT2_S4_jNS_24const_host_device_scalarIT6_EEPKS2_PKS3_PKT3_PKT4_S7_PT5_21rocsparse_index_base_b: ; @_ZN9rocsparseL41csrmvn_lrb_medium_rows_warp_reduce_kernelILj256ELj32Ell18rocsparse_bfloat16S1_ffEEvbT1_lPT2_S4_jNS_24const_host_device_scalarIT6_EEPKS2_PKS3_PKT3_PKT4_S7_PT5_21rocsparse_index_base_b
; %bb.0:
	s_load_dwordx2 s[2:3], s[4:5], 0x68
	s_load_dwordx2 s[8:9], s[4:5], 0x30
	;; [unrolled: 1-line block ×3, first 2 shown]
	s_waitcnt lgkmcnt(0)
	s_bitcmp1_b32 s3, 0
	s_cselect_b64 s[12:13], -1, 0
	s_xor_b64 s[10:11], s[12:13], -1
	s_and_b64 vcc, exec, s[12:13]
	s_cbranch_vccnz .LBB148_2
; %bb.1:
	s_load_dword s8, s[8:9], 0x0
.LBB148_2:
	s_andn2_b64 vcc, exec, s[10:11]
	s_cbranch_vccnz .LBB148_4
; %bb.3:
	s_load_dword s0, s[0:1], 0x0
.LBB148_4:
	s_waitcnt lgkmcnt(0)
	v_cmp_neq_f32_e64 s[10:11], s8, 0
	v_cmp_neq_f32_e64 s[12:13], s0, 1.0
	s_or_b64 s[10:11], s[10:11], s[12:13]
	s_andn2_b64 vcc, exec, s[10:11]
	s_cbranch_vccnz .LBB148_14
; %bb.5:
	s_load_dwordx2 s[10:11], s[4:5], 0x10
	v_lshrrev_b32_e32 v1, 5, v0
	v_lshl_or_b32 v2, s6, 3, v1
	v_ashrrev_i32_e32 v3, 31, v2
	s_waitcnt lgkmcnt(0)
	v_cmp_gt_i64_e32 vcc, s[10:11], v[2:3]
	s_and_saveexec_b64 s[6:7], vcc
	s_cbranch_execz .LBB148_14
; %bb.6:
	s_load_dword s10, s[4:5], 0x28
	s_load_dwordx4 s[12:15], s[4:5], 0x18
	s_mov_b32 s11, 0
	v_lshlrev_b64 v[2:3], 3, v[2:3]
	v_and_b32_e32 v10, 31, v0
	s_waitcnt lgkmcnt(0)
	s_lshl_b64 s[6:7], s[10:11], 3
	s_add_u32 s6, s14, s6
	s_addc_u32 s7, s15, s7
	s_load_dwordx2 s[6:7], s[6:7], 0x0
	v_mov_b32_e32 v11, 0
	s_waitcnt lgkmcnt(0)
	s_lshl_b64 s[6:7], s[6:7], 3
	s_add_u32 s1, s12, s6
	s_addc_u32 s3, s13, s7
	v_mov_b32_e32 v1, s3
	v_add_co_u32_e32 v2, vcc, s1, v2
	v_addc_co_u32_e32 v3, vcc, v1, v3, vcc
	global_load_dwordx2 v[2:3], v[2:3], off
	s_load_dwordx2 s[6:7], s[4:5], 0x38
	s_mov_b32 s1, s11
	s_waitcnt lgkmcnt(0)
	v_mov_b32_e32 v1, s7
	s_waitcnt vmcnt(0)
	v_lshlrev_b64 v[4:5], 3, v[2:3]
	v_add_co_u32_e32 v4, vcc, s6, v4
	v_addc_co_u32_e32 v5, vcc, v1, v5, vcc
	global_load_dwordx4 v[4:7], v[4:5], off
	v_subrev_co_u32_e32 v8, vcc, s2, v10
	s_load_dwordx2 s[6:7], s[4:5], 0x60
	v_subb_co_u32_e64 v9, s[10:11], 0, 0, vcc
	s_waitcnt vmcnt(0)
	v_subrev_co_u32_e32 v0, vcc, s2, v6
	v_subbrev_co_u32_e32 v1, vcc, 0, v7, vcc
	v_add_co_u32_e32 v4, vcc, v4, v8
	v_addc_co_u32_e32 v5, vcc, v5, v9, vcc
	v_cmp_lt_i64_e32 vcc, v[4:5], v[0:1]
	s_and_saveexec_b64 s[10:11], vcc
	s_cbranch_execz .LBB148_10
; %bb.7:
	s_load_dwordx4 s[16:19], s[4:5], 0x40
	s_load_dwordx2 s[12:13], s[4:5], 0x50
	v_lshlrev_b64 v[6:7], 1, v[4:5]
	s_mov_b64 s[4:5], 0
	v_mov_b32_e32 v12, s1
	s_waitcnt lgkmcnt(0)
	v_mov_b32_e32 v8, s19
	v_add_co_u32_e32 v6, vcc, s18, v6
	v_addc_co_u32_e32 v7, vcc, v8, v7, vcc
	v_lshlrev_b64 v[8:9], 3, v[4:5]
	v_mov_b32_e32 v11, s17
	v_add_co_u32_e32 v8, vcc, s16, v8
	v_addc_co_u32_e32 v9, vcc, v11, v9, vcc
	v_mov_b32_e32 v11, 0
	v_mov_b32_e32 v13, s13
.LBB148_8:                              ; =>This Inner Loop Header: Depth=1
	global_load_dwordx2 v[14:15], v[8:9], off
	global_load_ushort v16, v[6:7], off
	s_waitcnt vmcnt(1)
	v_subrev_co_u32_e32 v14, vcc, s2, v14
	v_subb_co_u32_e32 v15, vcc, v15, v12, vcc
	v_lshlrev_b64 v[14:15], 1, v[14:15]
	v_add_co_u32_e32 v14, vcc, s12, v14
	v_addc_co_u32_e32 v15, vcc, v13, v15, vcc
	global_load_ushort v14, v[14:15], off
	v_add_co_u32_e32 v4, vcc, 32, v4
	v_addc_co_u32_e32 v5, vcc, 0, v5, vcc
	v_add_co_u32_e32 v6, vcc, 64, v6
	v_addc_co_u32_e32 v7, vcc, 0, v7, vcc
	;; [unrolled: 2-line block ×3, first 2 shown]
	s_waitcnt vmcnt(1)
	v_lshlrev_b32_e32 v15, 16, v16
	v_cmp_ge_i64_e32 vcc, v[4:5], v[0:1]
	v_mul_f32_e32 v15, s8, v15
	s_or_b64 s[4:5], vcc, s[4:5]
	s_waitcnt vmcnt(0)
	v_lshlrev_b32_e32 v14, 16, v14
	v_fmac_f32_e32 v11, v15, v14
	s_andn2_b64 exec, exec, s[4:5]
	s_cbranch_execnz .LBB148_8
; %bb.9:
	s_or_b64 exec, exec, s[4:5]
.LBB148_10:
	s_or_b64 exec, exec, s[10:11]
	v_mov_b32_dpp v0, v11 row_shr:1 row_mask:0xf bank_mask:0xf
	v_add_f32_e32 v0, v11, v0
	v_cmp_eq_u32_e32 vcc, 31, v10
	s_nop 0
	v_mov_b32_dpp v1, v0 row_shr:2 row_mask:0xf bank_mask:0xf
	v_add_f32_e32 v0, v0, v1
	s_nop 1
	v_mov_b32_dpp v1, v0 row_shr:4 row_mask:0xf bank_mask:0xe
	v_add_f32_e32 v0, v0, v1
	s_nop 1
	v_mov_b32_dpp v1, v0 row_shr:8 row_mask:0xf bank_mask:0xc
	v_add_f32_e32 v0, v0, v1
	s_nop 1
	v_mov_b32_dpp v1, v0 row_bcast:15 row_mask:0xa bank_mask:0xf
	s_and_b64 exec, exec, vcc
	s_cbranch_execz .LBB148_14
; %bb.11:
	v_cmp_eq_f32_e64 s[2:3], s0, 0
	v_add_f32_e32 v4, v0, v1
	s_and_b64 vcc, exec, s[2:3]
	v_lshlrev_b64 v[0:1], 2, v[2:3]
	s_cbranch_vccnz .LBB148_13
; %bb.12:
	s_waitcnt lgkmcnt(0)
	v_mov_b32_e32 v3, s7
	v_add_co_u32_e32 v2, vcc, s6, v0
	v_addc_co_u32_e32 v3, vcc, v3, v1, vcc
	global_load_dword v2, v[2:3], off
	s_waitcnt vmcnt(0)
	v_fmac_f32_e32 v4, s0, v2
.LBB148_13:
	s_waitcnt lgkmcnt(0)
	v_mov_b32_e32 v2, s7
	v_add_co_u32_e32 v0, vcc, s6, v0
	v_addc_co_u32_e32 v1, vcc, v2, v1, vcc
	global_store_dword v[0:1], v4, off
.LBB148_14:
	s_endpgm
	.section	.rodata,"a",@progbits
	.p2align	6, 0x0
	.amdhsa_kernel _ZN9rocsparseL41csrmvn_lrb_medium_rows_warp_reduce_kernelILj256ELj32Ell18rocsparse_bfloat16S1_ffEEvbT1_lPT2_S4_jNS_24const_host_device_scalarIT6_EEPKS2_PKS3_PKT3_PKT4_S7_PT5_21rocsparse_index_base_b
		.amdhsa_group_segment_fixed_size 0
		.amdhsa_private_segment_fixed_size 0
		.amdhsa_kernarg_size 112
		.amdhsa_user_sgpr_count 6
		.amdhsa_user_sgpr_private_segment_buffer 1
		.amdhsa_user_sgpr_dispatch_ptr 0
		.amdhsa_user_sgpr_queue_ptr 0
		.amdhsa_user_sgpr_kernarg_segment_ptr 1
		.amdhsa_user_sgpr_dispatch_id 0
		.amdhsa_user_sgpr_flat_scratch_init 0
		.amdhsa_user_sgpr_kernarg_preload_length 0
		.amdhsa_user_sgpr_kernarg_preload_offset 0
		.amdhsa_user_sgpr_private_segment_size 0
		.amdhsa_uses_dynamic_stack 0
		.amdhsa_system_sgpr_private_segment_wavefront_offset 0
		.amdhsa_system_sgpr_workgroup_id_x 1
		.amdhsa_system_sgpr_workgroup_id_y 0
		.amdhsa_system_sgpr_workgroup_id_z 0
		.amdhsa_system_sgpr_workgroup_info 0
		.amdhsa_system_vgpr_workitem_id 0
		.amdhsa_next_free_vgpr 17
		.amdhsa_next_free_sgpr 20
		.amdhsa_accum_offset 20
		.amdhsa_reserve_vcc 1
		.amdhsa_reserve_flat_scratch 0
		.amdhsa_float_round_mode_32 0
		.amdhsa_float_round_mode_16_64 0
		.amdhsa_float_denorm_mode_32 3
		.amdhsa_float_denorm_mode_16_64 3
		.amdhsa_dx10_clamp 1
		.amdhsa_ieee_mode 1
		.amdhsa_fp16_overflow 0
		.amdhsa_tg_split 0
		.amdhsa_exception_fp_ieee_invalid_op 0
		.amdhsa_exception_fp_denorm_src 0
		.amdhsa_exception_fp_ieee_div_zero 0
		.amdhsa_exception_fp_ieee_overflow 0
		.amdhsa_exception_fp_ieee_underflow 0
		.amdhsa_exception_fp_ieee_inexact 0
		.amdhsa_exception_int_div_zero 0
	.end_amdhsa_kernel
	.section	.text._ZN9rocsparseL41csrmvn_lrb_medium_rows_warp_reduce_kernelILj256ELj32Ell18rocsparse_bfloat16S1_ffEEvbT1_lPT2_S4_jNS_24const_host_device_scalarIT6_EEPKS2_PKS3_PKT3_PKT4_S7_PT5_21rocsparse_index_base_b,"axG",@progbits,_ZN9rocsparseL41csrmvn_lrb_medium_rows_warp_reduce_kernelILj256ELj32Ell18rocsparse_bfloat16S1_ffEEvbT1_lPT2_S4_jNS_24const_host_device_scalarIT6_EEPKS2_PKS3_PKT3_PKT4_S7_PT5_21rocsparse_index_base_b,comdat
.Lfunc_end148:
	.size	_ZN9rocsparseL41csrmvn_lrb_medium_rows_warp_reduce_kernelILj256ELj32Ell18rocsparse_bfloat16S1_ffEEvbT1_lPT2_S4_jNS_24const_host_device_scalarIT6_EEPKS2_PKS3_PKT3_PKT4_S7_PT5_21rocsparse_index_base_b, .Lfunc_end148-_ZN9rocsparseL41csrmvn_lrb_medium_rows_warp_reduce_kernelILj256ELj32Ell18rocsparse_bfloat16S1_ffEEvbT1_lPT2_S4_jNS_24const_host_device_scalarIT6_EEPKS2_PKS3_PKT3_PKT4_S7_PT5_21rocsparse_index_base_b
                                        ; -- End function
	.section	.AMDGPU.csdata,"",@progbits
; Kernel info:
; codeLenInByte = 716
; NumSgprs: 24
; NumVgprs: 17
; NumAgprs: 0
; TotalNumVgprs: 17
; ScratchSize: 0
; MemoryBound: 0
; FloatMode: 240
; IeeeMode: 1
; LDSByteSize: 0 bytes/workgroup (compile time only)
; SGPRBlocks: 2
; VGPRBlocks: 2
; NumSGPRsForWavesPerEU: 24
; NumVGPRsForWavesPerEU: 17
; AccumOffset: 20
; Occupancy: 8
; WaveLimiterHint : 1
; COMPUTE_PGM_RSRC2:SCRATCH_EN: 0
; COMPUTE_PGM_RSRC2:USER_SGPR: 6
; COMPUTE_PGM_RSRC2:TRAP_HANDLER: 0
; COMPUTE_PGM_RSRC2:TGID_X_EN: 1
; COMPUTE_PGM_RSRC2:TGID_Y_EN: 0
; COMPUTE_PGM_RSRC2:TGID_Z_EN: 0
; COMPUTE_PGM_RSRC2:TIDIG_COMP_CNT: 0
; COMPUTE_PGM_RSRC3_GFX90A:ACCUM_OFFSET: 4
; COMPUTE_PGM_RSRC3_GFX90A:TG_SPLIT: 0
	.section	.text._ZN9rocsparseL41csrmvn_lrb_medium_rows_warp_reduce_kernelILj256ELj64Ell18rocsparse_bfloat16S1_ffEEvbT1_lPT2_S4_jNS_24const_host_device_scalarIT6_EEPKS2_PKS3_PKT3_PKT4_S7_PT5_21rocsparse_index_base_b,"axG",@progbits,_ZN9rocsparseL41csrmvn_lrb_medium_rows_warp_reduce_kernelILj256ELj64Ell18rocsparse_bfloat16S1_ffEEvbT1_lPT2_S4_jNS_24const_host_device_scalarIT6_EEPKS2_PKS3_PKT3_PKT4_S7_PT5_21rocsparse_index_base_b,comdat
	.globl	_ZN9rocsparseL41csrmvn_lrb_medium_rows_warp_reduce_kernelILj256ELj64Ell18rocsparse_bfloat16S1_ffEEvbT1_lPT2_S4_jNS_24const_host_device_scalarIT6_EEPKS2_PKS3_PKT3_PKT4_S7_PT5_21rocsparse_index_base_b ; -- Begin function _ZN9rocsparseL41csrmvn_lrb_medium_rows_warp_reduce_kernelILj256ELj64Ell18rocsparse_bfloat16S1_ffEEvbT1_lPT2_S4_jNS_24const_host_device_scalarIT6_EEPKS2_PKS3_PKT3_PKT4_S7_PT5_21rocsparse_index_base_b
	.p2align	8
	.type	_ZN9rocsparseL41csrmvn_lrb_medium_rows_warp_reduce_kernelILj256ELj64Ell18rocsparse_bfloat16S1_ffEEvbT1_lPT2_S4_jNS_24const_host_device_scalarIT6_EEPKS2_PKS3_PKT3_PKT4_S7_PT5_21rocsparse_index_base_b,@function
_ZN9rocsparseL41csrmvn_lrb_medium_rows_warp_reduce_kernelILj256ELj64Ell18rocsparse_bfloat16S1_ffEEvbT1_lPT2_S4_jNS_24const_host_device_scalarIT6_EEPKS2_PKS3_PKT3_PKT4_S7_PT5_21rocsparse_index_base_b: ; @_ZN9rocsparseL41csrmvn_lrb_medium_rows_warp_reduce_kernelILj256ELj64Ell18rocsparse_bfloat16S1_ffEEvbT1_lPT2_S4_jNS_24const_host_device_scalarIT6_EEPKS2_PKS3_PKT3_PKT4_S7_PT5_21rocsparse_index_base_b
; %bb.0:
	s_load_dwordx2 s[8:9], s[4:5], 0x68
	s_load_dwordx2 s[10:11], s[4:5], 0x30
	;; [unrolled: 1-line block ×3, first 2 shown]
	s_waitcnt lgkmcnt(0)
	s_bitcmp1_b32 s9, 0
	s_cselect_b64 s[12:13], -1, 0
	s_xor_b64 s[0:1], s[12:13], -1
	s_and_b64 vcc, exec, s[12:13]
	s_cbranch_vccnz .LBB149_2
; %bb.1:
	s_load_dword s10, s[10:11], 0x0
.LBB149_2:
	s_andn2_b64 vcc, exec, s[0:1]
	s_cbranch_vccnz .LBB149_4
; %bb.3:
	s_load_dword s2, s[2:3], 0x0
.LBB149_4:
	s_waitcnt lgkmcnt(0)
	v_cmp_neq_f32_e64 s[0:1], s10, 0
	v_cmp_neq_f32_e64 s[12:13], s2, 1.0
	s_or_b64 s[0:1], s[0:1], s[12:13]
	s_andn2_b64 vcc, exec, s[0:1]
	s_cbranch_vccnz .LBB149_14
; %bb.5:
	s_load_dwordx2 s[0:1], s[4:5], 0x10
	v_lshrrev_b32_e32 v1, 6, v0
	v_lshl_or_b32 v2, s6, 2, v1
	v_ashrrev_i32_e32 v3, 31, v2
	s_waitcnt lgkmcnt(0)
	v_cmp_gt_i64_e32 vcc, s[0:1], v[2:3]
	s_and_saveexec_b64 s[0:1], vcc
	s_cbranch_execz .LBB149_14
; %bb.6:
	s_load_dword s0, s[4:5], 0x28
	s_load_dwordx4 s[12:15], s[4:5], 0x18
	s_mov_b32 s1, 0
	v_lshlrev_b64 v[2:3], 3, v[2:3]
	v_and_b32_e32 v10, 63, v0
	s_waitcnt lgkmcnt(0)
	s_lshl_b64 s[6:7], s[0:1], 3
	s_add_u32 s6, s14, s6
	s_addc_u32 s7, s15, s7
	s_load_dwordx2 s[6:7], s[6:7], 0x0
	v_mov_b32_e32 v11, 0
	s_waitcnt lgkmcnt(0)
	s_lshl_b64 s[6:7], s[6:7], 3
	s_add_u32 s0, s12, s6
	s_addc_u32 s3, s13, s7
	v_mov_b32_e32 v1, s3
	v_add_co_u32_e32 v2, vcc, s0, v2
	v_addc_co_u32_e32 v3, vcc, v1, v3, vcc
	global_load_dwordx2 v[2:3], v[2:3], off
	s_load_dwordx2 s[6:7], s[4:5], 0x38
	s_waitcnt lgkmcnt(0)
	v_mov_b32_e32 v1, s7
	s_waitcnt vmcnt(0)
	v_lshlrev_b64 v[4:5], 3, v[2:3]
	v_add_co_u32_e32 v4, vcc, s6, v4
	v_addc_co_u32_e32 v5, vcc, v1, v5, vcc
	global_load_dwordx4 v[4:7], v[4:5], off
	v_subrev_co_u32_e32 v8, vcc, s8, v10
	s_load_dwordx2 s[6:7], s[4:5], 0x60
	v_subb_co_u32_e64 v9, s[12:13], 0, 0, vcc
	s_waitcnt vmcnt(0)
	v_subrev_co_u32_e32 v0, vcc, s8, v6
	v_subbrev_co_u32_e32 v1, vcc, 0, v7, vcc
	v_add_co_u32_e32 v4, vcc, v4, v8
	v_addc_co_u32_e32 v5, vcc, v5, v9, vcc
	v_cmp_lt_i64_e32 vcc, v[4:5], v[0:1]
	s_and_saveexec_b64 s[12:13], vcc
	s_cbranch_execz .LBB149_10
; %bb.7:
	s_load_dwordx4 s[16:19], s[4:5], 0x40
	s_load_dwordx2 s[14:15], s[4:5], 0x50
	v_lshlrev_b64 v[6:7], 1, v[4:5]
	s_mov_b64 s[4:5], 0
	v_mov_b32_e32 v12, s1
	s_waitcnt lgkmcnt(0)
	v_mov_b32_e32 v8, s19
	v_add_co_u32_e32 v6, vcc, s18, v6
	v_addc_co_u32_e32 v7, vcc, v8, v7, vcc
	v_lshlrev_b64 v[8:9], 3, v[4:5]
	v_mov_b32_e32 v11, s17
	v_add_co_u32_e32 v8, vcc, s16, v8
	v_addc_co_u32_e32 v9, vcc, v11, v9, vcc
	v_mov_b32_e32 v11, 0
	v_mov_b32_e32 v13, s15
.LBB149_8:                              ; =>This Inner Loop Header: Depth=1
	global_load_dwordx2 v[14:15], v[8:9], off
	global_load_ushort v16, v[6:7], off
	s_waitcnt vmcnt(1)
	v_subrev_co_u32_e32 v14, vcc, s8, v14
	v_subb_co_u32_e32 v15, vcc, v15, v12, vcc
	v_lshlrev_b64 v[14:15], 1, v[14:15]
	v_add_co_u32_e32 v14, vcc, s14, v14
	v_addc_co_u32_e32 v15, vcc, v13, v15, vcc
	global_load_ushort v14, v[14:15], off
	v_add_co_u32_e32 v4, vcc, 64, v4
	v_addc_co_u32_e32 v5, vcc, 0, v5, vcc
	v_add_co_u32_e32 v6, vcc, 0x80, v6
	v_addc_co_u32_e32 v7, vcc, 0, v7, vcc
	s_waitcnt vmcnt(1)
	v_lshlrev_b32_e32 v15, 16, v16
	v_add_co_u32_e32 v8, vcc, 0x200, v8
	v_cmp_ge_i64_e64 s[0:1], v[4:5], v[0:1]
	v_mul_f32_e32 v15, s10, v15
	v_addc_co_u32_e32 v9, vcc, 0, v9, vcc
	s_or_b64 s[4:5], s[0:1], s[4:5]
	s_waitcnt vmcnt(0)
	v_lshlrev_b32_e32 v14, 16, v14
	v_fmac_f32_e32 v11, v15, v14
	s_andn2_b64 exec, exec, s[4:5]
	s_cbranch_execnz .LBB149_8
; %bb.9:
	s_or_b64 exec, exec, s[4:5]
.LBB149_10:
	s_or_b64 exec, exec, s[12:13]
	v_mov_b32_dpp v0, v11 row_shr:1 row_mask:0xf bank_mask:0xf
	v_add_f32_e32 v0, v11, v0
	v_cmp_eq_u32_e32 vcc, 63, v10
	s_nop 0
	v_mov_b32_dpp v1, v0 row_shr:2 row_mask:0xf bank_mask:0xf
	v_add_f32_e32 v0, v0, v1
	s_nop 1
	v_mov_b32_dpp v1, v0 row_shr:4 row_mask:0xf bank_mask:0xe
	v_add_f32_e32 v0, v0, v1
	;; [unrolled: 3-line block ×3, first 2 shown]
	s_nop 1
	v_mov_b32_dpp v1, v0 row_bcast:15 row_mask:0xa bank_mask:0xf
	v_add_f32_e32 v0, v0, v1
	s_nop 1
	v_mov_b32_dpp v1, v0 row_bcast:31 row_mask:0xc bank_mask:0xf
	s_and_b64 exec, exec, vcc
	s_cbranch_execz .LBB149_14
; %bb.11:
	v_cmp_eq_f32_e64 s[0:1], s2, 0
	v_add_f32_e32 v4, v0, v1
	s_and_b64 vcc, exec, s[0:1]
	v_lshlrev_b64 v[0:1], 2, v[2:3]
	s_cbranch_vccnz .LBB149_13
; %bb.12:
	s_waitcnt lgkmcnt(0)
	v_mov_b32_e32 v3, s7
	v_add_co_u32_e32 v2, vcc, s6, v0
	v_addc_co_u32_e32 v3, vcc, v3, v1, vcc
	global_load_dword v2, v[2:3], off
	s_waitcnt vmcnt(0)
	v_fmac_f32_e32 v4, s2, v2
.LBB149_13:
	s_waitcnt lgkmcnt(0)
	v_mov_b32_e32 v2, s7
	v_add_co_u32_e32 v0, vcc, s6, v0
	v_addc_co_u32_e32 v1, vcc, v2, v1, vcc
	global_store_dword v[0:1], v4, off
.LBB149_14:
	s_endpgm
	.section	.rodata,"a",@progbits
	.p2align	6, 0x0
	.amdhsa_kernel _ZN9rocsparseL41csrmvn_lrb_medium_rows_warp_reduce_kernelILj256ELj64Ell18rocsparse_bfloat16S1_ffEEvbT1_lPT2_S4_jNS_24const_host_device_scalarIT6_EEPKS2_PKS3_PKT3_PKT4_S7_PT5_21rocsparse_index_base_b
		.amdhsa_group_segment_fixed_size 0
		.amdhsa_private_segment_fixed_size 0
		.amdhsa_kernarg_size 112
		.amdhsa_user_sgpr_count 6
		.amdhsa_user_sgpr_private_segment_buffer 1
		.amdhsa_user_sgpr_dispatch_ptr 0
		.amdhsa_user_sgpr_queue_ptr 0
		.amdhsa_user_sgpr_kernarg_segment_ptr 1
		.amdhsa_user_sgpr_dispatch_id 0
		.amdhsa_user_sgpr_flat_scratch_init 0
		.amdhsa_user_sgpr_kernarg_preload_length 0
		.amdhsa_user_sgpr_kernarg_preload_offset 0
		.amdhsa_user_sgpr_private_segment_size 0
		.amdhsa_uses_dynamic_stack 0
		.amdhsa_system_sgpr_private_segment_wavefront_offset 0
		.amdhsa_system_sgpr_workgroup_id_x 1
		.amdhsa_system_sgpr_workgroup_id_y 0
		.amdhsa_system_sgpr_workgroup_id_z 0
		.amdhsa_system_sgpr_workgroup_info 0
		.amdhsa_system_vgpr_workitem_id 0
		.amdhsa_next_free_vgpr 17
		.amdhsa_next_free_sgpr 20
		.amdhsa_accum_offset 20
		.amdhsa_reserve_vcc 1
		.amdhsa_reserve_flat_scratch 0
		.amdhsa_float_round_mode_32 0
		.amdhsa_float_round_mode_16_64 0
		.amdhsa_float_denorm_mode_32 3
		.amdhsa_float_denorm_mode_16_64 3
		.amdhsa_dx10_clamp 1
		.amdhsa_ieee_mode 1
		.amdhsa_fp16_overflow 0
		.amdhsa_tg_split 0
		.amdhsa_exception_fp_ieee_invalid_op 0
		.amdhsa_exception_fp_denorm_src 0
		.amdhsa_exception_fp_ieee_div_zero 0
		.amdhsa_exception_fp_ieee_overflow 0
		.amdhsa_exception_fp_ieee_underflow 0
		.amdhsa_exception_fp_ieee_inexact 0
		.amdhsa_exception_int_div_zero 0
	.end_amdhsa_kernel
	.section	.text._ZN9rocsparseL41csrmvn_lrb_medium_rows_warp_reduce_kernelILj256ELj64Ell18rocsparse_bfloat16S1_ffEEvbT1_lPT2_S4_jNS_24const_host_device_scalarIT6_EEPKS2_PKS3_PKT3_PKT4_S7_PT5_21rocsparse_index_base_b,"axG",@progbits,_ZN9rocsparseL41csrmvn_lrb_medium_rows_warp_reduce_kernelILj256ELj64Ell18rocsparse_bfloat16S1_ffEEvbT1_lPT2_S4_jNS_24const_host_device_scalarIT6_EEPKS2_PKS3_PKT3_PKT4_S7_PT5_21rocsparse_index_base_b,comdat
.Lfunc_end149:
	.size	_ZN9rocsparseL41csrmvn_lrb_medium_rows_warp_reduce_kernelILj256ELj64Ell18rocsparse_bfloat16S1_ffEEvbT1_lPT2_S4_jNS_24const_host_device_scalarIT6_EEPKS2_PKS3_PKT3_PKT4_S7_PT5_21rocsparse_index_base_b, .Lfunc_end149-_ZN9rocsparseL41csrmvn_lrb_medium_rows_warp_reduce_kernelILj256ELj64Ell18rocsparse_bfloat16S1_ffEEvbT1_lPT2_S4_jNS_24const_host_device_scalarIT6_EEPKS2_PKS3_PKT3_PKT4_S7_PT5_21rocsparse_index_base_b
                                        ; -- End function
	.section	.AMDGPU.csdata,"",@progbits
; Kernel info:
; codeLenInByte = 736
; NumSgprs: 24
; NumVgprs: 17
; NumAgprs: 0
; TotalNumVgprs: 17
; ScratchSize: 0
; MemoryBound: 0
; FloatMode: 240
; IeeeMode: 1
; LDSByteSize: 0 bytes/workgroup (compile time only)
; SGPRBlocks: 2
; VGPRBlocks: 2
; NumSGPRsForWavesPerEU: 24
; NumVGPRsForWavesPerEU: 17
; AccumOffset: 20
; Occupancy: 8
; WaveLimiterHint : 1
; COMPUTE_PGM_RSRC2:SCRATCH_EN: 0
; COMPUTE_PGM_RSRC2:USER_SGPR: 6
; COMPUTE_PGM_RSRC2:TRAP_HANDLER: 0
; COMPUTE_PGM_RSRC2:TGID_X_EN: 1
; COMPUTE_PGM_RSRC2:TGID_Y_EN: 0
; COMPUTE_PGM_RSRC2:TGID_Z_EN: 0
; COMPUTE_PGM_RSRC2:TIDIG_COMP_CNT: 0
; COMPUTE_PGM_RSRC3_GFX90A:ACCUM_OFFSET: 4
; COMPUTE_PGM_RSRC3_GFX90A:TG_SPLIT: 0
	.section	.text._ZN9rocsparseL29csrmvn_lrb_medium_rows_kernelILj256Ell18rocsparse_bfloat16S1_ffEEvbT0_PT1_S4_jNS_24const_host_device_scalarIT5_EEPKS2_PKS3_PKT2_PKT3_S7_PT4_21rocsparse_index_base_b,"axG",@progbits,_ZN9rocsparseL29csrmvn_lrb_medium_rows_kernelILj256Ell18rocsparse_bfloat16S1_ffEEvbT0_PT1_S4_jNS_24const_host_device_scalarIT5_EEPKS2_PKS3_PKT2_PKT3_S7_PT4_21rocsparse_index_base_b,comdat
	.globl	_ZN9rocsparseL29csrmvn_lrb_medium_rows_kernelILj256Ell18rocsparse_bfloat16S1_ffEEvbT0_PT1_S4_jNS_24const_host_device_scalarIT5_EEPKS2_PKS3_PKT2_PKT3_S7_PT4_21rocsparse_index_base_b ; -- Begin function _ZN9rocsparseL29csrmvn_lrb_medium_rows_kernelILj256Ell18rocsparse_bfloat16S1_ffEEvbT0_PT1_S4_jNS_24const_host_device_scalarIT5_EEPKS2_PKS3_PKT2_PKT3_S7_PT4_21rocsparse_index_base_b
	.p2align	8
	.type	_ZN9rocsparseL29csrmvn_lrb_medium_rows_kernelILj256Ell18rocsparse_bfloat16S1_ffEEvbT0_PT1_S4_jNS_24const_host_device_scalarIT5_EEPKS2_PKS3_PKT2_PKT3_S7_PT4_21rocsparse_index_base_b,@function
_ZN9rocsparseL29csrmvn_lrb_medium_rows_kernelILj256Ell18rocsparse_bfloat16S1_ffEEvbT0_PT1_S4_jNS_24const_host_device_scalarIT5_EEPKS2_PKS3_PKT2_PKT3_S7_PT4_21rocsparse_index_base_b: ; @_ZN9rocsparseL29csrmvn_lrb_medium_rows_kernelILj256Ell18rocsparse_bfloat16S1_ffEEvbT0_PT1_S4_jNS_24const_host_device_scalarIT5_EEPKS2_PKS3_PKT2_PKT3_S7_PT4_21rocsparse_index_base_b
; %bb.0:
	s_load_dwordx2 s[10:11], s[4:5], 0x60
	s_load_dwordx2 s[12:13], s[4:5], 0x28
	;; [unrolled: 1-line block ×3, first 2 shown]
	s_waitcnt lgkmcnt(0)
	s_bitcmp1_b32 s11, 0
	s_cselect_b64 s[8:9], -1, 0
	s_xor_b64 s[0:1], s[8:9], -1
	s_and_b64 vcc, exec, s[8:9]
	s_cbranch_vccnz .LBB150_2
; %bb.1:
	s_load_dword s12, s[12:13], 0x0
.LBB150_2:
	s_andn2_b64 vcc, exec, s[0:1]
	s_cbranch_vccnz .LBB150_4
; %bb.3:
	s_load_dword s2, s[2:3], 0x0
.LBB150_4:
	s_waitcnt lgkmcnt(0)
	v_cmp_neq_f32_e64 s[0:1], s12, 0
	v_cmp_neq_f32_e64 s[8:9], s2, 1.0
	s_or_b64 s[0:1], s[0:1], s[8:9]
	s_andn2_b64 vcc, exec, s[0:1]
	s_mov_b32 s0, 0
	s_cbranch_vccnz .LBB150_29
; %bb.5:
	s_load_dword s8, s[4:5], 0x20
	s_load_dwordx4 s[16:19], s[4:5], 0x10
	s_mov_b32 s9, s0
	v_subrev_co_u32_e32 v1, vcc, s10, v0
	s_waitcnt lgkmcnt(0)
	s_lshl_b64 s[8:9], s[8:9], 3
	s_add_u32 s8, s18, s8
	s_addc_u32 s9, s19, s9
	s_load_dwordx2 s[8:9], s[8:9], 0x0
	s_ashr_i32 s7, s6, 31
	v_mov_b32_e32 v8, 0
	s_waitcnt lgkmcnt(0)
	s_lshl_b64 s[8:9], s[8:9], 3
	s_add_u32 s1, s16, s8
	s_addc_u32 s3, s17, s9
	s_lshl_b64 s[6:7], s[6:7], 3
	s_add_u32 s14, s1, s6
	s_addc_u32 s15, s3, s7
	s_load_dwordx2 s[8:9], s[14:15], 0x0
	s_load_dwordx2 s[16:17], s[4:5], 0x30
	;; [unrolled: 1-line block ×3, first 2 shown]
	s_waitcnt lgkmcnt(0)
	s_lshl_b64 s[14:15], s[8:9], 3
	s_add_u32 s14, s16, s14
	s_addc_u32 s15, s17, s15
	s_load_dwordx4 s[16:19], s[14:15], 0x0
	v_subb_co_u32_e64 v3, s[14:15], 0, 0, vcc
	s_waitcnt lgkmcnt(0)
	s_sub_u32 s14, s18, s10
	v_mov_b32_e32 v4, s17
	v_add_co_u32_e32 v2, vcc, s16, v1
	s_subb_u32 s15, s19, 0
	v_addc_co_u32_e32 v3, vcc, v4, v3, vcc
	v_cmp_gt_i64_e32 vcc, s[14:15], v[2:3]
	s_and_saveexec_b64 s[16:17], vcc
	s_cbranch_execz .LBB150_9
; %bb.6:
	s_load_dwordx4 s[20:23], s[4:5], 0x38
	s_load_dwordx2 s[18:19], s[4:5], 0x48
	v_lshlrev_b64 v[4:5], 1, v[2:3]
	v_lshlrev_b64 v[6:7], 3, v[2:3]
	s_mov_b64 s[4:5], 0
	s_waitcnt lgkmcnt(0)
	v_mov_b32_e32 v1, s23
	v_add_co_u32_e32 v4, vcc, s22, v4
	v_addc_co_u32_e32 v5, vcc, v1, v5, vcc
	v_mov_b32_e32 v1, s21
	v_add_co_u32_e32 v6, vcc, s20, v6
	v_addc_co_u32_e32 v7, vcc, v1, v7, vcc
	v_mov_b32_e32 v8, 0
	v_mov_b32_e32 v1, s0
	;; [unrolled: 1-line block ×3, first 2 shown]
	s_movk_i32 s3, 0x100
.LBB150_7:                              ; =>This Inner Loop Header: Depth=1
	global_load_dwordx2 v[10:11], v[6:7], off
	global_load_ushort v12, v[4:5], off
	s_waitcnt vmcnt(1)
	v_subrev_co_u32_e32 v10, vcc, s10, v10
	v_subb_co_u32_e32 v11, vcc, v11, v1, vcc
	v_lshlrev_b64 v[10:11], 1, v[10:11]
	v_add_co_u32_e32 v10, vcc, s18, v10
	v_addc_co_u32_e32 v11, vcc, v9, v11, vcc
	global_load_ushort v10, v[10:11], off
	v_add_co_u32_e32 v2, vcc, s3, v2
	v_addc_co_u32_e32 v3, vcc, 0, v3, vcc
	v_add_co_u32_e32 v4, vcc, 0x200, v4
	v_addc_co_u32_e32 v5, vcc, 0, v5, vcc
	s_waitcnt vmcnt(1)
	v_lshlrev_b32_e32 v11, 16, v12
	v_add_co_u32_e32 v6, vcc, 0x800, v6
	v_cmp_le_i64_e64 s[0:1], s[14:15], v[2:3]
	v_mul_f32_e32 v11, s12, v11
	v_addc_co_u32_e32 v7, vcc, 0, v7, vcc
	s_or_b64 s[4:5], s[0:1], s[4:5]
	s_waitcnt vmcnt(0)
	v_lshlrev_b32_e32 v10, 16, v10
	v_fmac_f32_e32 v8, v11, v10
	s_andn2_b64 exec, exec, s[4:5]
	s_cbranch_execnz .LBB150_7
; %bb.8:
	s_or_b64 exec, exec, s[4:5]
.LBB150_9:
	s_or_b64 exec, exec, s[16:17]
	s_movk_i32 s0, 0x80
	v_lshlrev_b32_e32 v1, 2, v0
	v_cmp_gt_u32_e32 vcc, s0, v0
	ds_write_b32 v1, v8
	s_waitcnt lgkmcnt(0)
	s_barrier
	s_and_saveexec_b64 s[0:1], vcc
	s_cbranch_execz .LBB150_11
; %bb.10:
	ds_read2st64_b32 v[2:3], v1 offset1:2
	s_waitcnt lgkmcnt(0)
	v_add_f32_e32 v2, v2, v3
	ds_write_b32 v1, v2
.LBB150_11:
	s_or_b64 exec, exec, s[0:1]
	v_cmp_gt_u32_e32 vcc, 64, v0
	s_waitcnt lgkmcnt(0)
	s_barrier
	s_and_saveexec_b64 s[0:1], vcc
	s_cbranch_execz .LBB150_13
; %bb.12:
	ds_read2st64_b32 v[2:3], v1 offset1:1
	s_waitcnt lgkmcnt(0)
	v_add_f32_e32 v2, v2, v3
	ds_write_b32 v1, v2
.LBB150_13:
	s_or_b64 exec, exec, s[0:1]
	v_cmp_gt_u32_e32 vcc, 32, v0
	s_waitcnt lgkmcnt(0)
	s_barrier
	s_and_saveexec_b64 s[0:1], vcc
	s_cbranch_execz .LBB150_15
; %bb.14:
	ds_read2_b32 v[2:3], v1 offset1:32
	s_waitcnt lgkmcnt(0)
	v_add_f32_e32 v2, v2, v3
	ds_write_b32 v1, v2
.LBB150_15:
	s_or_b64 exec, exec, s[0:1]
	v_cmp_gt_u32_e32 vcc, 16, v0
	s_waitcnt lgkmcnt(0)
	s_barrier
	s_and_saveexec_b64 s[0:1], vcc
	s_cbranch_execz .LBB150_17
; %bb.16:
	ds_read2_b32 v[2:3], v1 offset1:16
	s_waitcnt lgkmcnt(0)
	v_add_f32_e32 v2, v2, v3
	ds_write_b32 v1, v2
.LBB150_17:
	;; [unrolled: 12-line block ×5, first 2 shown]
	s_or_b64 exec, exec, s[0:1]
	v_cmp_eq_u32_e32 vcc, 0, v0
	s_waitcnt lgkmcnt(0)
	s_barrier
	s_and_saveexec_b64 s[0:1], vcc
	s_cbranch_execz .LBB150_25
; %bb.24:
	v_mov_b32_e32 v2, 0
	ds_read_b64 v[0:1], v2
	s_waitcnt lgkmcnt(0)
	v_add_f32_e32 v0, v0, v1
	ds_write_b32 v2, v0
.LBB150_25:
	s_or_b64 exec, exec, s[0:1]
	s_waitcnt lgkmcnt(0)
	s_barrier
	s_and_saveexec_b64 s[0:1], vcc
	s_cbranch_execz .LBB150_29
; %bb.26:
	v_mov_b32_e32 v0, 0
	ds_read_b32 v1, v0
	v_cmp_eq_f32_e64 s[0:1], s2, 0
	s_and_b64 vcc, exec, s[0:1]
	s_cbranch_vccnz .LBB150_28
; %bb.27:
	s_lshl_b64 s[0:1], s[8:9], 2
	s_add_u32 s0, s6, s0
	s_addc_u32 s1, s7, s1
	s_load_dword s0, s[0:1], 0x0
	s_waitcnt lgkmcnt(0)
	v_mov_b32_e32 v2, s0
	v_fmac_f32_e32 v1, s2, v2
.LBB150_28:
	s_lshl_b64 s[0:1], s[8:9], 2
	s_add_u32 s0, s6, s0
	s_addc_u32 s1, s7, s1
	s_waitcnt lgkmcnt(0)
	global_store_dword v0, v1, s[0:1]
.LBB150_29:
	s_endpgm
	.section	.rodata,"a",@progbits
	.p2align	6, 0x0
	.amdhsa_kernel _ZN9rocsparseL29csrmvn_lrb_medium_rows_kernelILj256Ell18rocsparse_bfloat16S1_ffEEvbT0_PT1_S4_jNS_24const_host_device_scalarIT5_EEPKS2_PKS3_PKT2_PKT3_S7_PT4_21rocsparse_index_base_b
		.amdhsa_group_segment_fixed_size 1024
		.amdhsa_private_segment_fixed_size 0
		.amdhsa_kernarg_size 104
		.amdhsa_user_sgpr_count 6
		.amdhsa_user_sgpr_private_segment_buffer 1
		.amdhsa_user_sgpr_dispatch_ptr 0
		.amdhsa_user_sgpr_queue_ptr 0
		.amdhsa_user_sgpr_kernarg_segment_ptr 1
		.amdhsa_user_sgpr_dispatch_id 0
		.amdhsa_user_sgpr_flat_scratch_init 0
		.amdhsa_user_sgpr_kernarg_preload_length 0
		.amdhsa_user_sgpr_kernarg_preload_offset 0
		.amdhsa_user_sgpr_private_segment_size 0
		.amdhsa_uses_dynamic_stack 0
		.amdhsa_system_sgpr_private_segment_wavefront_offset 0
		.amdhsa_system_sgpr_workgroup_id_x 1
		.amdhsa_system_sgpr_workgroup_id_y 0
		.amdhsa_system_sgpr_workgroup_id_z 0
		.amdhsa_system_sgpr_workgroup_info 0
		.amdhsa_system_vgpr_workitem_id 0
		.amdhsa_next_free_vgpr 13
		.amdhsa_next_free_sgpr 24
		.amdhsa_accum_offset 16
		.amdhsa_reserve_vcc 1
		.amdhsa_reserve_flat_scratch 0
		.amdhsa_float_round_mode_32 0
		.amdhsa_float_round_mode_16_64 0
		.amdhsa_float_denorm_mode_32 3
		.amdhsa_float_denorm_mode_16_64 3
		.amdhsa_dx10_clamp 1
		.amdhsa_ieee_mode 1
		.amdhsa_fp16_overflow 0
		.amdhsa_tg_split 0
		.amdhsa_exception_fp_ieee_invalid_op 0
		.amdhsa_exception_fp_denorm_src 0
		.amdhsa_exception_fp_ieee_div_zero 0
		.amdhsa_exception_fp_ieee_overflow 0
		.amdhsa_exception_fp_ieee_underflow 0
		.amdhsa_exception_fp_ieee_inexact 0
		.amdhsa_exception_int_div_zero 0
	.end_amdhsa_kernel
	.section	.text._ZN9rocsparseL29csrmvn_lrb_medium_rows_kernelILj256Ell18rocsparse_bfloat16S1_ffEEvbT0_PT1_S4_jNS_24const_host_device_scalarIT5_EEPKS2_PKS3_PKT2_PKT3_S7_PT4_21rocsparse_index_base_b,"axG",@progbits,_ZN9rocsparseL29csrmvn_lrb_medium_rows_kernelILj256Ell18rocsparse_bfloat16S1_ffEEvbT0_PT1_S4_jNS_24const_host_device_scalarIT5_EEPKS2_PKS3_PKT2_PKT3_S7_PT4_21rocsparse_index_base_b,comdat
.Lfunc_end150:
	.size	_ZN9rocsparseL29csrmvn_lrb_medium_rows_kernelILj256Ell18rocsparse_bfloat16S1_ffEEvbT0_PT1_S4_jNS_24const_host_device_scalarIT5_EEPKS2_PKS3_PKT2_PKT3_S7_PT4_21rocsparse_index_base_b, .Lfunc_end150-_ZN9rocsparseL29csrmvn_lrb_medium_rows_kernelILj256Ell18rocsparse_bfloat16S1_ffEEvbT0_PT1_S4_jNS_24const_host_device_scalarIT5_EEPKS2_PKS3_PKT2_PKT3_S7_PT4_21rocsparse_index_base_b
                                        ; -- End function
	.section	.AMDGPU.csdata,"",@progbits
; Kernel info:
; codeLenInByte = 1008
; NumSgprs: 28
; NumVgprs: 13
; NumAgprs: 0
; TotalNumVgprs: 13
; ScratchSize: 0
; MemoryBound: 0
; FloatMode: 240
; IeeeMode: 1
; LDSByteSize: 1024 bytes/workgroup (compile time only)
; SGPRBlocks: 3
; VGPRBlocks: 1
; NumSGPRsForWavesPerEU: 28
; NumVGPRsForWavesPerEU: 13
; AccumOffset: 16
; Occupancy: 8
; WaveLimiterHint : 1
; COMPUTE_PGM_RSRC2:SCRATCH_EN: 0
; COMPUTE_PGM_RSRC2:USER_SGPR: 6
; COMPUTE_PGM_RSRC2:TRAP_HANDLER: 0
; COMPUTE_PGM_RSRC2:TGID_X_EN: 1
; COMPUTE_PGM_RSRC2:TGID_Y_EN: 0
; COMPUTE_PGM_RSRC2:TGID_Z_EN: 0
; COMPUTE_PGM_RSRC2:TIDIG_COMP_CNT: 0
; COMPUTE_PGM_RSRC3_GFX90A:ACCUM_OFFSET: 3
; COMPUTE_PGM_RSRC3_GFX90A:TG_SPLIT: 0
	.section	.text._ZN9rocsparseL27csrmvn_lrb_long_rows_kernelIll18rocsparse_bfloat16S1_ffEEvbT_PjPT0_S5_jNS_24const_host_device_scalarIT4_EEPKS2_PKS4_PKT1_PKT2_S8_PT3_21rocsparse_index_base_b,"axG",@progbits,_ZN9rocsparseL27csrmvn_lrb_long_rows_kernelIll18rocsparse_bfloat16S1_ffEEvbT_PjPT0_S5_jNS_24const_host_device_scalarIT4_EEPKS2_PKS4_PKT1_PKT2_S8_PT3_21rocsparse_index_base_b,comdat
	.globl	_ZN9rocsparseL27csrmvn_lrb_long_rows_kernelIll18rocsparse_bfloat16S1_ffEEvbT_PjPT0_S5_jNS_24const_host_device_scalarIT4_EEPKS2_PKS4_PKT1_PKT2_S8_PT3_21rocsparse_index_base_b ; -- Begin function _ZN9rocsparseL27csrmvn_lrb_long_rows_kernelIll18rocsparse_bfloat16S1_ffEEvbT_PjPT0_S5_jNS_24const_host_device_scalarIT4_EEPKS2_PKS4_PKT1_PKT2_S8_PT3_21rocsparse_index_base_b
	.p2align	8
	.type	_ZN9rocsparseL27csrmvn_lrb_long_rows_kernelIll18rocsparse_bfloat16S1_ffEEvbT_PjPT0_S5_jNS_24const_host_device_scalarIT4_EEPKS2_PKS4_PKT1_PKT2_S8_PT3_21rocsparse_index_base_b,@function
_ZN9rocsparseL27csrmvn_lrb_long_rows_kernelIll18rocsparse_bfloat16S1_ffEEvbT_PjPT0_S5_jNS_24const_host_device_scalarIT4_EEPKS2_PKS4_PKT1_PKT2_S8_PT3_21rocsparse_index_base_b: ; @_ZN9rocsparseL27csrmvn_lrb_long_rows_kernelIll18rocsparse_bfloat16S1_ffEEvbT_PjPT0_S5_jNS_24const_host_device_scalarIT4_EEPKS2_PKS4_PKT1_PKT2_S8_PT3_21rocsparse_index_base_b
; %bb.0:
	s_load_dwordx2 s[16:17], s[4:5], 0x68
	s_load_dwordx2 s[18:19], s[4:5], 0x30
	;; [unrolled: 1-line block ×3, first 2 shown]
	s_waitcnt lgkmcnt(0)
	s_bitcmp1_b32 s17, 0
	s_cselect_b64 s[2:3], -1, 0
	s_xor_b64 s[0:1], s[2:3], -1
	s_and_b64 vcc, exec, s[2:3]
	s_cbranch_vccnz .LBB151_2
; %bb.1:
	s_load_dword s18, s[18:19], 0x0
.LBB151_2:
	s_andn2_b64 vcc, exec, s[0:1]
	s_cbranch_vccnz .LBB151_4
; %bb.3:
	s_load_dword s20, s[20:21], 0x0
.LBB151_4:
	s_waitcnt lgkmcnt(0)
	v_cmp_neq_f32_e64 s[0:1], s18, 0
	v_cmp_neq_f32_e64 s[2:3], s20, 1.0
	s_or_b64 s[0:1], s[0:1], s[2:3]
	s_andn2_b64 vcc, exec, s[0:1]
	s_mov_b32 s1, 0
	s_cbranch_vccnz .LBB151_39
; %bb.5:
	s_load_dword s0, s[4:5], 0x28
	s_load_dwordx2 s[2:3], s[4:5], 0x20
	s_waitcnt lgkmcnt(0)
	s_lshl_b64 s[8:9], s[0:1], 3
	s_add_u32 s2, s2, s8
	s_addc_u32 s3, s3, s9
	s_lshl_b32 s0, -1, s0
	s_not_b32 s0, s0
	s_mul_hi_u32 s0, s0, 0x2aaaaaab
	s_lshr_b32 s0, s0, 7
	s_add_i32 s7, s0, 1
	v_cvt_f32_u32_e32 v1, s7
	s_load_dwordx4 s[8:11], s[4:5], 0x10
	s_load_dwordx2 s[12:13], s[2:3], 0x0
	s_not_b32 s0, s0
	v_rcp_iflag_f32_e32 v1, v1
	v_mul_f32_e32 v1, 0x4f7ffffe, v1
	v_cvt_u32_f32_e32 v1, v1
	v_readfirstlane_b32 s2, v1
	s_mul_i32 s0, s0, s2
	s_mul_hi_u32 s0, s2, s0
	s_add_i32 s2, s2, s0
	s_mul_hi_u32 s0, s6, s2
	s_mul_i32 s2, s0, s7
	s_sub_i32 s2, s6, s2
	s_add_i32 s3, s0, 1
	s_sub_i32 s14, s2, s7
	s_cmp_ge_u32 s2, s7
	s_cselect_b32 s0, s3, s0
	s_cselect_b32 s2, s14, s2
	s_add_i32 s3, s0, 1
	s_cmp_ge_u32 s2, s7
	s_cselect_b32 s0, s3, s0
	s_mul_i32 s7, s0, s7
	s_waitcnt lgkmcnt(0)
	s_lshl_b64 s[2:3], s[12:13], 3
	s_sub_i32 s17, s6, s7
	s_add_u32 s2, s10, s2
	s_addc_u32 s3, s11, s3
	s_lshl_b64 s[0:1], s[0:1], 3
	s_add_u32 s0, s2, s0
	s_addc_u32 s1, s3, s1
	s_load_dwordx2 s[12:13], s[0:1], 0x0
	s_load_dwordx2 s[2:3], s[4:5], 0x38
	;; [unrolled: 1-line block ×3, first 2 shown]
	v_or_b32_e32 v1, s17, v0
	v_cmp_eq_u32_e32 vcc, 0, v1
	s_waitcnt lgkmcnt(0)
	s_lshl_b64 s[0:1], s[12:13], 3
	s_add_u32 s0, s2, s0
	s_addc_u32 s1, s3, s1
	s_ashr_i32 s7, s6, 31
	s_sub_u32 s14, s6, s17
	s_subb_u32 s15, s7, 0
	s_lshl_b64 s[6:7], s[6:7], 2
	s_add_u32 s6, s8, s6
	s_addc_u32 s7, s9, s7
	s_load_dwordx4 s[0:3], s[0:1], 0x0
	v_mov_b32_e32 v1, 0
	s_load_dword s19, s[6:7], 0x0
	s_and_saveexec_b64 s[22:23], vcc
	s_cbranch_execz .LBB151_9
; %bb.6:
	s_lshl_b64 s[26:27], s[12:13], 2
	s_add_u32 s26, s10, s26
	s_addc_u32 s27, s11, s27
	s_load_dword s26, s[26:27], 0x0
	s_mov_b64 s[24:25], exec
	v_mbcnt_lo_u32_b32 v2, s24, 0
	v_mbcnt_hi_u32_b32 v2, s25, v2
	v_add_f32_e64 v1, s20, -1.0
	v_cmp_eq_u32_e32 vcc, 0, v2
	s_waitcnt vmcnt(0) expcnt(0) lgkmcnt(0)
	s_and_saveexec_b64 s[20:21], vcc
	s_cbranch_execz .LBB151_8
; %bb.7:
	s_lshl_b64 s[28:29], s[14:15], 2
	s_add_u32 s28, s8, s28
	s_addc_u32 s29, s9, s29
	s_bcnt1_i32_b64 s24, s[24:25]
	s_and_b32 s24, s24, 1
	v_mov_b32_e32 v2, 0
	v_mov_b32_e32 v3, s24
	global_atomic_xor v2, v3, s[28:29]
.LBB151_8:
	s_or_b64 exec, exec, s[20:21]
	v_mul_f32_e32 v1, s26, v1
.LBB151_9:
	s_or_b64 exec, exec, s[22:23]
	s_waitcnt lgkmcnt(0)
	s_sub_u32 s0, s0, s16
	s_mul_i32 s21, s17, 0x300
	s_subb_u32 s1, s1, 0
	s_mul_hi_u32 s20, s17, 0x300
	s_add_u32 s22, s0, s21
	s_addc_u32 s23, s1, s20
	s_sub_u32 s0, s2, s16
	s_subb_u32 s1, s3, 0
	s_add_u32 s2, s22, 0x300
	s_addc_u32 s3, s23, 0
	v_pk_mov_b32 v[2:3], s[0:1], s[0:1] op_sel:[0,1]
	v_cmp_lt_i64_e32 vcc, s[2:3], v[2:3]
	s_and_b64 s[20:21], vcc, exec
	v_mov_b32_e32 v3, s23
	v_add_co_u32_e32 v2, vcc, s22, v0
	s_cselect_b32 s3, s3, s1
	s_cselect_b32 s2, s2, s0
	v_addc_co_u32_e32 v3, vcc, 0, v3, vcc
	s_mov_b32 s24, 0
	v_cmp_gt_i64_e32 vcc, s[2:3], v[2:3]
	s_and_saveexec_b64 s[20:21], vcc
	s_cbranch_execz .LBB151_13
; %bb.10:
	s_load_dwordx4 s[28:31], s[4:5], 0x40
	s_load_dwordx2 s[22:23], s[4:5], 0x50
	v_lshlrev_b64 v[4:5], 1, v[2:3]
	s_mov_b64 s[4:5], 0
	s_waitcnt lgkmcnt(0)
	v_mov_b32_e32 v6, s31
	v_add_co_u32_e32 v4, vcc, s30, v4
	v_addc_co_u32_e32 v5, vcc, v6, v5, vcc
	v_lshlrev_b64 v[6:7], 3, v[2:3]
	v_mov_b32_e32 v8, s29
	v_add_co_u32_e32 v6, vcc, s28, v6
	v_addc_co_u32_e32 v7, vcc, v8, v7, vcc
	v_mov_b32_e32 v8, s24
	v_mov_b32_e32 v9, s23
	s_movk_i32 s23, 0x100
.LBB151_11:                             ; =>This Inner Loop Header: Depth=1
	global_load_dwordx2 v[10:11], v[6:7], off
	global_load_ushort v12, v[4:5], off
	s_waitcnt vmcnt(1)
	v_subrev_co_u32_e32 v10, vcc, s16, v10
	v_subb_co_u32_e32 v11, vcc, v11, v8, vcc
	v_lshlrev_b64 v[10:11], 1, v[10:11]
	v_add_co_u32_e32 v10, vcc, s22, v10
	v_addc_co_u32_e32 v11, vcc, v9, v11, vcc
	global_load_ushort v10, v[10:11], off
	v_add_co_u32_e32 v2, vcc, s23, v2
	v_addc_co_u32_e32 v3, vcc, 0, v3, vcc
	v_add_co_u32_e32 v4, vcc, 0x200, v4
	v_addc_co_u32_e32 v5, vcc, 0, v5, vcc
	s_waitcnt vmcnt(1)
	v_lshlrev_b32_e32 v11, 16, v12
	v_add_co_u32_e32 v6, vcc, 0x800, v6
	v_cmp_le_i64_e64 s[0:1], s[2:3], v[2:3]
	v_mul_f32_e32 v11, s18, v11
	v_addc_co_u32_e32 v7, vcc, 0, v7, vcc
	s_or_b64 s[4:5], s[0:1], s[4:5]
	s_waitcnt vmcnt(0)
	v_lshlrev_b32_e32 v10, 16, v10
	v_fmac_f32_e32 v1, v11, v10
	s_andn2_b64 exec, exec, s[4:5]
	s_cbranch_execnz .LBB151_11
; %bb.12:
	s_or_b64 exec, exec, s[4:5]
.LBB151_13:
	s_or_b64 exec, exec, s[20:21]
	s_movk_i32 s0, 0x80
	v_lshlrev_b32_e32 v2, 2, v0
	v_cmp_gt_u32_e32 vcc, s0, v0
	ds_write_b32 v2, v1
	s_waitcnt lgkmcnt(0)
	s_barrier
	s_and_saveexec_b64 s[0:1], vcc
	s_cbranch_execz .LBB151_15
; %bb.14:
	ds_read2st64_b32 v[4:5], v2 offset1:2
	s_waitcnt lgkmcnt(0)
	v_add_f32_e32 v1, v4, v5
	ds_write_b32 v2, v1
.LBB151_15:
	s_or_b64 exec, exec, s[0:1]
	v_cmp_gt_u32_e32 vcc, 64, v0
	s_waitcnt lgkmcnt(0)
	s_barrier
	s_and_saveexec_b64 s[0:1], vcc
	s_cbranch_execz .LBB151_17
; %bb.16:
	ds_read2st64_b32 v[4:5], v2 offset1:1
	s_waitcnt lgkmcnt(0)
	v_add_f32_e32 v1, v4, v5
	ds_write_b32 v2, v1
.LBB151_17:
	s_or_b64 exec, exec, s[0:1]
	v_cmp_gt_u32_e32 vcc, 32, v0
	s_waitcnt lgkmcnt(0)
	s_barrier
	s_and_saveexec_b64 s[0:1], vcc
	s_cbranch_execz .LBB151_19
; %bb.18:
	ds_read2_b32 v[4:5], v2 offset1:32
	s_waitcnt lgkmcnt(0)
	v_add_f32_e32 v1, v4, v5
	ds_write_b32 v2, v1
.LBB151_19:
	s_or_b64 exec, exec, s[0:1]
	v_cmp_gt_u32_e32 vcc, 16, v0
	s_waitcnt lgkmcnt(0)
	s_barrier
	s_and_saveexec_b64 s[0:1], vcc
	s_cbranch_execz .LBB151_21
; %bb.20:
	ds_read2_b32 v[4:5], v2 offset1:16
	s_waitcnt lgkmcnt(0)
	v_add_f32_e32 v1, v4, v5
	ds_write_b32 v2, v1
.LBB151_21:
	s_or_b64 exec, exec, s[0:1]
	v_cmp_gt_u32_e32 vcc, 8, v0
	s_waitcnt lgkmcnt(0)
	s_barrier
	s_and_saveexec_b64 s[0:1], vcc
	s_cbranch_execz .LBB151_23
; %bb.22:
	ds_read2_b32 v[4:5], v2 offset1:8
	s_waitcnt lgkmcnt(0)
	v_add_f32_e32 v1, v4, v5
	ds_write_b32 v2, v1
.LBB151_23:
	s_or_b64 exec, exec, s[0:1]
	v_cmp_gt_u32_e32 vcc, 4, v0
	s_waitcnt lgkmcnt(0)
	s_barrier
	s_and_saveexec_b64 s[0:1], vcc
	s_cbranch_execz .LBB151_25
; %bb.24:
	ds_read2_b32 v[4:5], v2 offset1:4
	s_waitcnt lgkmcnt(0)
	v_add_f32_e32 v1, v4, v5
	ds_write_b32 v2, v1
.LBB151_25:
	s_or_b64 exec, exec, s[0:1]
	v_cmp_gt_u32_e32 vcc, 2, v0
	s_waitcnt lgkmcnt(0)
	s_barrier
	s_and_saveexec_b64 s[0:1], vcc
	s_cbranch_execz .LBB151_27
; %bb.26:
	ds_read2_b32 v[4:5], v2 offset1:2
	s_waitcnt lgkmcnt(0)
	v_add_f32_e32 v1, v4, v5
	ds_write_b32 v2, v1
.LBB151_27:
	s_or_b64 exec, exec, s[0:1]
	v_cmp_eq_u32_e32 vcc, 0, v0
	s_waitcnt lgkmcnt(0)
	s_barrier
	s_and_saveexec_b64 s[0:1], vcc
	s_cbranch_execz .LBB151_29
; %bb.28:
	v_mov_b32_e32 v2, 0
	ds_read_b64 v[0:1], v2
	s_waitcnt lgkmcnt(0)
	v_add_f32_e32 v0, v0, v1
	ds_write_b32 v2, v0
.LBB151_29:
	s_or_b64 exec, exec, s[0:1]
	s_waitcnt lgkmcnt(0)
	s_barrier
	s_and_saveexec_b64 s[0:1], vcc
	s_cbranch_execz .LBB151_39
; %bb.30:
	s_cmp_eq_u32 s17, 0
	s_cbranch_scc1 .LBB151_36
; %bb.31:
	s_lshl_b64 s[0:1], s[14:15], 2
	s_add_u32 s0, s8, s0
	s_addc_u32 s1, s9, s1
	v_mov_b32_e32 v0, 0
	s_branch .LBB151_33
.LBB151_32:                             ;   in Loop: Header=BB151_33 Depth=1
	s_or_b64 exec, exec, s[2:3]
	s_waitcnt vmcnt(0)
	v_readfirstlane_b32 s2, v1
	s_cmp_eq_u32 s2, s19
	s_cbranch_scc0 .LBB151_35
.LBB151_33:                             ; =>This Inner Loop Header: Depth=1
	v_mbcnt_lo_u32_b32 v1, exec_lo, 0
	v_mbcnt_hi_u32_b32 v1, exec_hi, v1
	v_cmp_eq_u32_e32 vcc, 0, v1
                                        ; implicit-def: $vgpr1
	s_and_saveexec_b64 s[2:3], vcc
	s_cbranch_execz .LBB151_32
; %bb.34:                               ;   in Loop: Header=BB151_33 Depth=1
	global_load_dword v1, v0, s[0:1] glc
	s_branch .LBB151_32
.LBB151_35:
	v_mov_b32_e32 v0, 0
	global_load_dword v1, v0, s[6:7]
	s_waitcnt vmcnt(0)
	v_xor_b32_e32 v1, 1, v1
	global_store_dword v0, v1, s[6:7]
.LBB151_36:
	s_mov_b64 s[2:3], exec
	v_mbcnt_lo_u32_b32 v0, s2, 0
	v_mbcnt_hi_u32_b32 v0, s3, v0
	v_cmp_eq_u32_e32 vcc, 0, v0
	s_and_b64 s[0:1], exec, vcc
	s_mov_b64 exec, s[0:1]
	s_cbranch_execz .LBB151_39
; %bb.37:
	s_lshl_b64 s[0:1], s[12:13], 2
	s_add_u32 s0, s10, s0
	s_addc_u32 s1, s11, s1
	v_mov_b32_e32 v2, 0
	global_load_dword v1, v2, s[0:1]
	ds_read_b32 v0, v2
	s_bcnt1_i32_b64 s2, s[2:3]
	v_cvt_f32_ubyte0_e32 v3, s2
	s_mov_b64 s[2:3], 0
	s_waitcnt lgkmcnt(0)
	v_mul_f32_e32 v3, v0, v3
.LBB151_38:                             ; =>This Inner Loop Header: Depth=1
	s_waitcnt vmcnt(0)
	v_add_f32_e32 v0, v1, v3
	global_atomic_cmpswap v0, v2, v[0:1], s[0:1] glc
	s_waitcnt vmcnt(0)
	v_cmp_eq_u32_e32 vcc, v0, v1
	s_or_b64 s[2:3], vcc, s[2:3]
	v_mov_b32_e32 v1, v0
	s_andn2_b64 exec, exec, s[2:3]
	s_cbranch_execnz .LBB151_38
.LBB151_39:
	s_endpgm
	.section	.rodata,"a",@progbits
	.p2align	6, 0x0
	.amdhsa_kernel _ZN9rocsparseL27csrmvn_lrb_long_rows_kernelIll18rocsparse_bfloat16S1_ffEEvbT_PjPT0_S5_jNS_24const_host_device_scalarIT4_EEPKS2_PKS4_PKT1_PKT2_S8_PT3_21rocsparse_index_base_b
		.amdhsa_group_segment_fixed_size 1024
		.amdhsa_private_segment_fixed_size 0
		.amdhsa_kernarg_size 112
		.amdhsa_user_sgpr_count 6
		.amdhsa_user_sgpr_private_segment_buffer 1
		.amdhsa_user_sgpr_dispatch_ptr 0
		.amdhsa_user_sgpr_queue_ptr 0
		.amdhsa_user_sgpr_kernarg_segment_ptr 1
		.amdhsa_user_sgpr_dispatch_id 0
		.amdhsa_user_sgpr_flat_scratch_init 0
		.amdhsa_user_sgpr_kernarg_preload_length 0
		.amdhsa_user_sgpr_kernarg_preload_offset 0
		.amdhsa_user_sgpr_private_segment_size 0
		.amdhsa_uses_dynamic_stack 0
		.amdhsa_system_sgpr_private_segment_wavefront_offset 0
		.amdhsa_system_sgpr_workgroup_id_x 1
		.amdhsa_system_sgpr_workgroup_id_y 0
		.amdhsa_system_sgpr_workgroup_id_z 0
		.amdhsa_system_sgpr_workgroup_info 0
		.amdhsa_system_vgpr_workitem_id 0
		.amdhsa_next_free_vgpr 13
		.amdhsa_next_free_sgpr 32
		.amdhsa_accum_offset 16
		.amdhsa_reserve_vcc 1
		.amdhsa_reserve_flat_scratch 0
		.amdhsa_float_round_mode_32 0
		.amdhsa_float_round_mode_16_64 0
		.amdhsa_float_denorm_mode_32 3
		.amdhsa_float_denorm_mode_16_64 3
		.amdhsa_dx10_clamp 1
		.amdhsa_ieee_mode 1
		.amdhsa_fp16_overflow 0
		.amdhsa_tg_split 0
		.amdhsa_exception_fp_ieee_invalid_op 0
		.amdhsa_exception_fp_denorm_src 0
		.amdhsa_exception_fp_ieee_div_zero 0
		.amdhsa_exception_fp_ieee_overflow 0
		.amdhsa_exception_fp_ieee_underflow 0
		.amdhsa_exception_fp_ieee_inexact 0
		.amdhsa_exception_int_div_zero 0
	.end_amdhsa_kernel
	.section	.text._ZN9rocsparseL27csrmvn_lrb_long_rows_kernelIll18rocsparse_bfloat16S1_ffEEvbT_PjPT0_S5_jNS_24const_host_device_scalarIT4_EEPKS2_PKS4_PKT1_PKT2_S8_PT3_21rocsparse_index_base_b,"axG",@progbits,_ZN9rocsparseL27csrmvn_lrb_long_rows_kernelIll18rocsparse_bfloat16S1_ffEEvbT_PjPT0_S5_jNS_24const_host_device_scalarIT4_EEPKS2_PKS4_PKT1_PKT2_S8_PT3_21rocsparse_index_base_b,comdat
.Lfunc_end151:
	.size	_ZN9rocsparseL27csrmvn_lrb_long_rows_kernelIll18rocsparse_bfloat16S1_ffEEvbT_PjPT0_S5_jNS_24const_host_device_scalarIT4_EEPKS2_PKS4_PKT1_PKT2_S8_PT3_21rocsparse_index_base_b, .Lfunc_end151-_ZN9rocsparseL27csrmvn_lrb_long_rows_kernelIll18rocsparse_bfloat16S1_ffEEvbT_PjPT0_S5_jNS_24const_host_device_scalarIT4_EEPKS2_PKS4_PKT1_PKT2_S8_PT3_21rocsparse_index_base_b
                                        ; -- End function
	.section	.AMDGPU.csdata,"",@progbits
; Kernel info:
; codeLenInByte = 1500
; NumSgprs: 36
; NumVgprs: 13
; NumAgprs: 0
; TotalNumVgprs: 13
; ScratchSize: 0
; MemoryBound: 0
; FloatMode: 240
; IeeeMode: 1
; LDSByteSize: 1024 bytes/workgroup (compile time only)
; SGPRBlocks: 4
; VGPRBlocks: 1
; NumSGPRsForWavesPerEU: 36
; NumVGPRsForWavesPerEU: 13
; AccumOffset: 16
; Occupancy: 8
; WaveLimiterHint : 1
; COMPUTE_PGM_RSRC2:SCRATCH_EN: 0
; COMPUTE_PGM_RSRC2:USER_SGPR: 6
; COMPUTE_PGM_RSRC2:TRAP_HANDLER: 0
; COMPUTE_PGM_RSRC2:TGID_X_EN: 1
; COMPUTE_PGM_RSRC2:TGID_Y_EN: 0
; COMPUTE_PGM_RSRC2:TGID_Z_EN: 0
; COMPUTE_PGM_RSRC2:TIDIG_COMP_CNT: 0
; COMPUTE_PGM_RSRC3_GFX90A:ACCUM_OFFSET: 3
; COMPUTE_PGM_RSRC3_GFX90A:TG_SPLIT: 0
	.section	.text._ZN9rocsparseL28csrmvn_lrb_short_rows_kernelIiif21rocsparse_complex_numIfES2_S2_EEvbT_PT0_S5_jNS_24const_host_device_scalarIT4_EEPKS3_PKS4_PKT1_PKT2_S8_PT3_21rocsparse_index_base_b,"axG",@progbits,_ZN9rocsparseL28csrmvn_lrb_short_rows_kernelIiif21rocsparse_complex_numIfES2_S2_EEvbT_PT0_S5_jNS_24const_host_device_scalarIT4_EEPKS3_PKS4_PKT1_PKT2_S8_PT3_21rocsparse_index_base_b,comdat
	.globl	_ZN9rocsparseL28csrmvn_lrb_short_rows_kernelIiif21rocsparse_complex_numIfES2_S2_EEvbT_PT0_S5_jNS_24const_host_device_scalarIT4_EEPKS3_PKS4_PKT1_PKT2_S8_PT3_21rocsparse_index_base_b ; -- Begin function _ZN9rocsparseL28csrmvn_lrb_short_rows_kernelIiif21rocsparse_complex_numIfES2_S2_EEvbT_PT0_S5_jNS_24const_host_device_scalarIT4_EEPKS3_PKS4_PKT1_PKT2_S8_PT3_21rocsparse_index_base_b
	.p2align	8
	.type	_ZN9rocsparseL28csrmvn_lrb_short_rows_kernelIiif21rocsparse_complex_numIfES2_S2_EEvbT_PT0_S5_jNS_24const_host_device_scalarIT4_EEPKS3_PKS4_PKT1_PKT2_S8_PT3_21rocsparse_index_base_b,@function
_ZN9rocsparseL28csrmvn_lrb_short_rows_kernelIiif21rocsparse_complex_numIfES2_S2_EEvbT_PT0_S5_jNS_24const_host_device_scalarIT4_EEPKS3_PKS4_PKT1_PKT2_S8_PT3_21rocsparse_index_base_b: ; @_ZN9rocsparseL28csrmvn_lrb_short_rows_kernelIiif21rocsparse_complex_numIfES2_S2_EEvbT_PT0_S5_jNS_24const_host_device_scalarIT4_EEPKS3_PKS4_PKT1_PKT2_S8_PT3_21rocsparse_index_base_b
; %bb.0:
	s_load_dwordx2 s[16:17], s[4:5], 0x58
	s_load_dwordx2 s[8:9], s[4:5], 0x20
	;; [unrolled: 1-line block ×3, first 2 shown]
	s_waitcnt lgkmcnt(0)
	s_bitcmp1_b32 s17, 0
	s_cselect_b64 s[0:1], -1, 0
	s_xor_b64 s[10:11], s[0:1], -1
	s_and_b64 vcc, exec, s[0:1]
	v_mov_b32_e32 v4, s8
	s_cbranch_vccnz .LBB152_2
; %bb.1:
	v_pk_mov_b32 v[2:3], s[8:9], s[8:9] op_sel:[0,1]
	flat_load_dword v4, v[2:3]
.LBB152_2:
	v_cndmask_b32_e64 v1, 0, 1, s[10:11]
	v_cmp_ne_u32_e64 s[0:1], 1, v1
	s_andn2_b64 vcc, exec, s[10:11]
	v_mov_b32_e32 v5, s9
	s_cbranch_vccz .LBB152_17
; %bb.3:
	s_and_b64 vcc, exec, s[0:1]
	v_mov_b32_e32 v2, s2
	s_cbranch_vccz .LBB152_18
.LBB152_4:
	s_and_b64 vcc, exec, s[0:1]
	v_mov_b32_e32 v3, s3
	s_cbranch_vccnz .LBB152_6
.LBB152_5:
	v_pk_mov_b32 v[6:7], s[2:3], s[2:3] op_sel:[0,1]
	flat_load_dword v3, v[6:7] offset:4
.LBB152_6:
	s_waitcnt vmcnt(0) lgkmcnt(0)
	v_or_b32_e32 v1, v4, v5
	v_and_b32_e32 v1, 0x7fffffff, v1
	v_cmp_eq_u32_e32 vcc, 0, v1
	s_mov_b64 s[0:1], -1
	s_and_saveexec_b64 s[2:3], vcc
; %bb.7:
	v_and_b32_e32 v1, 0x7fffffff, v3
	v_cmp_neq_f32_e32 vcc, 1.0, v2
	v_cmp_ne_u32_e64 s[0:1], 0, v1
	s_or_b64 s[0:1], vcc, s[0:1]
	s_orn2_b64 s[0:1], s[0:1], exec
; %bb.8:
	s_or_b64 exec, exec, s[2:3]
	s_and_saveexec_b64 s[2:3], s[0:1]
	s_cbranch_execz .LBB152_25
; %bb.9:
	s_load_dword s18, s[4:5], 0x18
	s_load_dwordx4 s[0:3], s[4:5], 0x8
	s_mov_b32 s19, 0
	s_mov_b32 s9, s19
	s_waitcnt lgkmcnt(0)
	s_lshl_b64 s[10:11], s[18:19], 2
	s_add_u32 s10, s2, s10
	s_addc_u32 s11, s3, s11
	s_add_i32 s8, s18, 1
	s_lshl_b64 s[8:9], s[8:9], 2
	s_add_u32 s2, s2, s8
	s_addc_u32 s3, s3, s9
	s_load_dword s17, s[10:11], 0x0
	s_load_dword s7, s[2:3], 0x0
	s_lshl_b32 s20, s6, 8
	s_add_i32 s3, s20, 0x100
	s_waitcnt lgkmcnt(0)
	s_sub_i32 s2, s7, s17
	s_min_u32 s21, s2, s3
	s_cmp_gt_u32 s18, 23
	s_cbranch_scc1 .LBB152_19
; %bb.10:
	s_load_dwordx8 s[8:15], s[4:5], 0x28
	s_brev_b32 s3, 1
	s_mov_b32 s2, s19
	v_bfe_u32 v1, v0, 0, s18
	v_pk_mul_f32 v[8:9], v[4:5], s[2:3]
	s_lshl_b32 s22, 0x100, s18
	v_subrev_u32_e32 v12, s16, v1
	v_mov_b32_e32 v6, v9
	v_mov_b32_e32 v7, v8
	v_lshl_add_u32 v13, v0, 3, 0
	v_mov_b32_e32 v9, 0
	s_branch .LBB152_12
.LBB152_11:                             ;   in Loop: Header=BB152_12 Depth=1
	s_or_b64 exec, exec, s[2:3]
	s_addk_i32 s19, 0x100
	s_cmp_ge_u32 s19, s22
	v_add_u32_e32 v13, 0x800, v13
	s_cbranch_scc1 .LBB152_19
.LBB152_12:                             ; =>This Inner Loop Header: Depth=1
	v_add_u32_e32 v8, s19, v0
	v_lshrrev_b32_e32 v8, s18, v8
	v_add_u32_e32 v8, s20, v8
	v_cmp_gt_u32_e32 vcc, s21, v8
	s_and_saveexec_b64 s[2:3], vcc
	s_cbranch_execz .LBB152_11
; %bb.13:                               ;   in Loop: Header=BB152_12 Depth=1
	v_add_u32_e32 v8, s17, v8
	v_lshlrev_b64 v[10:11], 2, v[8:9]
	v_mov_b32_e32 v8, s1
	v_add_co_u32_e32 v10, vcc, s0, v10
	v_addc_co_u32_e32 v11, vcc, v8, v11, vcc
	global_load_dword v10, v[10:11], off
	s_waitcnt lgkmcnt(0)
	v_mov_b32_e32 v8, s9
	s_waitcnt vmcnt(0)
	v_ashrrev_i32_e32 v11, 31, v10
	v_lshlrev_b64 v[10:11], 2, v[10:11]
	v_add_co_u32_e32 v10, vcc, s8, v10
	v_addc_co_u32_e32 v11, vcc, v8, v11, vcc
	global_load_dwordx2 v[10:11], v[10:11], off
	s_waitcnt vmcnt(0)
	v_sub_u32_e32 v8, v11, v10
	v_cmp_ge_u32_e32 vcc, v1, v8
	s_and_saveexec_b64 s[6:7], vcc
	s_xor_b64 s[6:7], exec, s[6:7]
	s_cbranch_execz .LBB152_15
; %bb.14:                               ;   in Loop: Header=BB152_12 Depth=1
	ds_write2_b32 v13, v9, v9 offset1:1
                                        ; implicit-def: $vgpr10_vgpr11
.LBB152_15:                             ;   in Loop: Header=BB152_12 Depth=1
	s_andn2_saveexec_b64 s[6:7], s[6:7]
	s_cbranch_execz .LBB152_11
; %bb.16:                               ;   in Loop: Header=BB152_12 Depth=1
	v_add_u32_e32 v8, v12, v10
	v_lshlrev_b64 v[10:11], 2, v[8:9]
	v_mov_b32_e32 v8, s11
	v_add_co_u32_e32 v14, vcc, s10, v10
	v_addc_co_u32_e32 v15, vcc, v8, v11, vcc
	global_load_dword v14, v[14:15], off
	v_mov_b32_e32 v8, s13
	v_add_co_u32_e32 v10, vcc, s12, v10
	v_addc_co_u32_e32 v11, vcc, v8, v11, vcc
	global_load_dword v8, v[10:11], off
	v_mov_b32_e32 v15, s15
	s_waitcnt vmcnt(1)
	v_subrev_u32_e32 v10, s16, v14
	v_ashrrev_i32_e32 v11, 31, v10
	v_lshlrev_b64 v[10:11], 3, v[10:11]
	v_add_co_u32_e32 v10, vcc, s14, v10
	v_addc_co_u32_e32 v11, vcc, v15, v11, vcc
	global_load_dwordx2 v[10:11], v[10:11], off
	s_waitcnt vmcnt(1)
	v_pk_fma_f32 v[14:15], v[4:5], v[8:9], v[6:7] op_sel_hi:[1,0,1]
	s_waitcnt vmcnt(0)
	v_pk_mul_f32 v[16:17], v[10:11], v[14:15] op_sel:[1,1] op_sel_hi:[1,0] neg_lo:[0,1]
	v_pk_fma_f32 v[10:11], v[14:15], v[10:11], v[16:17] op_sel_hi:[1,0,1]
	ds_write2_b32 v13, v10, v11 offset1:1
	s_branch .LBB152_11
.LBB152_17:
	v_pk_mov_b32 v[2:3], s[8:9], s[8:9] op_sel:[0,1]
	flat_load_dword v5, v[2:3] offset:4
	s_and_b64 vcc, exec, s[0:1]
	v_mov_b32_e32 v2, s2
	s_cbranch_vccnz .LBB152_4
.LBB152_18:
	v_pk_mov_b32 v[2:3], s[2:3], s[2:3] op_sel:[0,1]
	flat_load_dword v2, v[2:3]
	s_and_b64 vcc, exec, s[0:1]
	v_mov_b32_e32 v3, s3
	s_cbranch_vccz .LBB152_5
	s_branch .LBB152_6
.LBB152_19:
	s_sub_i32 s2, s21, s20
	v_cmp_gt_u32_e32 vcc, s2, v0
	s_waitcnt lgkmcnt(0)
	s_barrier
	s_and_b64 exec, exec, vcc
	s_cbranch_execz .LBB152_25
; %bb.20:
	s_add_i32 s17, s17, s20
	v_add_u32_e32 v4, s17, v0
	v_mov_b32_e32 v5, 0
	v_lshlrev_b64 v[6:7], 2, v[4:5]
	v_mov_b32_e32 v1, s1
	v_add_co_u32_e32 v6, vcc, s0, v6
	v_addc_co_u32_e32 v7, vcc, v1, v7, vcc
	global_load_dword v6, v[6:7], off
	s_load_dwordx2 s[2:3], s[4:5], 0x50
	v_lshlrev_b32_e32 v0, s18, v0
	v_lshl_add_u32 v0, v0, 3, 0
	s_mov_b32 s0, 1
	v_mov_b32_e32 v4, v5
.LBB152_21:                             ; =>This Inner Loop Header: Depth=1
	ds_read2_b32 v[8:9], v0 offset1:1
	s_lshr_b32 s1, s0, s18
	s_add_i32 s0, s0, 1
	v_add_u32_e32 v0, 8, v0
	s_cmp_lg_u32 s1, 0
	s_waitcnt lgkmcnt(0)
	v_pk_add_f32 v[4:5], v[4:5], v[8:9]
	s_cbranch_scc0 .LBB152_21
; %bb.22:
	v_and_b32_e32 v0, 0x7fffffff, v2
	v_cmp_ne_u32_e32 vcc, 0, v0
	v_cmp_neq_f32_e64 s[0:1], 0, v3
	s_waitcnt vmcnt(0)
	v_ashrrev_i32_e32 v7, 31, v6
	s_or_b64 s[4:5], vcc, s[0:1]
	v_lshlrev_b64 v[0:1], 3, v[6:7]
	s_and_saveexec_b64 s[0:1], s[4:5]
	s_cbranch_execz .LBB152_24
; %bb.23:
	v_mov_b32_e32 v7, s3
	v_add_co_u32_e32 v6, vcc, s2, v0
	v_addc_co_u32_e32 v7, vcc, v7, v1, vcc
	global_load_dwordx2 v[6:7], v[6:7], off
	v_xor_b32_e32 v8, 0x80000000, v3
	v_mov_b32_e32 v9, v2
	s_waitcnt vmcnt(0)
	v_pk_fma_f32 v[4:5], v[2:3], v[6:7], v[4:5] op_sel_hi:[1,0,1]
	v_pk_fma_f32 v[4:5], v[8:9], v[6:7], v[4:5] op_sel:[0,1,0]
.LBB152_24:
	s_or_b64 exec, exec, s[0:1]
	v_mov_b32_e32 v2, s3
	v_add_co_u32_e32 v0, vcc, s2, v0
	v_addc_co_u32_e32 v1, vcc, v2, v1, vcc
	global_store_dwordx2 v[0:1], v[4:5], off
.LBB152_25:
	s_endpgm
	.section	.rodata,"a",@progbits
	.p2align	6, 0x0
	.amdhsa_kernel _ZN9rocsparseL28csrmvn_lrb_short_rows_kernelIiif21rocsparse_complex_numIfES2_S2_EEvbT_PT0_S5_jNS_24const_host_device_scalarIT4_EEPKS3_PKS4_PKT1_PKT2_S8_PT3_21rocsparse_index_base_b
		.amdhsa_group_segment_fixed_size 0
		.amdhsa_private_segment_fixed_size 0
		.amdhsa_kernarg_size 96
		.amdhsa_user_sgpr_count 6
		.amdhsa_user_sgpr_private_segment_buffer 1
		.amdhsa_user_sgpr_dispatch_ptr 0
		.amdhsa_user_sgpr_queue_ptr 0
		.amdhsa_user_sgpr_kernarg_segment_ptr 1
		.amdhsa_user_sgpr_dispatch_id 0
		.amdhsa_user_sgpr_flat_scratch_init 0
		.amdhsa_user_sgpr_kernarg_preload_length 0
		.amdhsa_user_sgpr_kernarg_preload_offset 0
		.amdhsa_user_sgpr_private_segment_size 0
		.amdhsa_uses_dynamic_stack 0
		.amdhsa_system_sgpr_private_segment_wavefront_offset 0
		.amdhsa_system_sgpr_workgroup_id_x 1
		.amdhsa_system_sgpr_workgroup_id_y 0
		.amdhsa_system_sgpr_workgroup_id_z 0
		.amdhsa_system_sgpr_workgroup_info 0
		.amdhsa_system_vgpr_workitem_id 0
		.amdhsa_next_free_vgpr 18
		.amdhsa_next_free_sgpr 23
		.amdhsa_accum_offset 20
		.amdhsa_reserve_vcc 1
		.amdhsa_reserve_flat_scratch 0
		.amdhsa_float_round_mode_32 0
		.amdhsa_float_round_mode_16_64 0
		.amdhsa_float_denorm_mode_32 3
		.amdhsa_float_denorm_mode_16_64 3
		.amdhsa_dx10_clamp 1
		.amdhsa_ieee_mode 1
		.amdhsa_fp16_overflow 0
		.amdhsa_tg_split 0
		.amdhsa_exception_fp_ieee_invalid_op 0
		.amdhsa_exception_fp_denorm_src 0
		.amdhsa_exception_fp_ieee_div_zero 0
		.amdhsa_exception_fp_ieee_overflow 0
		.amdhsa_exception_fp_ieee_underflow 0
		.amdhsa_exception_fp_ieee_inexact 0
		.amdhsa_exception_int_div_zero 0
	.end_amdhsa_kernel
	.section	.text._ZN9rocsparseL28csrmvn_lrb_short_rows_kernelIiif21rocsparse_complex_numIfES2_S2_EEvbT_PT0_S5_jNS_24const_host_device_scalarIT4_EEPKS3_PKS4_PKT1_PKT2_S8_PT3_21rocsparse_index_base_b,"axG",@progbits,_ZN9rocsparseL28csrmvn_lrb_short_rows_kernelIiif21rocsparse_complex_numIfES2_S2_EEvbT_PT0_S5_jNS_24const_host_device_scalarIT4_EEPKS3_PKS4_PKT1_PKT2_S8_PT3_21rocsparse_index_base_b,comdat
.Lfunc_end152:
	.size	_ZN9rocsparseL28csrmvn_lrb_short_rows_kernelIiif21rocsparse_complex_numIfES2_S2_EEvbT_PT0_S5_jNS_24const_host_device_scalarIT4_EEPKS3_PKS4_PKT1_PKT2_S8_PT3_21rocsparse_index_base_b, .Lfunc_end152-_ZN9rocsparseL28csrmvn_lrb_short_rows_kernelIiif21rocsparse_complex_numIfES2_S2_EEvbT_PT0_S5_jNS_24const_host_device_scalarIT4_EEPKS3_PKS4_PKT1_PKT2_S8_PT3_21rocsparse_index_base_b
                                        ; -- End function
	.section	.AMDGPU.csdata,"",@progbits
; Kernel info:
; codeLenInByte = 992
; NumSgprs: 27
; NumVgprs: 18
; NumAgprs: 0
; TotalNumVgprs: 18
; ScratchSize: 0
; MemoryBound: 0
; FloatMode: 240
; IeeeMode: 1
; LDSByteSize: 0 bytes/workgroup (compile time only)
; SGPRBlocks: 3
; VGPRBlocks: 2
; NumSGPRsForWavesPerEU: 27
; NumVGPRsForWavesPerEU: 18
; AccumOffset: 20
; Occupancy: 8
; WaveLimiterHint : 1
; COMPUTE_PGM_RSRC2:SCRATCH_EN: 0
; COMPUTE_PGM_RSRC2:USER_SGPR: 6
; COMPUTE_PGM_RSRC2:TRAP_HANDLER: 0
; COMPUTE_PGM_RSRC2:TGID_X_EN: 1
; COMPUTE_PGM_RSRC2:TGID_Y_EN: 0
; COMPUTE_PGM_RSRC2:TGID_Z_EN: 0
; COMPUTE_PGM_RSRC2:TIDIG_COMP_CNT: 0
; COMPUTE_PGM_RSRC3_GFX90A:ACCUM_OFFSET: 4
; COMPUTE_PGM_RSRC3_GFX90A:TG_SPLIT: 0
	.section	.text._ZN9rocsparseL30csrmvn_lrb_short_rows_2_kernelIiif21rocsparse_complex_numIfES2_S2_EEvbT_PT0_S5_jNS_24const_host_device_scalarIT4_EEPKS3_PKS4_PKT1_PKT2_S8_PT3_21rocsparse_index_base_b,"axG",@progbits,_ZN9rocsparseL30csrmvn_lrb_short_rows_2_kernelIiif21rocsparse_complex_numIfES2_S2_EEvbT_PT0_S5_jNS_24const_host_device_scalarIT4_EEPKS3_PKS4_PKT1_PKT2_S8_PT3_21rocsparse_index_base_b,comdat
	.globl	_ZN9rocsparseL30csrmvn_lrb_short_rows_2_kernelIiif21rocsparse_complex_numIfES2_S2_EEvbT_PT0_S5_jNS_24const_host_device_scalarIT4_EEPKS3_PKS4_PKT1_PKT2_S8_PT3_21rocsparse_index_base_b ; -- Begin function _ZN9rocsparseL30csrmvn_lrb_short_rows_2_kernelIiif21rocsparse_complex_numIfES2_S2_EEvbT_PT0_S5_jNS_24const_host_device_scalarIT4_EEPKS3_PKS4_PKT1_PKT2_S8_PT3_21rocsparse_index_base_b
	.p2align	8
	.type	_ZN9rocsparseL30csrmvn_lrb_short_rows_2_kernelIiif21rocsparse_complex_numIfES2_S2_EEvbT_PT0_S5_jNS_24const_host_device_scalarIT4_EEPKS3_PKS4_PKT1_PKT2_S8_PT3_21rocsparse_index_base_b,@function
_ZN9rocsparseL30csrmvn_lrb_short_rows_2_kernelIiif21rocsparse_complex_numIfES2_S2_EEvbT_PT0_S5_jNS_24const_host_device_scalarIT4_EEPKS3_PKS4_PKT1_PKT2_S8_PT3_21rocsparse_index_base_b: ; @_ZN9rocsparseL30csrmvn_lrb_short_rows_2_kernelIiif21rocsparse_complex_numIfES2_S2_EEvbT_PT0_S5_jNS_24const_host_device_scalarIT4_EEPKS3_PKS4_PKT1_PKT2_S8_PT3_21rocsparse_index_base_b
; %bb.0:
	s_load_dwordx2 s[20:21], s[4:5], 0x58
	s_load_dwordx2 s[8:9], s[4:5], 0x20
	s_load_dwordx2 s[2:3], s[4:5], 0x48
	s_waitcnt lgkmcnt(0)
	s_bitcmp1_b32 s21, 0
	s_cselect_b64 s[0:1], -1, 0
	s_xor_b64 s[10:11], s[0:1], -1
	s_and_b64 vcc, exec, s[0:1]
	v_mov_b32_e32 v4, s8
	s_cbranch_vccnz .LBB153_2
; %bb.1:
	v_pk_mov_b32 v[2:3], s[8:9], s[8:9] op_sel:[0,1]
	flat_load_dword v4, v[2:3]
.LBB153_2:
	v_cndmask_b32_e64 v1, 0, 1, s[10:11]
	v_cmp_ne_u32_e64 s[0:1], 1, v1
	s_andn2_b64 vcc, exec, s[10:11]
	v_mov_b32_e32 v5, s9
	s_cbranch_vccz .LBB153_39
; %bb.3:
	s_and_b64 vcc, exec, s[0:1]
	v_mov_b32_e32 v2, s2
	s_cbranch_vccz .LBB153_40
.LBB153_4:
	s_and_b64 vcc, exec, s[0:1]
	v_mov_b32_e32 v3, s3
	s_cbranch_vccnz .LBB153_6
.LBB153_5:
	v_pk_mov_b32 v[6:7], s[2:3], s[2:3] op_sel:[0,1]
	flat_load_dword v3, v[6:7] offset:4
.LBB153_6:
	s_waitcnt vmcnt(0) lgkmcnt(0)
	v_or_b32_e32 v1, v4, v5
	v_and_b32_e32 v1, 0x7fffffff, v1
	v_cmp_eq_u32_e32 vcc, 0, v1
	s_mov_b64 s[0:1], -1
	s_and_saveexec_b64 s[2:3], vcc
; %bb.7:
	v_and_b32_e32 v1, 0x7fffffff, v3
	v_cmp_neq_f32_e32 vcc, 1.0, v2
	v_cmp_ne_u32_e64 s[0:1], 0, v1
	s_or_b64 s[0:1], vcc, s[0:1]
	s_orn2_b64 s[0:1], s[0:1], exec
; %bb.8:
	s_or_b64 exec, exec, s[2:3]
	s_and_saveexec_b64 s[2:3], s[0:1]
	s_cbranch_execz .LBB153_38
; %bb.9:
	s_load_dword s2, s[4:5], 0x18
	s_load_dwordx4 s[16:19], s[4:5], 0x8
	s_mov_b32 s3, 0
	s_mov_b32 s1, s3
	s_waitcnt lgkmcnt(0)
	s_lshl_b64 s[8:9], s[2:3], 2
	s_add_u32 s22, s18, s8
	s_addc_u32 s23, s19, s9
	s_add_i32 s0, s2, 1
	s_lshl_b64 s[0:1], s[0:1], 2
	s_add_u32 s0, s18, s0
	s_addc_u32 s1, s19, s1
	s_load_dword s19, s[22:23], 0x0
	s_load_dword s7, s[0:1], 0x0
	s_load_dwordx8 s[8:15], s[4:5], 0x28
	s_lshr_b32 s18, 0x400, s2
	s_mul_i32 s21, s18, s6
	s_add_i32 s1, s21, s18
	s_waitcnt lgkmcnt(0)
	s_sub_i32 s0, s7, s19
	s_min_u32 s22, s0, s1
	s_brev_b32 s1, 1
	s_mov_b32 s0, s3
	v_pk_mul_f32 v[8:9], v[4:5], s[0:1]
	v_mov_b32_e32 v7, v8
	v_lshrrev_b32_e32 v8, s2, v0
	v_bfe_u32 v12, v0, 0, s2
	v_add_u32_e32 v8, s21, v8
	v_subrev_u32_e32 v1, s20, v12
	v_mov_b32_e32 v6, v9
	v_cmp_gt_u32_e32 vcc, s22, v8
	s_and_saveexec_b64 s[0:1], vcc
	s_cbranch_execz .LBB153_14
; %bb.10:
	v_add_u32_e32 v8, s19, v8
	v_mov_b32_e32 v9, 0
	v_lshlrev_b64 v[10:11], 2, v[8:9]
	v_mov_b32_e32 v8, s17
	v_add_co_u32_e32 v10, vcc, s16, v10
	v_addc_co_u32_e32 v11, vcc, v8, v11, vcc
	global_load_dword v10, v[10:11], off
	v_mov_b32_e32 v8, s9
	s_waitcnt vmcnt(0)
	v_ashrrev_i32_e32 v11, 31, v10
	v_lshlrev_b64 v[10:11], 2, v[10:11]
	v_add_co_u32_e32 v10, vcc, s8, v10
	v_addc_co_u32_e32 v11, vcc, v8, v11, vcc
	global_load_dwordx2 v[10:11], v[10:11], off
	s_waitcnt vmcnt(0)
	v_sub_u32_e32 v8, v11, v10
	v_cmp_ge_u32_e32 vcc, v12, v8
	s_and_saveexec_b64 s[6:7], vcc
	s_xor_b64 s[6:7], exec, s[6:7]
	s_cbranch_execz .LBB153_12
; %bb.11:
	v_lshlrev_b32_e32 v10, 3, v0
	v_mov_b32_e32 v8, v9
	ds_write_b64 v10, v[8:9]
                                        ; implicit-def: $vgpr10_vgpr11
.LBB153_12:
	s_andn2_saveexec_b64 s[6:7], s[6:7]
	s_cbranch_execz .LBB153_14
; %bb.13:
	v_add_u32_e32 v8, v10, v1
	v_mov_b32_e32 v9, 0
	v_lshlrev_b64 v[8:9], 2, v[8:9]
	v_mov_b32_e32 v11, s11
	v_add_co_u32_e32 v10, vcc, s10, v8
	v_addc_co_u32_e32 v11, vcc, v11, v9, vcc
	global_load_dword v10, v[10:11], off
	v_mov_b32_e32 v11, s13
	v_add_co_u32_e32 v8, vcc, s12, v8
	v_addc_co_u32_e32 v9, vcc, v11, v9, vcc
	v_mov_b32_e32 v13, s15
	global_load_dword v8, v[8:9], off
	s_waitcnt vmcnt(1)
	v_subrev_u32_e32 v10, s20, v10
	v_ashrrev_i32_e32 v11, 31, v10
	v_lshlrev_b64 v[10:11], 3, v[10:11]
	v_add_co_u32_e32 v10, vcc, s14, v10
	v_addc_co_u32_e32 v11, vcc, v13, v11, vcc
	global_load_dwordx2 v[10:11], v[10:11], off
	s_waitcnt vmcnt(1)
	v_pk_fma_f32 v[8:9], v[4:5], v[8:9], v[6:7] op_sel_hi:[1,0,1]
	v_lshlrev_b32_e32 v13, 3, v0
	s_waitcnt vmcnt(0)
	v_pk_mul_f32 v[14:15], v[10:11], v[8:9] op_sel:[1,1] op_sel_hi:[1,0] neg_lo:[0,1]
	v_pk_fma_f32 v[8:9], v[8:9], v[10:11], v[14:15] op_sel_hi:[1,0,1]
	ds_write_b64 v13, v[8:9]
.LBB153_14:
	s_or_b64 exec, exec, s[0:1]
	v_or_b32_e32 v8, 0x100, v0
	v_lshrrev_b32_e32 v8, s2, v8
	v_add_u32_e32 v8, s21, v8
	v_cmp_gt_u32_e32 vcc, s22, v8
	s_and_saveexec_b64 s[0:1], vcc
	s_cbranch_execz .LBB153_19
; %bb.15:
	v_add_u32_e32 v8, s19, v8
	v_mov_b32_e32 v9, 0
	v_lshlrev_b64 v[10:11], 2, v[8:9]
	v_mov_b32_e32 v8, s17
	v_add_co_u32_e32 v10, vcc, s16, v10
	v_addc_co_u32_e32 v11, vcc, v8, v11, vcc
	global_load_dword v10, v[10:11], off
	v_mov_b32_e32 v8, s9
	s_waitcnt vmcnt(0)
	v_ashrrev_i32_e32 v11, 31, v10
	v_lshlrev_b64 v[10:11], 2, v[10:11]
	v_add_co_u32_e32 v10, vcc, s8, v10
	v_addc_co_u32_e32 v11, vcc, v8, v11, vcc
	global_load_dwordx2 v[10:11], v[10:11], off
	s_waitcnt vmcnt(0)
	v_sub_u32_e32 v8, v11, v10
	v_cmp_ge_u32_e32 vcc, v12, v8
	s_and_saveexec_b64 s[6:7], vcc
	s_xor_b64 s[6:7], exec, s[6:7]
	s_cbranch_execz .LBB153_17
; %bb.16:
	v_lshlrev_b32_e32 v10, 3, v0
	v_mov_b32_e32 v8, v9
	ds_write_b64 v10, v[8:9] offset:2048
                                        ; implicit-def: $vgpr10_vgpr11
.LBB153_17:
	s_andn2_saveexec_b64 s[6:7], s[6:7]
	s_cbranch_execz .LBB153_19
; %bb.18:
	v_add_u32_e32 v8, v10, v1
	v_mov_b32_e32 v9, 0
	v_lshlrev_b64 v[8:9], 2, v[8:9]
	v_mov_b32_e32 v11, s11
	v_add_co_u32_e32 v10, vcc, s10, v8
	v_addc_co_u32_e32 v11, vcc, v11, v9, vcc
	global_load_dword v10, v[10:11], off
	v_mov_b32_e32 v11, s13
	v_add_co_u32_e32 v8, vcc, s12, v8
	v_addc_co_u32_e32 v9, vcc, v11, v9, vcc
	v_mov_b32_e32 v13, s15
	global_load_dword v8, v[8:9], off
	s_waitcnt vmcnt(1)
	v_subrev_u32_e32 v10, s20, v10
	v_ashrrev_i32_e32 v11, 31, v10
	v_lshlrev_b64 v[10:11], 3, v[10:11]
	v_add_co_u32_e32 v10, vcc, s14, v10
	v_addc_co_u32_e32 v11, vcc, v13, v11, vcc
	global_load_dwordx2 v[10:11], v[10:11], off
	s_waitcnt vmcnt(1)
	v_pk_fma_f32 v[8:9], v[4:5], v[8:9], v[6:7] op_sel_hi:[1,0,1]
	v_lshlrev_b32_e32 v13, 3, v0
	s_waitcnt vmcnt(0)
	v_pk_mul_f32 v[14:15], v[10:11], v[8:9] op_sel:[1,1] op_sel_hi:[1,0] neg_lo:[0,1]
	v_pk_fma_f32 v[8:9], v[8:9], v[10:11], v[14:15] op_sel_hi:[1,0,1]
	ds_write_b64 v13, v[8:9] offset:2048
.LBB153_19:
	s_or_b64 exec, exec, s[0:1]
	v_or_b32_e32 v8, 0x200, v0
	v_lshrrev_b32_e32 v8, s2, v8
	v_add_u32_e32 v8, s21, v8
	v_cmp_gt_u32_e32 vcc, s22, v8
	s_and_saveexec_b64 s[0:1], vcc
	s_cbranch_execz .LBB153_24
; %bb.20:
	v_add_u32_e32 v8, s19, v8
	v_mov_b32_e32 v9, 0
	v_lshlrev_b64 v[10:11], 2, v[8:9]
	v_mov_b32_e32 v8, s17
	v_add_co_u32_e32 v10, vcc, s16, v10
	v_addc_co_u32_e32 v11, vcc, v8, v11, vcc
	global_load_dword v10, v[10:11], off
	v_mov_b32_e32 v8, s9
	s_waitcnt vmcnt(0)
	v_ashrrev_i32_e32 v11, 31, v10
	v_lshlrev_b64 v[10:11], 2, v[10:11]
	v_add_co_u32_e32 v10, vcc, s8, v10
	v_addc_co_u32_e32 v11, vcc, v8, v11, vcc
	global_load_dwordx2 v[10:11], v[10:11], off
	s_waitcnt vmcnt(0)
	v_sub_u32_e32 v8, v11, v10
	v_cmp_ge_u32_e32 vcc, v12, v8
	s_and_saveexec_b64 s[6:7], vcc
	s_xor_b64 s[6:7], exec, s[6:7]
	s_cbranch_execz .LBB153_22
; %bb.21:
	v_lshlrev_b32_e32 v10, 3, v0
	v_mov_b32_e32 v8, v9
	ds_write_b64 v10, v[8:9] offset:4096
                                        ; implicit-def: $vgpr10_vgpr11
.LBB153_22:
	s_andn2_saveexec_b64 s[6:7], s[6:7]
	s_cbranch_execz .LBB153_24
; %bb.23:
	v_add_u32_e32 v8, v10, v1
	v_mov_b32_e32 v9, 0
	v_lshlrev_b64 v[8:9], 2, v[8:9]
	v_mov_b32_e32 v11, s11
	v_add_co_u32_e32 v10, vcc, s10, v8
	v_addc_co_u32_e32 v11, vcc, v11, v9, vcc
	global_load_dword v10, v[10:11], off
	v_mov_b32_e32 v11, s13
	v_add_co_u32_e32 v8, vcc, s12, v8
	v_addc_co_u32_e32 v9, vcc, v11, v9, vcc
	v_mov_b32_e32 v13, s15
	global_load_dword v8, v[8:9], off
	s_waitcnt vmcnt(1)
	v_subrev_u32_e32 v10, s20, v10
	v_ashrrev_i32_e32 v11, 31, v10
	v_lshlrev_b64 v[10:11], 3, v[10:11]
	v_add_co_u32_e32 v10, vcc, s14, v10
	v_addc_co_u32_e32 v11, vcc, v13, v11, vcc
	global_load_dwordx2 v[10:11], v[10:11], off
	s_waitcnt vmcnt(1)
	v_pk_fma_f32 v[8:9], v[4:5], v[8:9], v[6:7] op_sel_hi:[1,0,1]
	v_lshlrev_b32_e32 v13, 3, v0
	s_waitcnt vmcnt(0)
	v_pk_mul_f32 v[14:15], v[10:11], v[8:9] op_sel:[1,1] op_sel_hi:[1,0] neg_lo:[0,1]
	v_pk_fma_f32 v[8:9], v[8:9], v[10:11], v[14:15] op_sel_hi:[1,0,1]
	ds_write_b64 v13, v[8:9] offset:4096
.LBB153_24:
	s_or_b64 exec, exec, s[0:1]
	v_or_b32_e32 v8, 0x300, v0
	v_lshrrev_b32_e32 v8, s2, v8
	v_add_u32_e32 v8, s21, v8
	v_cmp_gt_u32_e32 vcc, s22, v8
	s_and_saveexec_b64 s[0:1], vcc
	s_cbranch_execz .LBB153_29
; %bb.25:
	v_add_u32_e32 v8, s19, v8
	v_mov_b32_e32 v9, 0
	v_lshlrev_b64 v[10:11], 2, v[8:9]
	v_mov_b32_e32 v8, s17
	v_add_co_u32_e32 v10, vcc, s16, v10
	v_addc_co_u32_e32 v11, vcc, v8, v11, vcc
	global_load_dword v10, v[10:11], off
	v_mov_b32_e32 v8, s9
	s_waitcnt vmcnt(0)
	v_ashrrev_i32_e32 v11, 31, v10
	v_lshlrev_b64 v[10:11], 2, v[10:11]
	v_add_co_u32_e32 v10, vcc, s8, v10
	v_addc_co_u32_e32 v11, vcc, v8, v11, vcc
	global_load_dwordx2 v[10:11], v[10:11], off
	s_waitcnt vmcnt(0)
	v_sub_u32_e32 v8, v11, v10
	v_cmp_ge_u32_e32 vcc, v12, v8
	v_lshlrev_b32_e32 v11, 3, v0
	s_and_saveexec_b64 s[6:7], vcc
	s_xor_b64 s[6:7], exec, s[6:7]
	s_cbranch_execz .LBB153_27
; %bb.26:
	v_mov_b32_e32 v8, v9
	ds_write_b64 v11, v[8:9] offset:6144
                                        ; implicit-def: $vgpr10_vgpr11
                                        ; implicit-def: $vgpr1
                                        ; implicit-def: $vgpr4_vgpr5
                                        ; implicit-def: $vgpr6_vgpr7
                                        ; implicit-def: $vgpr11
.LBB153_27:
	s_andn2_saveexec_b64 s[6:7], s[6:7]
	s_cbranch_execz .LBB153_29
; %bb.28:
	v_add_u32_e32 v8, v10, v1
	v_mov_b32_e32 v9, 0
	v_lshlrev_b64 v[8:9], 2, v[8:9]
	v_mov_b32_e32 v1, s11
	v_add_co_u32_e32 v12, vcc, s10, v8
	v_addc_co_u32_e32 v13, vcc, v1, v9, vcc
	global_load_dword v1, v[12:13], off
	v_mov_b32_e32 v10, s13
	v_add_co_u32_e32 v8, vcc, s12, v8
	v_addc_co_u32_e32 v9, vcc, v10, v9, vcc
	v_mov_b32_e32 v14, s15
	global_load_dword v8, v[8:9], off
	s_waitcnt vmcnt(1)
	v_subrev_u32_e32 v12, s20, v1
	v_ashrrev_i32_e32 v13, 31, v12
	v_lshlrev_b64 v[12:13], 3, v[12:13]
	v_add_co_u32_e32 v12, vcc, s14, v12
	v_addc_co_u32_e32 v13, vcc, v14, v13, vcc
	global_load_dwordx2 v[12:13], v[12:13], off
	s_waitcnt vmcnt(1)
	v_pk_fma_f32 v[4:5], v[4:5], v[8:9], v[6:7] op_sel_hi:[1,0,1]
	s_waitcnt vmcnt(0)
	v_pk_mul_f32 v[6:7], v[12:13], v[4:5] op_sel:[1,1] op_sel_hi:[1,0] neg_lo:[0,1]
	v_pk_fma_f32 v[4:5], v[4:5], v[12:13], v[6:7] op_sel_hi:[1,0,1]
	ds_write_b64 v11, v[4:5] offset:6144
.LBB153_29:
	s_or_b64 exec, exec, s[0:1]
	s_cmp_lt_u32 s2, 11
	s_waitcnt lgkmcnt(0)
	s_barrier
	s_cbranch_scc0 .LBB153_38
; %bb.30:
	s_load_dwordx2 s[4:5], s[4:5], 0x50
	v_and_b32_e32 v1, 0x7fffffff, v2
	v_cmp_ne_u32_e32 vcc, 0, v1
	v_cmp_neq_f32_e64 s[0:1], 0, v3
	s_sub_i32 s3, s22, s21
	s_add_i32 s19, s19, s21
	s_mov_b32 s10, 0
	s_or_b64 s[0:1], vcc, s[0:1]
	v_xor_b32_e32 v4, 0x80000000, v3
	v_mov_b32_e32 v5, v2
	v_mov_b32_e32 v7, 0
	s_branch .LBB153_33
.LBB153_31:                             ;   in Loop: Header=BB153_33 Depth=1
	s_or_b64 exec, exec, s[8:9]
	v_mov_b32_e32 v1, s5
	v_add_co_u32_e32 v10, vcc, s4, v10
	v_addc_co_u32_e32 v11, vcc, v1, v11, vcc
	global_store_dwordx2 v[10:11], v[8:9], off
.LBB153_32:                             ;   in Loop: Header=BB153_33 Depth=1
	s_or_b64 exec, exec, s[6:7]
	s_addk_i32 s10, 0x100
	s_cmp_lt_u32 s10, s18
	s_cbranch_scc0 .LBB153_38
.LBB153_33:                             ; =>This Loop Header: Depth=1
                                        ;     Child Loop BB153_35 Depth 2
	v_add_u32_e32 v1, s10, v0
	v_cmp_gt_u32_e32 vcc, s3, v1
	s_and_saveexec_b64 s[6:7], vcc
	s_cbranch_execz .LBB153_32
; %bb.34:                               ;   in Loop: Header=BB153_33 Depth=1
	v_add_u32_e32 v6, s19, v1
	v_lshlrev_b64 v[8:9], 2, v[6:7]
	v_mov_b32_e32 v6, s17
	v_add_co_u32_e32 v8, vcc, s16, v8
	v_addc_co_u32_e32 v9, vcc, v6, v9, vcc
	global_load_dword v10, v[8:9], off
	v_lshlrev_b32_e32 v1, s2, v1
	v_mov_b32_e32 v8, 0
	v_lshlrev_b32_e32 v1, 3, v1
	s_mov_b32 s8, 1
	v_mov_b32_e32 v9, v8
.LBB153_35:                             ;   Parent Loop BB153_33 Depth=1
                                        ; =>  This Inner Loop Header: Depth=2
	ds_read_b64 v[12:13], v1
	s_lshr_b32 s9, s8, s2
	s_add_i32 s8, s8, 1
	v_add_u32_e32 v1, 8, v1
	s_cmp_lg_u32 s9, 0
	s_waitcnt lgkmcnt(0)
	v_pk_add_f32 v[8:9], v[8:9], v[12:13]
	s_cbranch_scc0 .LBB153_35
; %bb.36:                               ;   in Loop: Header=BB153_33 Depth=1
	s_waitcnt vmcnt(0)
	v_ashrrev_i32_e32 v11, 31, v10
	v_lshlrev_b64 v[10:11], 3, v[10:11]
	s_and_saveexec_b64 s[8:9], s[0:1]
	s_cbranch_execz .LBB153_31
; %bb.37:                               ;   in Loop: Header=BB153_33 Depth=1
	v_mov_b32_e32 v1, s5
	v_add_co_u32_e32 v12, vcc, s4, v10
	v_addc_co_u32_e32 v13, vcc, v1, v11, vcc
	global_load_dwordx2 v[12:13], v[12:13], off
	s_waitcnt vmcnt(0)
	v_pk_fma_f32 v[8:9], v[2:3], v[12:13], v[8:9] op_sel_hi:[1,0,1]
	v_pk_fma_f32 v[8:9], v[4:5], v[12:13], v[8:9] op_sel:[0,1,0]
	s_branch .LBB153_31
.LBB153_38:
	s_endpgm
.LBB153_39:
	v_pk_mov_b32 v[2:3], s[8:9], s[8:9] op_sel:[0,1]
	flat_load_dword v5, v[2:3] offset:4
	s_and_b64 vcc, exec, s[0:1]
	v_mov_b32_e32 v2, s2
	s_cbranch_vccnz .LBB153_4
.LBB153_40:
	v_pk_mov_b32 v[2:3], s[2:3], s[2:3] op_sel:[0,1]
	flat_load_dword v2, v[2:3]
	s_and_b64 vcc, exec, s[0:1]
	v_mov_b32_e32 v3, s3
	s_cbranch_vccz .LBB153_5
	s_branch .LBB153_6
	.section	.rodata,"a",@progbits
	.p2align	6, 0x0
	.amdhsa_kernel _ZN9rocsparseL30csrmvn_lrb_short_rows_2_kernelIiif21rocsparse_complex_numIfES2_S2_EEvbT_PT0_S5_jNS_24const_host_device_scalarIT4_EEPKS3_PKS4_PKT1_PKT2_S8_PT3_21rocsparse_index_base_b
		.amdhsa_group_segment_fixed_size 8192
		.amdhsa_private_segment_fixed_size 0
		.amdhsa_kernarg_size 96
		.amdhsa_user_sgpr_count 6
		.amdhsa_user_sgpr_private_segment_buffer 1
		.amdhsa_user_sgpr_dispatch_ptr 0
		.amdhsa_user_sgpr_queue_ptr 0
		.amdhsa_user_sgpr_kernarg_segment_ptr 1
		.amdhsa_user_sgpr_dispatch_id 0
		.amdhsa_user_sgpr_flat_scratch_init 0
		.amdhsa_user_sgpr_kernarg_preload_length 0
		.amdhsa_user_sgpr_kernarg_preload_offset 0
		.amdhsa_user_sgpr_private_segment_size 0
		.amdhsa_uses_dynamic_stack 0
		.amdhsa_system_sgpr_private_segment_wavefront_offset 0
		.amdhsa_system_sgpr_workgroup_id_x 1
		.amdhsa_system_sgpr_workgroup_id_y 0
		.amdhsa_system_sgpr_workgroup_id_z 0
		.amdhsa_system_sgpr_workgroup_info 0
		.amdhsa_system_vgpr_workitem_id 0
		.amdhsa_next_free_vgpr 16
		.amdhsa_next_free_sgpr 24
		.amdhsa_accum_offset 16
		.amdhsa_reserve_vcc 1
		.amdhsa_reserve_flat_scratch 0
		.amdhsa_float_round_mode_32 0
		.amdhsa_float_round_mode_16_64 0
		.amdhsa_float_denorm_mode_32 3
		.amdhsa_float_denorm_mode_16_64 3
		.amdhsa_dx10_clamp 1
		.amdhsa_ieee_mode 1
		.amdhsa_fp16_overflow 0
		.amdhsa_tg_split 0
		.amdhsa_exception_fp_ieee_invalid_op 0
		.amdhsa_exception_fp_denorm_src 0
		.amdhsa_exception_fp_ieee_div_zero 0
		.amdhsa_exception_fp_ieee_overflow 0
		.amdhsa_exception_fp_ieee_underflow 0
		.amdhsa_exception_fp_ieee_inexact 0
		.amdhsa_exception_int_div_zero 0
	.end_amdhsa_kernel
	.section	.text._ZN9rocsparseL30csrmvn_lrb_short_rows_2_kernelIiif21rocsparse_complex_numIfES2_S2_EEvbT_PT0_S5_jNS_24const_host_device_scalarIT4_EEPKS3_PKS4_PKT1_PKT2_S8_PT3_21rocsparse_index_base_b,"axG",@progbits,_ZN9rocsparseL30csrmvn_lrb_short_rows_2_kernelIiif21rocsparse_complex_numIfES2_S2_EEvbT_PT0_S5_jNS_24const_host_device_scalarIT4_EEPKS3_PKS4_PKT1_PKT2_S8_PT3_21rocsparse_index_base_b,comdat
.Lfunc_end153:
	.size	_ZN9rocsparseL30csrmvn_lrb_short_rows_2_kernelIiif21rocsparse_complex_numIfES2_S2_EEvbT_PT0_S5_jNS_24const_host_device_scalarIT4_EEPKS3_PKS4_PKT1_PKT2_S8_PT3_21rocsparse_index_base_b, .Lfunc_end153-_ZN9rocsparseL30csrmvn_lrb_short_rows_2_kernelIiif21rocsparse_complex_numIfES2_S2_EEvbT_PT0_S5_jNS_24const_host_device_scalarIT4_EEPKS3_PKS4_PKT1_PKT2_S8_PT3_21rocsparse_index_base_b
                                        ; -- End function
	.section	.AMDGPU.csdata,"",@progbits
; Kernel info:
; codeLenInByte = 1864
; NumSgprs: 28
; NumVgprs: 16
; NumAgprs: 0
; TotalNumVgprs: 16
; ScratchSize: 0
; MemoryBound: 0
; FloatMode: 240
; IeeeMode: 1
; LDSByteSize: 8192 bytes/workgroup (compile time only)
; SGPRBlocks: 3
; VGPRBlocks: 1
; NumSGPRsForWavesPerEU: 28
; NumVGPRsForWavesPerEU: 16
; AccumOffset: 16
; Occupancy: 8
; WaveLimiterHint : 1
; COMPUTE_PGM_RSRC2:SCRATCH_EN: 0
; COMPUTE_PGM_RSRC2:USER_SGPR: 6
; COMPUTE_PGM_RSRC2:TRAP_HANDLER: 0
; COMPUTE_PGM_RSRC2:TGID_X_EN: 1
; COMPUTE_PGM_RSRC2:TGID_Y_EN: 0
; COMPUTE_PGM_RSRC2:TGID_Z_EN: 0
; COMPUTE_PGM_RSRC2:TIDIG_COMP_CNT: 0
; COMPUTE_PGM_RSRC3_GFX90A:ACCUM_OFFSET: 3
; COMPUTE_PGM_RSRC3_GFX90A:TG_SPLIT: 0
	.section	.text._ZN9rocsparseL41csrmvn_lrb_medium_rows_warp_reduce_kernelILj256ELj32Eiif21rocsparse_complex_numIfES2_S2_EEvbT1_lPT2_S5_jNS_24const_host_device_scalarIT6_EEPKS3_PKS4_PKT3_PKT4_S8_PT5_21rocsparse_index_base_b,"axG",@progbits,_ZN9rocsparseL41csrmvn_lrb_medium_rows_warp_reduce_kernelILj256ELj32Eiif21rocsparse_complex_numIfES2_S2_EEvbT1_lPT2_S5_jNS_24const_host_device_scalarIT6_EEPKS3_PKS4_PKT3_PKT4_S8_PT5_21rocsparse_index_base_b,comdat
	.globl	_ZN9rocsparseL41csrmvn_lrb_medium_rows_warp_reduce_kernelILj256ELj32Eiif21rocsparse_complex_numIfES2_S2_EEvbT1_lPT2_S5_jNS_24const_host_device_scalarIT6_EEPKS3_PKS4_PKT3_PKT4_S8_PT5_21rocsparse_index_base_b ; -- Begin function _ZN9rocsparseL41csrmvn_lrb_medium_rows_warp_reduce_kernelILj256ELj32Eiif21rocsparse_complex_numIfES2_S2_EEvbT1_lPT2_S5_jNS_24const_host_device_scalarIT6_EEPKS3_PKS4_PKT3_PKT4_S8_PT5_21rocsparse_index_base_b
	.p2align	8
	.type	_ZN9rocsparseL41csrmvn_lrb_medium_rows_warp_reduce_kernelILj256ELj32Eiif21rocsparse_complex_numIfES2_S2_EEvbT1_lPT2_S5_jNS_24const_host_device_scalarIT6_EEPKS3_PKS4_PKT3_PKT4_S8_PT5_21rocsparse_index_base_b,@function
_ZN9rocsparseL41csrmvn_lrb_medium_rows_warp_reduce_kernelILj256ELj32Eiif21rocsparse_complex_numIfES2_S2_EEvbT1_lPT2_S5_jNS_24const_host_device_scalarIT6_EEPKS3_PKS4_PKT3_PKT4_S8_PT5_21rocsparse_index_base_b: ; @_ZN9rocsparseL41csrmvn_lrb_medium_rows_warp_reduce_kernelILj256ELj32Eiif21rocsparse_complex_numIfES2_S2_EEvbT1_lPT2_S5_jNS_24const_host_device_scalarIT6_EEPKS3_PKS4_PKT3_PKT4_S8_PT5_21rocsparse_index_base_b
; %bb.0:
	s_load_dwordx2 s[8:9], s[4:5], 0x60
	s_load_dwordx2 s[10:11], s[4:5], 0x28
	;; [unrolled: 1-line block ×3, first 2 shown]
	s_waitcnt lgkmcnt(0)
	s_bitcmp1_b32 s9, 0
	s_cselect_b64 s[0:1], -1, 0
	s_xor_b64 s[12:13], s[0:1], -1
	s_and_b64 vcc, exec, s[0:1]
	v_mov_b32_e32 v4, s10
	s_cbranch_vccnz .LBB154_2
; %bb.1:
	v_pk_mov_b32 v[2:3], s[10:11], s[10:11] op_sel:[0,1]
	flat_load_dword v4, v[2:3]
.LBB154_2:
	v_cndmask_b32_e64 v1, 0, 1, s[12:13]
	v_cmp_ne_u32_e64 s[0:1], 1, v1
	s_andn2_b64 vcc, exec, s[12:13]
	v_mov_b32_e32 v5, s11
	s_cbranch_vccz .LBB154_19
; %bb.3:
	s_and_b64 vcc, exec, s[0:1]
	v_mov_b32_e32 v2, s2
	s_cbranch_vccz .LBB154_20
.LBB154_4:
	s_and_b64 vcc, exec, s[0:1]
	v_mov_b32_e32 v3, s3
	s_cbranch_vccnz .LBB154_6
.LBB154_5:
	v_pk_mov_b32 v[6:7], s[2:3], s[2:3] op_sel:[0,1]
	flat_load_dword v3, v[6:7] offset:4
.LBB154_6:
	s_waitcnt vmcnt(0) lgkmcnt(0)
	v_or_b32_e32 v1, v4, v5
	v_and_b32_e32 v1, 0x7fffffff, v1
	v_cmp_eq_u32_e32 vcc, 0, v1
	s_mov_b64 s[0:1], -1
	s_and_saveexec_b64 s[2:3], vcc
; %bb.7:
	v_and_b32_e32 v1, 0x7fffffff, v3
	v_cmp_neq_f32_e32 vcc, 1.0, v2
	v_cmp_ne_u32_e64 s[0:1], 0, v1
	s_or_b64 s[0:1], vcc, s[0:1]
	s_orn2_b64 s[0:1], s[0:1], exec
; %bb.8:
	s_or_b64 exec, exec, s[2:3]
	s_and_saveexec_b64 s[2:3], s[0:1]
	s_cbranch_execz .LBB154_18
; %bb.9:
	s_load_dwordx2 s[0:1], s[4:5], 0x8
	v_lshrrev_b32_e32 v1, 5, v0
	v_lshl_or_b32 v6, s6, 3, v1
	v_ashrrev_i32_e32 v7, 31, v6
	s_waitcnt lgkmcnt(0)
	v_cmp_gt_i64_e32 vcc, s[0:1], v[6:7]
	s_and_b64 exec, exec, vcc
	s_cbranch_execz .LBB154_18
; %bb.10:
	s_load_dword s14, s[4:5], 0x20
	s_load_dwordx4 s[0:3], s[4:5], 0x10
	s_mov_b32 s15, 0
	v_and_b32_e32 v12, 31, v0
	v_subrev_u32_e32 v0, s8, v12
	s_waitcnt lgkmcnt(0)
	s_lshl_b64 s[6:7], s[14:15], 2
	s_add_u32 s2, s2, s6
	s_addc_u32 s3, s3, s7
	s_load_dword s2, s[2:3], 0x0
	v_mov_b32_e32 v1, s1
	s_load_dwordx2 s[6:7], s[4:5], 0x58
	s_waitcnt lgkmcnt(0)
	v_add_u32_e32 v6, s2, v6
	v_ashrrev_i32_e32 v7, 31, v6
	v_lshlrev_b64 v[6:7], 2, v[6:7]
	v_add_co_u32_e32 v6, vcc, s0, v6
	v_addc_co_u32_e32 v7, vcc, v1, v7, vcc
	global_load_dword v6, v[6:7], off
	s_load_dwordx2 s[0:1], s[4:5], 0x30
	s_waitcnt lgkmcnt(0)
	v_mov_b32_e32 v1, s1
	s_waitcnt vmcnt(0)
	v_ashrrev_i32_e32 v7, 31, v6
	v_lshlrev_b64 v[8:9], 2, v[6:7]
	v_add_co_u32_e32 v8, vcc, s0, v8
	v_addc_co_u32_e32 v9, vcc, v1, v9, vcc
	global_load_dwordx2 v[8:9], v[8:9], off
	v_mov_b32_e32 v1, 0
	s_waitcnt vmcnt(0)
	v_subrev_u32_e32 v13, s8, v9
	v_add_u32_e32 v8, v8, v0
	v_cmp_lt_i32_e32 vcc, v8, v13
	v_mov_b32_e32 v0, v1
	s_and_saveexec_b64 s[10:11], vcc
	s_cbranch_execz .LBB154_14
; %bb.11:
	s_load_dwordx4 s[0:3], s[4:5], 0x38
	s_load_dwordx2 s[12:13], s[4:5], 0x48
	s_brev_b32 s5, 1
	s_mov_b32 s4, s15
	v_pk_mul_f32 v[0:1], v[4:5], s[4:5]
	v_mov_b32_e32 v10, v1
	v_mov_b32_e32 v1, 0
	;; [unrolled: 1-line block ×3, first 2 shown]
	s_mov_b64 s[4:5], 0
	s_waitcnt lgkmcnt(0)
	v_mov_b32_e32 v14, s3
	v_mov_b32_e32 v15, s1
	;; [unrolled: 1-line block ×4, first 2 shown]
.LBB154_12:                             ; =>This Inner Loop Header: Depth=1
	v_ashrrev_i32_e32 v9, 31, v8
	v_lshlrev_b64 v[18:19], 2, v[8:9]
	v_add_co_u32_e32 v20, vcc, s0, v18
	v_addc_co_u32_e32 v21, vcc, v15, v19, vcc
	global_load_dword v9, v[20:21], off
	v_add_co_u32_e32 v18, vcc, s2, v18
	v_addc_co_u32_e32 v19, vcc, v14, v19, vcc
	global_load_dword v18, v[18:19], off
	v_add_u32_e32 v8, 32, v8
	s_waitcnt vmcnt(1)
	v_subrev_u32_e32 v20, s8, v9
	v_ashrrev_i32_e32 v21, 31, v20
	v_lshlrev_b64 v[20:21], 3, v[20:21]
	v_add_co_u32_e32 v20, vcc, s12, v20
	v_addc_co_u32_e32 v21, vcc, v16, v21, vcc
	global_load_dwordx2 v[20:21], v[20:21], off
	s_waitcnt vmcnt(1)
	v_pk_fma_f32 v[18:19], v[4:5], v[18:19], v[10:11] op_sel_hi:[1,0,1]
	v_cmp_ge_i32_e32 vcc, v8, v13
	s_or_b64 s[4:5], vcc, s[4:5]
	s_waitcnt vmcnt(0)
	v_pk_fma_f32 v[0:1], v[18:19], v[20:21], v[0:1] op_sel_hi:[1,0,1]
	v_pk_fma_f32 v[0:1], v[18:19], v[20:21], v[0:1] op_sel:[1,1,0] op_sel_hi:[0,1,1] neg_lo:[1,0,0]
	s_andn2_b64 exec, exec, s[4:5]
	s_cbranch_execnz .LBB154_12
; %bb.13:
	s_or_b64 exec, exec, s[4:5]
.LBB154_14:
	s_or_b64 exec, exec, s[10:11]
	v_mov_b32_dpp v4, v0 row_shr:1 row_mask:0xf bank_mask:0xf
	v_mov_b32_dpp v5, v1 row_shr:1 row_mask:0xf bank_mask:0xf
	v_pk_add_f32 v[0:1], v[0:1], v[4:5]
	v_cmp_eq_u32_e32 vcc, 31, v12
	s_nop 0
	v_mov_b32_dpp v4, v0 row_shr:2 row_mask:0xf bank_mask:0xf
	v_mov_b32_dpp v5, v1 row_shr:2 row_mask:0xf bank_mask:0xf
	v_pk_add_f32 v[0:1], v[0:1], v[4:5]
	s_nop 1
	v_mov_b32_dpp v4, v0 row_shr:4 row_mask:0xf bank_mask:0xe
	v_mov_b32_dpp v5, v1 row_shr:4 row_mask:0xf bank_mask:0xe
	v_pk_add_f32 v[0:1], v[0:1], v[4:5]
	;; [unrolled: 4-line block ×3, first 2 shown]
	s_nop 1
	v_mov_b32_dpp v4, v0 row_bcast:15 row_mask:0xa bank_mask:0xf
	v_mov_b32_dpp v5, v1 row_bcast:15 row_mask:0xa bank_mask:0xf
	s_and_b64 exec, exec, vcc
	s_cbranch_execz .LBB154_18
; %bb.15:
	v_pk_add_f32 v[0:1], v[0:1], v[4:5]
	v_and_b32_e32 v4, 0x7fffffff, v2
	v_cmp_ne_u32_e32 vcc, 0, v4
	v_cmp_neq_f32_e64 s[0:1], 0, v3
	s_or_b64 s[2:3], vcc, s[0:1]
	v_lshlrev_b64 v[4:5], 3, v[6:7]
	s_and_saveexec_b64 s[0:1], s[2:3]
	s_cbranch_execz .LBB154_17
; %bb.16:
	v_mov_b32_e32 v7, s7
	v_add_co_u32_e32 v6, vcc, s6, v4
	v_addc_co_u32_e32 v7, vcc, v7, v5, vcc
	global_load_dwordx2 v[6:7], v[6:7], off
	v_xor_b32_e32 v8, 0x80000000, v3
	v_mov_b32_e32 v9, v2
	s_waitcnt vmcnt(0)
	v_pk_fma_f32 v[0:1], v[2:3], v[6:7], v[0:1] op_sel_hi:[1,0,1]
	v_pk_fma_f32 v[0:1], v[8:9], v[6:7], v[0:1] op_sel:[0,1,0]
.LBB154_17:
	s_or_b64 exec, exec, s[0:1]
	v_mov_b32_e32 v3, s7
	v_add_co_u32_e32 v2, vcc, s6, v4
	v_addc_co_u32_e32 v3, vcc, v3, v5, vcc
	global_store_dwordx2 v[2:3], v[0:1], off
.LBB154_18:
	s_endpgm
.LBB154_19:
	v_pk_mov_b32 v[2:3], s[10:11], s[10:11] op_sel:[0,1]
	flat_load_dword v5, v[2:3] offset:4
	s_and_b64 vcc, exec, s[0:1]
	v_mov_b32_e32 v2, s2
	s_cbranch_vccnz .LBB154_4
.LBB154_20:
	v_pk_mov_b32 v[2:3], s[2:3], s[2:3] op_sel:[0,1]
	flat_load_dword v2, v[2:3]
	s_and_b64 vcc, exec, s[0:1]
	v_mov_b32_e32 v3, s3
	s_cbranch_vccz .LBB154_5
	s_branch .LBB154_6
	.section	.rodata,"a",@progbits
	.p2align	6, 0x0
	.amdhsa_kernel _ZN9rocsparseL41csrmvn_lrb_medium_rows_warp_reduce_kernelILj256ELj32Eiif21rocsparse_complex_numIfES2_S2_EEvbT1_lPT2_S5_jNS_24const_host_device_scalarIT6_EEPKS3_PKS4_PKT3_PKT4_S8_PT5_21rocsparse_index_base_b
		.amdhsa_group_segment_fixed_size 0
		.amdhsa_private_segment_fixed_size 0
		.amdhsa_kernarg_size 104
		.amdhsa_user_sgpr_count 6
		.amdhsa_user_sgpr_private_segment_buffer 1
		.amdhsa_user_sgpr_dispatch_ptr 0
		.amdhsa_user_sgpr_queue_ptr 0
		.amdhsa_user_sgpr_kernarg_segment_ptr 1
		.amdhsa_user_sgpr_dispatch_id 0
		.amdhsa_user_sgpr_flat_scratch_init 0
		.amdhsa_user_sgpr_kernarg_preload_length 0
		.amdhsa_user_sgpr_kernarg_preload_offset 0
		.amdhsa_user_sgpr_private_segment_size 0
		.amdhsa_uses_dynamic_stack 0
		.amdhsa_system_sgpr_private_segment_wavefront_offset 0
		.amdhsa_system_sgpr_workgroup_id_x 1
		.amdhsa_system_sgpr_workgroup_id_y 0
		.amdhsa_system_sgpr_workgroup_id_z 0
		.amdhsa_system_sgpr_workgroup_info 0
		.amdhsa_system_vgpr_workitem_id 0
		.amdhsa_next_free_vgpr 22
		.amdhsa_next_free_sgpr 16
		.amdhsa_accum_offset 24
		.amdhsa_reserve_vcc 1
		.amdhsa_reserve_flat_scratch 0
		.amdhsa_float_round_mode_32 0
		.amdhsa_float_round_mode_16_64 0
		.amdhsa_float_denorm_mode_32 3
		.amdhsa_float_denorm_mode_16_64 3
		.amdhsa_dx10_clamp 1
		.amdhsa_ieee_mode 1
		.amdhsa_fp16_overflow 0
		.amdhsa_tg_split 0
		.amdhsa_exception_fp_ieee_invalid_op 0
		.amdhsa_exception_fp_denorm_src 0
		.amdhsa_exception_fp_ieee_div_zero 0
		.amdhsa_exception_fp_ieee_overflow 0
		.amdhsa_exception_fp_ieee_underflow 0
		.amdhsa_exception_fp_ieee_inexact 0
		.amdhsa_exception_int_div_zero 0
	.end_amdhsa_kernel
	.section	.text._ZN9rocsparseL41csrmvn_lrb_medium_rows_warp_reduce_kernelILj256ELj32Eiif21rocsparse_complex_numIfES2_S2_EEvbT1_lPT2_S5_jNS_24const_host_device_scalarIT6_EEPKS3_PKS4_PKT3_PKT4_S8_PT5_21rocsparse_index_base_b,"axG",@progbits,_ZN9rocsparseL41csrmvn_lrb_medium_rows_warp_reduce_kernelILj256ELj32Eiif21rocsparse_complex_numIfES2_S2_EEvbT1_lPT2_S5_jNS_24const_host_device_scalarIT6_EEPKS3_PKS4_PKT3_PKT4_S8_PT5_21rocsparse_index_base_b,comdat
.Lfunc_end154:
	.size	_ZN9rocsparseL41csrmvn_lrb_medium_rows_warp_reduce_kernelILj256ELj32Eiif21rocsparse_complex_numIfES2_S2_EEvbT1_lPT2_S5_jNS_24const_host_device_scalarIT6_EEPKS3_PKS4_PKT3_PKT4_S8_PT5_21rocsparse_index_base_b, .Lfunc_end154-_ZN9rocsparseL41csrmvn_lrb_medium_rows_warp_reduce_kernelILj256ELj32Eiif21rocsparse_complex_numIfES2_S2_EEvbT1_lPT2_S5_jNS_24const_host_device_scalarIT6_EEPKS3_PKS4_PKT3_PKT4_S8_PT5_21rocsparse_index_base_b
                                        ; -- End function
	.section	.AMDGPU.csdata,"",@progbits
; Kernel info:
; codeLenInByte = 960
; NumSgprs: 20
; NumVgprs: 22
; NumAgprs: 0
; TotalNumVgprs: 22
; ScratchSize: 0
; MemoryBound: 0
; FloatMode: 240
; IeeeMode: 1
; LDSByteSize: 0 bytes/workgroup (compile time only)
; SGPRBlocks: 2
; VGPRBlocks: 2
; NumSGPRsForWavesPerEU: 20
; NumVGPRsForWavesPerEU: 22
; AccumOffset: 24
; Occupancy: 8
; WaveLimiterHint : 1
; COMPUTE_PGM_RSRC2:SCRATCH_EN: 0
; COMPUTE_PGM_RSRC2:USER_SGPR: 6
; COMPUTE_PGM_RSRC2:TRAP_HANDLER: 0
; COMPUTE_PGM_RSRC2:TGID_X_EN: 1
; COMPUTE_PGM_RSRC2:TGID_Y_EN: 0
; COMPUTE_PGM_RSRC2:TGID_Z_EN: 0
; COMPUTE_PGM_RSRC2:TIDIG_COMP_CNT: 0
; COMPUTE_PGM_RSRC3_GFX90A:ACCUM_OFFSET: 5
; COMPUTE_PGM_RSRC3_GFX90A:TG_SPLIT: 0
	.section	.text._ZN9rocsparseL41csrmvn_lrb_medium_rows_warp_reduce_kernelILj256ELj64Eiif21rocsparse_complex_numIfES2_S2_EEvbT1_lPT2_S5_jNS_24const_host_device_scalarIT6_EEPKS3_PKS4_PKT3_PKT4_S8_PT5_21rocsparse_index_base_b,"axG",@progbits,_ZN9rocsparseL41csrmvn_lrb_medium_rows_warp_reduce_kernelILj256ELj64Eiif21rocsparse_complex_numIfES2_S2_EEvbT1_lPT2_S5_jNS_24const_host_device_scalarIT6_EEPKS3_PKS4_PKT3_PKT4_S8_PT5_21rocsparse_index_base_b,comdat
	.globl	_ZN9rocsparseL41csrmvn_lrb_medium_rows_warp_reduce_kernelILj256ELj64Eiif21rocsparse_complex_numIfES2_S2_EEvbT1_lPT2_S5_jNS_24const_host_device_scalarIT6_EEPKS3_PKS4_PKT3_PKT4_S8_PT5_21rocsparse_index_base_b ; -- Begin function _ZN9rocsparseL41csrmvn_lrb_medium_rows_warp_reduce_kernelILj256ELj64Eiif21rocsparse_complex_numIfES2_S2_EEvbT1_lPT2_S5_jNS_24const_host_device_scalarIT6_EEPKS3_PKS4_PKT3_PKT4_S8_PT5_21rocsparse_index_base_b
	.p2align	8
	.type	_ZN9rocsparseL41csrmvn_lrb_medium_rows_warp_reduce_kernelILj256ELj64Eiif21rocsparse_complex_numIfES2_S2_EEvbT1_lPT2_S5_jNS_24const_host_device_scalarIT6_EEPKS3_PKS4_PKT3_PKT4_S8_PT5_21rocsparse_index_base_b,@function
_ZN9rocsparseL41csrmvn_lrb_medium_rows_warp_reduce_kernelILj256ELj64Eiif21rocsparse_complex_numIfES2_S2_EEvbT1_lPT2_S5_jNS_24const_host_device_scalarIT6_EEPKS3_PKS4_PKT3_PKT4_S8_PT5_21rocsparse_index_base_b: ; @_ZN9rocsparseL41csrmvn_lrb_medium_rows_warp_reduce_kernelILj256ELj64Eiif21rocsparse_complex_numIfES2_S2_EEvbT1_lPT2_S5_jNS_24const_host_device_scalarIT6_EEPKS3_PKS4_PKT3_PKT4_S8_PT5_21rocsparse_index_base_b
; %bb.0:
	s_load_dwordx2 s[8:9], s[4:5], 0x60
	s_load_dwordx2 s[10:11], s[4:5], 0x28
	;; [unrolled: 1-line block ×3, first 2 shown]
	s_waitcnt lgkmcnt(0)
	s_bitcmp1_b32 s9, 0
	s_cselect_b64 s[0:1], -1, 0
	s_xor_b64 s[12:13], s[0:1], -1
	s_and_b64 vcc, exec, s[0:1]
	v_mov_b32_e32 v4, s10
	s_cbranch_vccnz .LBB155_2
; %bb.1:
	v_pk_mov_b32 v[2:3], s[10:11], s[10:11] op_sel:[0,1]
	flat_load_dword v4, v[2:3]
.LBB155_2:
	v_cndmask_b32_e64 v1, 0, 1, s[12:13]
	v_cmp_ne_u32_e64 s[0:1], 1, v1
	s_andn2_b64 vcc, exec, s[12:13]
	v_mov_b32_e32 v5, s11
	s_cbranch_vccz .LBB155_19
; %bb.3:
	s_and_b64 vcc, exec, s[0:1]
	v_mov_b32_e32 v2, s2
	s_cbranch_vccz .LBB155_20
.LBB155_4:
	s_and_b64 vcc, exec, s[0:1]
	v_mov_b32_e32 v3, s3
	s_cbranch_vccnz .LBB155_6
.LBB155_5:
	v_pk_mov_b32 v[6:7], s[2:3], s[2:3] op_sel:[0,1]
	flat_load_dword v3, v[6:7] offset:4
.LBB155_6:
	s_waitcnt vmcnt(0) lgkmcnt(0)
	v_or_b32_e32 v1, v4, v5
	v_and_b32_e32 v1, 0x7fffffff, v1
	v_cmp_eq_u32_e32 vcc, 0, v1
	s_mov_b64 s[0:1], -1
	s_and_saveexec_b64 s[2:3], vcc
; %bb.7:
	v_and_b32_e32 v1, 0x7fffffff, v3
	v_cmp_neq_f32_e32 vcc, 1.0, v2
	v_cmp_ne_u32_e64 s[0:1], 0, v1
	s_or_b64 s[0:1], vcc, s[0:1]
	s_orn2_b64 s[0:1], s[0:1], exec
; %bb.8:
	s_or_b64 exec, exec, s[2:3]
	s_and_saveexec_b64 s[2:3], s[0:1]
	s_cbranch_execz .LBB155_18
; %bb.9:
	s_load_dwordx2 s[0:1], s[4:5], 0x8
	v_lshrrev_b32_e32 v1, 6, v0
	v_lshl_or_b32 v6, s6, 2, v1
	v_ashrrev_i32_e32 v7, 31, v6
	s_waitcnt lgkmcnt(0)
	v_cmp_gt_i64_e32 vcc, s[0:1], v[6:7]
	s_and_b64 exec, exec, vcc
	s_cbranch_execz .LBB155_18
; %bb.10:
	s_load_dword s14, s[4:5], 0x20
	s_load_dwordx4 s[0:3], s[4:5], 0x10
	s_mov_b32 s15, 0
	v_and_b32_e32 v12, 63, v0
	v_subrev_u32_e32 v0, s8, v12
	s_waitcnt lgkmcnt(0)
	s_lshl_b64 s[6:7], s[14:15], 2
	s_add_u32 s2, s2, s6
	s_addc_u32 s3, s3, s7
	s_load_dword s2, s[2:3], 0x0
	v_mov_b32_e32 v1, s1
	s_load_dwordx2 s[6:7], s[4:5], 0x58
	s_waitcnt lgkmcnt(0)
	v_add_u32_e32 v6, s2, v6
	v_ashrrev_i32_e32 v7, 31, v6
	v_lshlrev_b64 v[6:7], 2, v[6:7]
	v_add_co_u32_e32 v6, vcc, s0, v6
	v_addc_co_u32_e32 v7, vcc, v1, v7, vcc
	global_load_dword v6, v[6:7], off
	s_load_dwordx2 s[0:1], s[4:5], 0x30
	s_waitcnt lgkmcnt(0)
	v_mov_b32_e32 v1, s1
	s_waitcnt vmcnt(0)
	v_ashrrev_i32_e32 v7, 31, v6
	v_lshlrev_b64 v[8:9], 2, v[6:7]
	v_add_co_u32_e32 v8, vcc, s0, v8
	v_addc_co_u32_e32 v9, vcc, v1, v9, vcc
	global_load_dwordx2 v[8:9], v[8:9], off
	v_mov_b32_e32 v1, 0
	s_waitcnt vmcnt(0)
	v_subrev_u32_e32 v13, s8, v9
	v_add_u32_e32 v8, v8, v0
	v_cmp_lt_i32_e32 vcc, v8, v13
	v_mov_b32_e32 v0, v1
	s_and_saveexec_b64 s[10:11], vcc
	s_cbranch_execz .LBB155_14
; %bb.11:
	s_load_dwordx4 s[0:3], s[4:5], 0x38
	s_load_dwordx2 s[12:13], s[4:5], 0x48
	s_brev_b32 s5, 1
	s_mov_b32 s4, s15
	v_pk_mul_f32 v[0:1], v[4:5], s[4:5]
	v_mov_b32_e32 v11, v0
	v_mov_b32_e32 v0, 0
	;; [unrolled: 1-line block ×3, first 2 shown]
	s_mov_b64 s[4:5], 0
	s_waitcnt lgkmcnt(0)
	v_mov_b32_e32 v14, s3
	v_mov_b32_e32 v15, s1
	v_mov_b32_e32 v16, s13
	v_mov_b32_e32 v1, v0
.LBB155_12:                             ; =>This Inner Loop Header: Depth=1
	v_ashrrev_i32_e32 v9, 31, v8
	v_lshlrev_b64 v[18:19], 2, v[8:9]
	v_add_co_u32_e32 v20, vcc, s0, v18
	v_addc_co_u32_e32 v21, vcc, v15, v19, vcc
	global_load_dword v9, v[20:21], off
	v_add_co_u32_e32 v18, vcc, s2, v18
	v_addc_co_u32_e32 v19, vcc, v14, v19, vcc
	global_load_dword v18, v[18:19], off
	v_add_u32_e32 v8, 64, v8
	s_waitcnt vmcnt(1)
	v_subrev_u32_e32 v20, s8, v9
	v_ashrrev_i32_e32 v21, 31, v20
	v_lshlrev_b64 v[20:21], 3, v[20:21]
	v_add_co_u32_e32 v20, vcc, s12, v20
	v_addc_co_u32_e32 v21, vcc, v16, v21, vcc
	global_load_dwordx2 v[20:21], v[20:21], off
	s_waitcnt vmcnt(1)
	v_pk_fma_f32 v[18:19], v[4:5], v[18:19], v[10:11] op_sel_hi:[1,0,1]
	v_cmp_ge_i32_e32 vcc, v8, v13
	s_or_b64 s[4:5], vcc, s[4:5]
	s_waitcnt vmcnt(0)
	v_pk_fma_f32 v[0:1], v[18:19], v[20:21], v[0:1] op_sel_hi:[1,0,1]
	v_pk_fma_f32 v[0:1], v[18:19], v[20:21], v[0:1] op_sel:[1,1,0] op_sel_hi:[0,1,1] neg_lo:[1,0,0]
	s_andn2_b64 exec, exec, s[4:5]
	s_cbranch_execnz .LBB155_12
; %bb.13:
	s_or_b64 exec, exec, s[4:5]
.LBB155_14:
	s_or_b64 exec, exec, s[10:11]
	v_mov_b32_dpp v4, v0 row_shr:1 row_mask:0xf bank_mask:0xf
	v_mov_b32_dpp v5, v1 row_shr:1 row_mask:0xf bank_mask:0xf
	v_pk_add_f32 v[0:1], v[0:1], v[4:5]
	v_cmp_eq_u32_e32 vcc, 63, v12
	s_nop 0
	v_mov_b32_dpp v4, v0 row_shr:2 row_mask:0xf bank_mask:0xf
	v_mov_b32_dpp v5, v1 row_shr:2 row_mask:0xf bank_mask:0xf
	v_pk_add_f32 v[0:1], v[0:1], v[4:5]
	s_nop 1
	v_mov_b32_dpp v4, v0 row_shr:4 row_mask:0xf bank_mask:0xe
	v_mov_b32_dpp v5, v1 row_shr:4 row_mask:0xf bank_mask:0xe
	v_pk_add_f32 v[0:1], v[0:1], v[4:5]
	;; [unrolled: 4-line block ×3, first 2 shown]
	s_nop 1
	v_mov_b32_dpp v4, v0 row_bcast:15 row_mask:0xa bank_mask:0xf
	v_mov_b32_dpp v5, v1 row_bcast:15 row_mask:0xa bank_mask:0xf
	v_pk_add_f32 v[0:1], v[0:1], v[4:5]
	s_nop 1
	v_mov_b32_dpp v4, v0 row_bcast:31 row_mask:0xc bank_mask:0xf
	v_mov_b32_dpp v5, v1 row_bcast:31 row_mask:0xc bank_mask:0xf
	s_and_b64 exec, exec, vcc
	s_cbranch_execz .LBB155_18
; %bb.15:
	v_pk_add_f32 v[0:1], v[0:1], v[4:5]
	v_and_b32_e32 v4, 0x7fffffff, v2
	v_cmp_ne_u32_e32 vcc, 0, v4
	v_cmp_neq_f32_e64 s[0:1], 0, v3
	s_or_b64 s[2:3], vcc, s[0:1]
	v_lshlrev_b64 v[4:5], 3, v[6:7]
	s_and_saveexec_b64 s[0:1], s[2:3]
	s_cbranch_execz .LBB155_17
; %bb.16:
	v_mov_b32_e32 v7, s7
	v_add_co_u32_e32 v6, vcc, s6, v4
	v_addc_co_u32_e32 v7, vcc, v7, v5, vcc
	global_load_dwordx2 v[6:7], v[6:7], off
	v_xor_b32_e32 v8, 0x80000000, v3
	v_mov_b32_e32 v9, v2
	s_waitcnt vmcnt(0)
	v_pk_fma_f32 v[0:1], v[2:3], v[6:7], v[0:1] op_sel_hi:[1,0,1]
	v_pk_fma_f32 v[0:1], v[8:9], v[6:7], v[0:1] op_sel:[0,1,0]
.LBB155_17:
	s_or_b64 exec, exec, s[0:1]
	v_mov_b32_e32 v3, s7
	v_add_co_u32_e32 v2, vcc, s6, v4
	v_addc_co_u32_e32 v3, vcc, v3, v5, vcc
	global_store_dwordx2 v[2:3], v[0:1], off
.LBB155_18:
	s_endpgm
.LBB155_19:
	v_pk_mov_b32 v[2:3], s[10:11], s[10:11] op_sel:[0,1]
	flat_load_dword v5, v[2:3] offset:4
	s_and_b64 vcc, exec, s[0:1]
	v_mov_b32_e32 v2, s2
	s_cbranch_vccnz .LBB155_4
.LBB155_20:
	v_pk_mov_b32 v[2:3], s[2:3], s[2:3] op_sel:[0,1]
	flat_load_dword v2, v[2:3]
	s_and_b64 vcc, exec, s[0:1]
	v_mov_b32_e32 v3, s3
	s_cbranch_vccz .LBB155_5
	s_branch .LBB155_6
	.section	.rodata,"a",@progbits
	.p2align	6, 0x0
	.amdhsa_kernel _ZN9rocsparseL41csrmvn_lrb_medium_rows_warp_reduce_kernelILj256ELj64Eiif21rocsparse_complex_numIfES2_S2_EEvbT1_lPT2_S5_jNS_24const_host_device_scalarIT6_EEPKS3_PKS4_PKT3_PKT4_S8_PT5_21rocsparse_index_base_b
		.amdhsa_group_segment_fixed_size 0
		.amdhsa_private_segment_fixed_size 0
		.amdhsa_kernarg_size 104
		.amdhsa_user_sgpr_count 6
		.amdhsa_user_sgpr_private_segment_buffer 1
		.amdhsa_user_sgpr_dispatch_ptr 0
		.amdhsa_user_sgpr_queue_ptr 0
		.amdhsa_user_sgpr_kernarg_segment_ptr 1
		.amdhsa_user_sgpr_dispatch_id 0
		.amdhsa_user_sgpr_flat_scratch_init 0
		.amdhsa_user_sgpr_kernarg_preload_length 0
		.amdhsa_user_sgpr_kernarg_preload_offset 0
		.amdhsa_user_sgpr_private_segment_size 0
		.amdhsa_uses_dynamic_stack 0
		.amdhsa_system_sgpr_private_segment_wavefront_offset 0
		.amdhsa_system_sgpr_workgroup_id_x 1
		.amdhsa_system_sgpr_workgroup_id_y 0
		.amdhsa_system_sgpr_workgroup_id_z 0
		.amdhsa_system_sgpr_workgroup_info 0
		.amdhsa_system_vgpr_workitem_id 0
		.amdhsa_next_free_vgpr 22
		.amdhsa_next_free_sgpr 16
		.amdhsa_accum_offset 24
		.amdhsa_reserve_vcc 1
		.amdhsa_reserve_flat_scratch 0
		.amdhsa_float_round_mode_32 0
		.amdhsa_float_round_mode_16_64 0
		.amdhsa_float_denorm_mode_32 3
		.amdhsa_float_denorm_mode_16_64 3
		.amdhsa_dx10_clamp 1
		.amdhsa_ieee_mode 1
		.amdhsa_fp16_overflow 0
		.amdhsa_tg_split 0
		.amdhsa_exception_fp_ieee_invalid_op 0
		.amdhsa_exception_fp_denorm_src 0
		.amdhsa_exception_fp_ieee_div_zero 0
		.amdhsa_exception_fp_ieee_overflow 0
		.amdhsa_exception_fp_ieee_underflow 0
		.amdhsa_exception_fp_ieee_inexact 0
		.amdhsa_exception_int_div_zero 0
	.end_amdhsa_kernel
	.section	.text._ZN9rocsparseL41csrmvn_lrb_medium_rows_warp_reduce_kernelILj256ELj64Eiif21rocsparse_complex_numIfES2_S2_EEvbT1_lPT2_S5_jNS_24const_host_device_scalarIT6_EEPKS3_PKS4_PKT3_PKT4_S8_PT5_21rocsparse_index_base_b,"axG",@progbits,_ZN9rocsparseL41csrmvn_lrb_medium_rows_warp_reduce_kernelILj256ELj64Eiif21rocsparse_complex_numIfES2_S2_EEvbT1_lPT2_S5_jNS_24const_host_device_scalarIT6_EEPKS3_PKS4_PKT3_PKT4_S8_PT5_21rocsparse_index_base_b,comdat
.Lfunc_end155:
	.size	_ZN9rocsparseL41csrmvn_lrb_medium_rows_warp_reduce_kernelILj256ELj64Eiif21rocsparse_complex_numIfES2_S2_EEvbT1_lPT2_S5_jNS_24const_host_device_scalarIT6_EEPKS3_PKS4_PKT3_PKT4_S8_PT5_21rocsparse_index_base_b, .Lfunc_end155-_ZN9rocsparseL41csrmvn_lrb_medium_rows_warp_reduce_kernelILj256ELj64Eiif21rocsparse_complex_numIfES2_S2_EEvbT1_lPT2_S5_jNS_24const_host_device_scalarIT6_EEPKS3_PKS4_PKT3_PKT4_S8_PT5_21rocsparse_index_base_b
                                        ; -- End function
	.section	.AMDGPU.csdata,"",@progbits
; Kernel info:
; codeLenInByte = 988
; NumSgprs: 20
; NumVgprs: 22
; NumAgprs: 0
; TotalNumVgprs: 22
; ScratchSize: 0
; MemoryBound: 0
; FloatMode: 240
; IeeeMode: 1
; LDSByteSize: 0 bytes/workgroup (compile time only)
; SGPRBlocks: 2
; VGPRBlocks: 2
; NumSGPRsForWavesPerEU: 20
; NumVGPRsForWavesPerEU: 22
; AccumOffset: 24
; Occupancy: 8
; WaveLimiterHint : 1
; COMPUTE_PGM_RSRC2:SCRATCH_EN: 0
; COMPUTE_PGM_RSRC2:USER_SGPR: 6
; COMPUTE_PGM_RSRC2:TRAP_HANDLER: 0
; COMPUTE_PGM_RSRC2:TGID_X_EN: 1
; COMPUTE_PGM_RSRC2:TGID_Y_EN: 0
; COMPUTE_PGM_RSRC2:TGID_Z_EN: 0
; COMPUTE_PGM_RSRC2:TIDIG_COMP_CNT: 0
; COMPUTE_PGM_RSRC3_GFX90A:ACCUM_OFFSET: 5
; COMPUTE_PGM_RSRC3_GFX90A:TG_SPLIT: 0
	.section	.text._ZN9rocsparseL29csrmvn_lrb_medium_rows_kernelILj256Eiif21rocsparse_complex_numIfES2_S2_EEvbT0_PT1_S5_jNS_24const_host_device_scalarIT5_EEPKS3_PKS4_PKT2_PKT3_S8_PT4_21rocsparse_index_base_b,"axG",@progbits,_ZN9rocsparseL29csrmvn_lrb_medium_rows_kernelILj256Eiif21rocsparse_complex_numIfES2_S2_EEvbT0_PT1_S5_jNS_24const_host_device_scalarIT5_EEPKS3_PKS4_PKT2_PKT3_S8_PT4_21rocsparse_index_base_b,comdat
	.globl	_ZN9rocsparseL29csrmvn_lrb_medium_rows_kernelILj256Eiif21rocsparse_complex_numIfES2_S2_EEvbT0_PT1_S5_jNS_24const_host_device_scalarIT5_EEPKS3_PKS4_PKT2_PKT3_S8_PT4_21rocsparse_index_base_b ; -- Begin function _ZN9rocsparseL29csrmvn_lrb_medium_rows_kernelILj256Eiif21rocsparse_complex_numIfES2_S2_EEvbT0_PT1_S5_jNS_24const_host_device_scalarIT5_EEPKS3_PKS4_PKT2_PKT3_S8_PT4_21rocsparse_index_base_b
	.p2align	8
	.type	_ZN9rocsparseL29csrmvn_lrb_medium_rows_kernelILj256Eiif21rocsparse_complex_numIfES2_S2_EEvbT0_PT1_S5_jNS_24const_host_device_scalarIT5_EEPKS3_PKS4_PKT2_PKT3_S8_PT4_21rocsparse_index_base_b,@function
_ZN9rocsparseL29csrmvn_lrb_medium_rows_kernelILj256Eiif21rocsparse_complex_numIfES2_S2_EEvbT0_PT1_S5_jNS_24const_host_device_scalarIT5_EEPKS3_PKS4_PKT2_PKT3_S8_PT4_21rocsparse_index_base_b: ; @_ZN9rocsparseL29csrmvn_lrb_medium_rows_kernelILj256Eiif21rocsparse_complex_numIfES2_S2_EEvbT0_PT1_S5_jNS_24const_host_device_scalarIT5_EEPKS3_PKS4_PKT2_PKT3_S8_PT4_21rocsparse_index_base_b
; %bb.0:
	s_load_dwordx2 s[10:11], s[4:5], 0x58
	s_load_dwordx2 s[8:9], s[4:5], 0x20
	;; [unrolled: 1-line block ×3, first 2 shown]
	s_waitcnt lgkmcnt(0)
	s_bitcmp1_b32 s11, 0
	s_cselect_b64 s[0:1], -1, 0
	s_xor_b64 s[12:13], s[0:1], -1
	s_and_b64 vcc, exec, s[0:1]
	v_mov_b32_e32 v4, s8
	s_cbranch_vccnz .LBB156_2
; %bb.1:
	v_pk_mov_b32 v[2:3], s[8:9], s[8:9] op_sel:[0,1]
	flat_load_dword v4, v[2:3]
.LBB156_2:
	v_cndmask_b32_e64 v1, 0, 1, s[12:13]
	v_cmp_ne_u32_e64 s[0:1], 1, v1
	s_andn2_b64 vcc, exec, s[12:13]
	v_mov_b32_e32 v5, s9
	s_cbranch_vccz .LBB156_34
; %bb.3:
	s_and_b64 vcc, exec, s[0:1]
	v_mov_b32_e32 v2, s2
	s_cbranch_vccz .LBB156_35
.LBB156_4:
	s_and_b64 vcc, exec, s[0:1]
	v_mov_b32_e32 v3, s3
	s_cbranch_vccnz .LBB156_6
.LBB156_5:
	v_pk_mov_b32 v[6:7], s[2:3], s[2:3] op_sel:[0,1]
	flat_load_dword v3, v[6:7] offset:4
.LBB156_6:
	s_waitcnt vmcnt(0) lgkmcnt(0)
	v_or_b32_e32 v1, v4, v5
	v_and_b32_e32 v1, 0x7fffffff, v1
	v_cmp_eq_u32_e32 vcc, 0, v1
	s_mov_b64 s[0:1], -1
	s_and_saveexec_b64 s[2:3], vcc
; %bb.7:
	v_and_b32_e32 v1, 0x7fffffff, v3
	v_cmp_neq_f32_e32 vcc, 1.0, v2
	v_cmp_ne_u32_e64 s[0:1], 0, v1
	s_or_b64 s[0:1], vcc, s[0:1]
	s_orn2_b64 s[0:1], s[0:1], exec
; %bb.8:
	s_or_b64 exec, exec, s[2:3]
	s_and_saveexec_b64 s[2:3], s[0:1]
	s_cbranch_execz .LBB156_33
; %bb.9:
	s_load_dword s16, s[4:5], 0x18
	s_load_dwordx4 s[0:3], s[4:5], 0x8
	s_mov_b32 s17, 0
	v_subrev_u32_e32 v1, s10, v0
	v_mov_b32_e32 v9, 0
	s_waitcnt lgkmcnt(0)
	s_lshl_b64 s[8:9], s[16:17], 2
	s_add_u32 s2, s2, s8
	s_addc_u32 s3, s3, s9
	s_load_dword s2, s[2:3], 0x0
	v_mov_b32_e32 v8, v9
	s_waitcnt lgkmcnt(0)
	s_add_i32 s2, s2, s6
	s_ashr_i32 s3, s2, 31
	s_lshl_b64 s[2:3], s[2:3], 2
	s_add_u32 s0, s0, s2
	s_addc_u32 s1, s1, s3
	s_load_dword s6, s[0:1], 0x0
	s_load_dwordx2 s[2:3], s[4:5], 0x28
	s_waitcnt lgkmcnt(0)
	s_ashr_i32 s7, s6, 31
	s_lshl_b64 s[0:1], s[6:7], 2
	s_add_u32 s0, s2, s0
	s_addc_u32 s1, s3, s1
	s_load_dwordx2 s[2:3], s[0:1], 0x0
	s_load_dwordx2 s[8:9], s[4:5], 0x50
	s_waitcnt lgkmcnt(0)
	s_sub_i32 s11, s3, s10
	v_add_u32_e32 v6, s2, v1
	v_cmp_gt_i32_e32 vcc, s11, v6
	s_and_saveexec_b64 s[12:13], vcc
	s_cbranch_execz .LBB156_13
; %bb.10:
	s_load_dwordx4 s[0:3], s[4:5], 0x30
	s_load_dwordx2 s[14:15], s[4:5], 0x40
	s_brev_b32 s5, 1
	s_mov_b32 s4, s17
	v_pk_mul_f32 v[8:9], v[4:5], s[4:5]
	v_mov_b32_e32 v11, v8
	v_mov_b32_e32 v8, 0
	;; [unrolled: 1-line block ×3, first 2 shown]
	s_mov_b64 s[4:5], 0
	s_waitcnt lgkmcnt(0)
	v_mov_b32_e32 v1, s3
	v_mov_b32_e32 v12, s1
	;; [unrolled: 1-line block ×4, first 2 shown]
.LBB156_11:                             ; =>This Inner Loop Header: Depth=1
	v_ashrrev_i32_e32 v7, 31, v6
	v_lshlrev_b64 v[14:15], 2, v[6:7]
	v_add_co_u32_e32 v16, vcc, s0, v14
	v_addc_co_u32_e32 v17, vcc, v12, v15, vcc
	global_load_dword v7, v[16:17], off
	v_add_co_u32_e32 v14, vcc, s2, v14
	v_addc_co_u32_e32 v15, vcc, v1, v15, vcc
	global_load_dword v14, v[14:15], off
	v_add_u32_e32 v6, 0x100, v6
	s_waitcnt vmcnt(1)
	v_subrev_u32_e32 v16, s10, v7
	v_ashrrev_i32_e32 v17, 31, v16
	v_lshlrev_b64 v[16:17], 3, v[16:17]
	v_add_co_u32_e32 v16, vcc, s14, v16
	v_addc_co_u32_e32 v17, vcc, v13, v17, vcc
	global_load_dwordx2 v[16:17], v[16:17], off
	s_waitcnt vmcnt(1)
	v_pk_fma_f32 v[14:15], v[4:5], v[14:15], v[10:11] op_sel_hi:[1,0,1]
	v_cmp_le_i32_e32 vcc, s11, v6
	s_or_b64 s[4:5], vcc, s[4:5]
	s_waitcnt vmcnt(0)
	v_pk_fma_f32 v[8:9], v[14:15], v[16:17], v[8:9] op_sel_hi:[1,0,1]
	v_pk_fma_f32 v[8:9], v[14:15], v[16:17], v[8:9] op_sel:[1,1,0] op_sel_hi:[0,1,1] neg_lo:[1,0,0]
	s_andn2_b64 exec, exec, s[4:5]
	s_cbranch_execnz .LBB156_11
; %bb.12:
	s_or_b64 exec, exec, s[4:5]
.LBB156_13:
	s_or_b64 exec, exec, s[12:13]
	s_movk_i32 s0, 0x80
	v_lshlrev_b32_e32 v1, 3, v0
	v_cmp_gt_u32_e32 vcc, s0, v0
	ds_write_b64 v1, v[8:9]
	s_waitcnt lgkmcnt(0)
	s_barrier
	s_and_saveexec_b64 s[0:1], vcc
	s_cbranch_execz .LBB156_15
; %bb.14:
	ds_read2st64_b64 v[4:7], v1 offset1:2
	s_waitcnt lgkmcnt(0)
	v_pk_add_f32 v[4:5], v[6:7], v[4:5]
	ds_write_b64 v1, v[4:5]
.LBB156_15:
	s_or_b64 exec, exec, s[0:1]
	v_cmp_gt_u32_e32 vcc, 64, v0
	s_waitcnt lgkmcnt(0)
	s_barrier
	s_and_saveexec_b64 s[0:1], vcc
	s_cbranch_execz .LBB156_17
; %bb.16:
	ds_read2st64_b64 v[4:7], v1 offset1:1
	s_waitcnt lgkmcnt(0)
	v_pk_add_f32 v[4:5], v[6:7], v[4:5]
	ds_write_b64 v1, v[4:5]
.LBB156_17:
	s_or_b64 exec, exec, s[0:1]
	v_cmp_gt_u32_e32 vcc, 32, v0
	s_waitcnt lgkmcnt(0)
	s_barrier
	s_and_saveexec_b64 s[0:1], vcc
	s_cbranch_execz .LBB156_19
; %bb.18:
	ds_read2_b64 v[4:7], v1 offset1:32
	s_waitcnt lgkmcnt(0)
	v_pk_add_f32 v[4:5], v[6:7], v[4:5]
	ds_write_b64 v1, v[4:5]
.LBB156_19:
	s_or_b64 exec, exec, s[0:1]
	v_cmp_gt_u32_e32 vcc, 16, v0
	s_waitcnt lgkmcnt(0)
	s_barrier
	s_and_saveexec_b64 s[0:1], vcc
	s_cbranch_execz .LBB156_21
; %bb.20:
	ds_read2_b64 v[4:7], v1 offset1:16
	s_waitcnt lgkmcnt(0)
	v_pk_add_f32 v[4:5], v[6:7], v[4:5]
	ds_write_b64 v1, v[4:5]
.LBB156_21:
	;; [unrolled: 12-line block ×5, first 2 shown]
	s_or_b64 exec, exec, s[0:1]
	v_cmp_eq_u32_e32 vcc, 0, v0
	s_waitcnt lgkmcnt(0)
	s_barrier
	s_and_saveexec_b64 s[0:1], vcc
	s_cbranch_execz .LBB156_29
; %bb.28:
	v_mov_b32_e32 v8, 0
	ds_read2_b64 v[4:7], v8 offset1:1
	s_waitcnt lgkmcnt(0)
	v_pk_add_f32 v[0:1], v[6:7], v[4:5]
	ds_write_b64 v8, v[0:1]
.LBB156_29:
	s_or_b64 exec, exec, s[0:1]
	s_waitcnt lgkmcnt(0)
	s_barrier
	s_and_b64 exec, exec, vcc
	s_cbranch_execz .LBB156_33
; %bb.30:
	v_mov_b32_e32 v4, 0
	ds_read_b64 v[0:1], v4
	v_and_b32_e32 v5, 0x7fffffff, v2
	v_cmp_ne_u32_e32 vcc, 0, v5
	v_cmp_neq_f32_e64 s[0:1], 0, v3
	s_or_b64 s[2:3], vcc, s[0:1]
	s_and_saveexec_b64 s[0:1], s[2:3]
	s_cbranch_execz .LBB156_32
; %bb.31:
	s_lshl_b64 s[2:3], s[6:7], 3
	s_add_u32 s2, s8, s2
	s_addc_u32 s3, s9, s3
	s_load_dwordx2 s[2:3], s[2:3], 0x0
	v_xor_b32_e32 v6, 0x80000000, v3
	v_mov_b32_e32 v7, v2
	s_waitcnt lgkmcnt(0)
	v_pk_fma_f32 v[0:1], v[2:3], s[2:3], v[0:1] op_sel_hi:[1,0,1]
	v_pk_fma_f32 v[0:1], v[6:7], s[2:3], v[0:1] op_sel:[0,1,0]
.LBB156_32:
	s_or_b64 exec, exec, s[0:1]
	s_lshl_b64 s[0:1], s[6:7], 3
	s_add_u32 s0, s8, s0
	s_addc_u32 s1, s9, s1
	s_waitcnt lgkmcnt(0)
	global_store_dwordx2 v4, v[0:1], s[0:1]
.LBB156_33:
	s_endpgm
.LBB156_34:
	v_pk_mov_b32 v[2:3], s[8:9], s[8:9] op_sel:[0,1]
	flat_load_dword v5, v[2:3] offset:4
	s_and_b64 vcc, exec, s[0:1]
	v_mov_b32_e32 v2, s2
	s_cbranch_vccnz .LBB156_4
.LBB156_35:
	v_pk_mov_b32 v[2:3], s[2:3], s[2:3] op_sel:[0,1]
	flat_load_dword v2, v[2:3]
	s_and_b64 vcc, exec, s[0:1]
	v_mov_b32_e32 v3, s3
	s_cbranch_vccz .LBB156_5
	s_branch .LBB156_6
	.section	.rodata,"a",@progbits
	.p2align	6, 0x0
	.amdhsa_kernel _ZN9rocsparseL29csrmvn_lrb_medium_rows_kernelILj256Eiif21rocsparse_complex_numIfES2_S2_EEvbT0_PT1_S5_jNS_24const_host_device_scalarIT5_EEPKS3_PKS4_PKT2_PKT3_S8_PT4_21rocsparse_index_base_b
		.amdhsa_group_segment_fixed_size 2048
		.amdhsa_private_segment_fixed_size 0
		.amdhsa_kernarg_size 96
		.amdhsa_user_sgpr_count 6
		.amdhsa_user_sgpr_private_segment_buffer 1
		.amdhsa_user_sgpr_dispatch_ptr 0
		.amdhsa_user_sgpr_queue_ptr 0
		.amdhsa_user_sgpr_kernarg_segment_ptr 1
		.amdhsa_user_sgpr_dispatch_id 0
		.amdhsa_user_sgpr_flat_scratch_init 0
		.amdhsa_user_sgpr_kernarg_preload_length 0
		.amdhsa_user_sgpr_kernarg_preload_offset 0
		.amdhsa_user_sgpr_private_segment_size 0
		.amdhsa_uses_dynamic_stack 0
		.amdhsa_system_sgpr_private_segment_wavefront_offset 0
		.amdhsa_system_sgpr_workgroup_id_x 1
		.amdhsa_system_sgpr_workgroup_id_y 0
		.amdhsa_system_sgpr_workgroup_id_z 0
		.amdhsa_system_sgpr_workgroup_info 0
		.amdhsa_system_vgpr_workitem_id 0
		.amdhsa_next_free_vgpr 18
		.amdhsa_next_free_sgpr 18
		.amdhsa_accum_offset 20
		.amdhsa_reserve_vcc 1
		.amdhsa_reserve_flat_scratch 0
		.amdhsa_float_round_mode_32 0
		.amdhsa_float_round_mode_16_64 0
		.amdhsa_float_denorm_mode_32 3
		.amdhsa_float_denorm_mode_16_64 3
		.amdhsa_dx10_clamp 1
		.amdhsa_ieee_mode 1
		.amdhsa_fp16_overflow 0
		.amdhsa_tg_split 0
		.amdhsa_exception_fp_ieee_invalid_op 0
		.amdhsa_exception_fp_denorm_src 0
		.amdhsa_exception_fp_ieee_div_zero 0
		.amdhsa_exception_fp_ieee_overflow 0
		.amdhsa_exception_fp_ieee_underflow 0
		.amdhsa_exception_fp_ieee_inexact 0
		.amdhsa_exception_int_div_zero 0
	.end_amdhsa_kernel
	.section	.text._ZN9rocsparseL29csrmvn_lrb_medium_rows_kernelILj256Eiif21rocsparse_complex_numIfES2_S2_EEvbT0_PT1_S5_jNS_24const_host_device_scalarIT5_EEPKS3_PKS4_PKT2_PKT3_S8_PT4_21rocsparse_index_base_b,"axG",@progbits,_ZN9rocsparseL29csrmvn_lrb_medium_rows_kernelILj256Eiif21rocsparse_complex_numIfES2_S2_EEvbT0_PT1_S5_jNS_24const_host_device_scalarIT5_EEPKS3_PKS4_PKT2_PKT3_S8_PT4_21rocsparse_index_base_b,comdat
.Lfunc_end156:
	.size	_ZN9rocsparseL29csrmvn_lrb_medium_rows_kernelILj256Eiif21rocsparse_complex_numIfES2_S2_EEvbT0_PT1_S5_jNS_24const_host_device_scalarIT5_EEPKS3_PKS4_PKT2_PKT3_S8_PT4_21rocsparse_index_base_b, .Lfunc_end156-_ZN9rocsparseL29csrmvn_lrb_medium_rows_kernelILj256Eiif21rocsparse_complex_numIfES2_S2_EEvbT0_PT1_S5_jNS_24const_host_device_scalarIT5_EEPKS3_PKS4_PKT2_PKT3_S8_PT4_21rocsparse_index_base_b
                                        ; -- End function
	.section	.AMDGPU.csdata,"",@progbits
; Kernel info:
; codeLenInByte = 1212
; NumSgprs: 22
; NumVgprs: 18
; NumAgprs: 0
; TotalNumVgprs: 18
; ScratchSize: 0
; MemoryBound: 0
; FloatMode: 240
; IeeeMode: 1
; LDSByteSize: 2048 bytes/workgroup (compile time only)
; SGPRBlocks: 2
; VGPRBlocks: 2
; NumSGPRsForWavesPerEU: 22
; NumVGPRsForWavesPerEU: 18
; AccumOffset: 20
; Occupancy: 8
; WaveLimiterHint : 1
; COMPUTE_PGM_RSRC2:SCRATCH_EN: 0
; COMPUTE_PGM_RSRC2:USER_SGPR: 6
; COMPUTE_PGM_RSRC2:TRAP_HANDLER: 0
; COMPUTE_PGM_RSRC2:TGID_X_EN: 1
; COMPUTE_PGM_RSRC2:TGID_Y_EN: 0
; COMPUTE_PGM_RSRC2:TGID_Z_EN: 0
; COMPUTE_PGM_RSRC2:TIDIG_COMP_CNT: 0
; COMPUTE_PGM_RSRC3_GFX90A:ACCUM_OFFSET: 4
; COMPUTE_PGM_RSRC3_GFX90A:TG_SPLIT: 0
	.section	.text._ZN9rocsparseL27csrmvn_lrb_long_rows_kernelIiif21rocsparse_complex_numIfES2_S2_EEvbT_PjPT0_S6_jNS_24const_host_device_scalarIT4_EEPKS3_PKS5_PKT1_PKT2_S9_PT3_21rocsparse_index_base_b,"axG",@progbits,_ZN9rocsparseL27csrmvn_lrb_long_rows_kernelIiif21rocsparse_complex_numIfES2_S2_EEvbT_PjPT0_S6_jNS_24const_host_device_scalarIT4_EEPKS3_PKS5_PKT1_PKT2_S9_PT3_21rocsparse_index_base_b,comdat
	.globl	_ZN9rocsparseL27csrmvn_lrb_long_rows_kernelIiif21rocsparse_complex_numIfES2_S2_EEvbT_PjPT0_S6_jNS_24const_host_device_scalarIT4_EEPKS3_PKS5_PKT1_PKT2_S9_PT3_21rocsparse_index_base_b ; -- Begin function _ZN9rocsparseL27csrmvn_lrb_long_rows_kernelIiif21rocsparse_complex_numIfES2_S2_EEvbT_PjPT0_S6_jNS_24const_host_device_scalarIT4_EEPKS3_PKS5_PKT1_PKT2_S9_PT3_21rocsparse_index_base_b
	.p2align	8
	.type	_ZN9rocsparseL27csrmvn_lrb_long_rows_kernelIiif21rocsparse_complex_numIfES2_S2_EEvbT_PjPT0_S6_jNS_24const_host_device_scalarIT4_EEPKS3_PKS5_PKT1_PKT2_S9_PT3_21rocsparse_index_base_b,@function
_ZN9rocsparseL27csrmvn_lrb_long_rows_kernelIiif21rocsparse_complex_numIfES2_S2_EEvbT_PjPT0_S6_jNS_24const_host_device_scalarIT4_EEPKS3_PKS5_PKT1_PKT2_S9_PT3_21rocsparse_index_base_b: ; @_ZN9rocsparseL27csrmvn_lrb_long_rows_kernelIiif21rocsparse_complex_numIfES2_S2_EEvbT_PjPT0_S6_jNS_24const_host_device_scalarIT4_EEPKS3_PKS5_PKT1_PKT2_S9_PT3_21rocsparse_index_base_b
; %bb.0:
	s_load_dwordx2 s[16:17], s[4:5], 0x60
	s_load_dwordx2 s[8:9], s[4:5], 0x28
	;; [unrolled: 1-line block ×3, first 2 shown]
	s_waitcnt lgkmcnt(0)
	s_bitcmp1_b32 s17, 0
	s_cselect_b64 s[0:1], -1, 0
	s_xor_b64 s[10:11], s[0:1], -1
	s_and_b64 vcc, exec, s[0:1]
	v_mov_b32_e32 v2, s8
	s_cbranch_vccnz .LBB157_2
; %bb.1:
	v_pk_mov_b32 v[2:3], s[8:9], s[8:9] op_sel:[0,1]
	flat_load_dword v2, v[2:3]
.LBB157_2:
	v_cndmask_b32_e64 v1, 0, 1, s[10:11]
	v_cmp_ne_u32_e64 s[0:1], 1, v1
	s_andn2_b64 vcc, exec, s[10:11]
	v_mov_b32_e32 v3, s9
	s_cbranch_vccz .LBB157_39
; %bb.3:
	s_and_b64 vcc, exec, s[0:1]
	v_mov_b32_e32 v1, s2
	s_cbranch_vccz .LBB157_40
.LBB157_4:
	s_and_b64 vcc, exec, s[0:1]
	v_mov_b32_e32 v5, s3
	s_cbranch_vccnz .LBB157_6
.LBB157_5:
	v_pk_mov_b32 v[4:5], s[2:3], s[2:3] op_sel:[0,1]
	flat_load_dword v5, v[4:5] offset:4
.LBB157_6:
	s_waitcnt vmcnt(0) lgkmcnt(0)
	v_or_b32_e32 v4, v2, v3
	v_and_b32_e32 v4, 0x7fffffff, v4
	v_cmp_eq_u32_e32 vcc, 0, v4
	s_mov_b64 s[0:1], -1
	s_and_saveexec_b64 s[2:3], vcc
; %bb.7:
	v_cmp_neq_f32_e32 vcc, 1.0, v1
	v_cmp_neq_f32_e64 s[0:1], 0, v5
	s_or_b64 s[0:1], vcc, s[0:1]
	s_orn2_b64 s[0:1], s[0:1], exec
; %bb.8:
	s_or_b64 exec, exec, s[2:3]
	s_and_saveexec_b64 s[2:3], s[0:1]
	s_cbranch_execz .LBB157_48
; %bb.9:
	s_load_dword s10, s[4:5], 0x20
	s_load_dwordx2 s[0:1], s[4:5], 0x18
	s_mov_b32 s11, 0
	s_waitcnt lgkmcnt(0)
	s_lshl_b64 s[2:3], s[10:11], 2
	s_add_u32 s8, s0, s2
	s_addc_u32 s9, s1, s3
	s_lshl_b32 s0, -1, s10
	s_not_b32 s0, s0
	s_mul_hi_u32 s0, s0, 0x2aaaaaab
	s_lshr_b32 s7, s0, 7
	s_add_i32 s10, s7, 1
	v_cvt_f32_u32_e32 v4, s10
	s_load_dwordx4 s[0:3], s[4:5], 0x8
	s_load_dword s12, s[8:9], 0x0
	s_not_b32 s7, s7
	v_rcp_iflag_f32_e32 v4, v4
	v_mul_f32_e32 v4, 0x4f7ffffe, v4
	v_cvt_u32_f32_e32 v4, v4
	v_readfirstlane_b32 s8, v4
	s_mul_i32 s7, s7, s8
	s_mul_hi_u32 s7, s8, s7
	s_add_i32 s8, s8, s7
	s_mul_hi_u32 s7, s6, s8
	s_mul_i32 s8, s7, s10
	s_sub_i32 s8, s6, s8
	s_add_i32 s9, s7, 1
	s_sub_i32 s13, s8, s10
	s_cmp_ge_u32 s8, s10
	s_cselect_b32 s7, s9, s7
	s_cselect_b32 s8, s13, s8
	s_add_i32 s9, s7, 1
	s_cmp_ge_u32 s8, s10
	s_cselect_b32 s7, s9, s7
	s_waitcnt lgkmcnt(0)
	s_add_i32 s8, s7, s12
	s_mul_i32 s14, s7, s10
	s_ashr_i32 s9, s8, 31
	s_sub_i32 s24, s6, s14
	s_lshl_b64 s[8:9], s[8:9], 2
	s_add_u32 s8, s2, s8
	s_addc_u32 s9, s3, s9
	s_load_dword s12, s[8:9], 0x0
	s_load_dwordx2 s[18:19], s[4:5], 0x30
	s_load_dwordx2 s[2:3], s[4:5], 0x58
	v_or_b32_e32 v4, s24, v0
	s_mov_b32 s10, s11
	s_waitcnt lgkmcnt(0)
	s_ashr_i32 s13, s12, 31
	s_lshl_b64 s[8:9], s[12:13], 2
	s_add_u32 s8, s18, s8
	s_addc_u32 s9, s19, s9
	s_ashr_i32 s7, s6, 31
	s_lshl_b64 s[6:7], s[6:7], 2
	s_add_u32 s6, s0, s6
	s_addc_u32 s7, s1, s7
	s_load_dwordx2 s[8:9], s[8:9], 0x0
	v_cmp_eq_u32_e32 vcc, 0, v4
	s_load_dword s17, s[6:7], 0x0
	v_pk_mov_b32 v[6:7], s[10:11], s[10:11] op_sel:[0,1]
	s_and_saveexec_b64 s[10:11], vcc
	s_cbranch_execz .LBB157_13
; %bb.10:
	s_lshl_b64 s[18:19], s[12:13], 3
	s_add_u32 s18, s2, s18
	s_addc_u32 s19, s3, s19
	s_load_dwordx2 s[18:19], s[18:19], 0x0
	s_mov_b64 s[20:21], exec
	v_add_f32_e32 v7, -1.0, v1
	v_mbcnt_lo_u32_b32 v1, s20, 0
	v_xor_b32_e32 v6, 0x80000000, v5
	v_mbcnt_hi_u32_b32 v1, s21, v1
	v_mov_b32_e32 v4, v7
	s_waitcnt lgkmcnt(0)
	v_pk_mul_f32 v[6:7], s[18:19], v[6:7] op_sel:[1,0]
	v_cmp_eq_u32_e32 vcc, 0, v1
	s_waitcnt vmcnt(0) expcnt(0) lgkmcnt(0)
	s_and_saveexec_b64 s[22:23], vcc
	s_cbranch_execz .LBB157_12
; %bb.11:
	s_ashr_i32 s15, s14, 31
	s_lshl_b64 s[26:27], s[14:15], 2
	s_add_u32 s26, s0, s26
	s_addc_u32 s27, s1, s27
	s_bcnt1_i32_b64 s15, s[20:21]
	s_and_b32 s15, s15, 1
	v_mov_b32_e32 v1, 0
	v_mov_b32_e32 v8, s15
	global_atomic_xor v1, v8, s[26:27]
.LBB157_12:
	s_or_b64 exec, exec, s[22:23]
	v_pk_fma_f32 v[6:7], v[4:5], s[18:19], v[6:7] op_sel_hi:[1,0,1]
.LBB157_13:
	s_or_b64 exec, exec, s[10:11]
	s_mul_i32 s10, s24, 0x300
	s_sub_i32 s10, s10, s16
	s_waitcnt lgkmcnt(0)
	s_add_i32 s8, s10, s8
	s_sub_i32 s9, s9, s16
	s_add_i32 s10, s8, 0x300
	s_min_i32 s15, s10, s9
	v_add_u32_e32 v4, s8, v0
	v_cmp_gt_i32_e32 vcc, s15, v4
	s_and_saveexec_b64 s[18:19], vcc
	s_cbranch_execz .LBB157_17
; %bb.14:
	s_load_dwordx2 s[20:21], s[4:5], 0x48
	s_load_dwordx4 s[8:11], s[4:5], 0x38
	s_mov_b32 s4, 0
	s_brev_b32 s5, 1
	v_pk_mul_f32 v[10:11], v[2:3], s[4:5]
	v_mov_b32_e32 v8, v11
	v_mov_b32_e32 v9, v10
	s_mov_b64 s[4:5], 0
	s_waitcnt lgkmcnt(0)
	v_mov_b32_e32 v1, s11
	v_mov_b32_e32 v10, s9
	;; [unrolled: 1-line block ×3, first 2 shown]
.LBB157_15:                             ; =>This Inner Loop Header: Depth=1
	v_ashrrev_i32_e32 v5, 31, v4
	v_lshlrev_b64 v[12:13], 2, v[4:5]
	v_add_co_u32_e32 v14, vcc, s8, v12
	v_addc_co_u32_e32 v15, vcc, v10, v13, vcc
	global_load_dword v5, v[14:15], off
	v_add_co_u32_e32 v12, vcc, s10, v12
	v_addc_co_u32_e32 v13, vcc, v1, v13, vcc
	global_load_dword v12, v[12:13], off
	v_add_u32_e32 v4, 0x100, v4
	s_waitcnt vmcnt(1)
	v_subrev_u32_e32 v14, s16, v5
	v_ashrrev_i32_e32 v15, 31, v14
	v_lshlrev_b64 v[14:15], 3, v[14:15]
	v_add_co_u32_e32 v14, vcc, s20, v14
	v_addc_co_u32_e32 v15, vcc, v11, v15, vcc
	global_load_dwordx2 v[14:15], v[14:15], off
	s_waitcnt vmcnt(1)
	v_pk_fma_f32 v[12:13], v[2:3], v[12:13], v[8:9] op_sel_hi:[1,0,1]
	v_cmp_le_i32_e32 vcc, s15, v4
	s_or_b64 s[4:5], vcc, s[4:5]
	s_waitcnt vmcnt(0)
	v_pk_fma_f32 v[6:7], v[12:13], v[14:15], v[6:7] op_sel_hi:[1,0,1]
	v_pk_fma_f32 v[6:7], v[12:13], v[14:15], v[6:7] op_sel:[1,1,0] op_sel_hi:[0,1,1] neg_lo:[1,0,0]
	s_andn2_b64 exec, exec, s[4:5]
	s_cbranch_execnz .LBB157_15
; %bb.16:
	s_or_b64 exec, exec, s[4:5]
.LBB157_17:
	s_or_b64 exec, exec, s[18:19]
	s_movk_i32 s4, 0x80
	v_lshlrev_b32_e32 v1, 3, v0
	v_cmp_gt_u32_e32 vcc, s4, v0
	ds_write_b64 v1, v[6:7]
	s_waitcnt lgkmcnt(0)
	s_barrier
	s_and_saveexec_b64 s[4:5], vcc
	s_cbranch_execz .LBB157_19
; %bb.18:
	ds_read2st64_b64 v[2:5], v1 offset1:2
	s_waitcnt lgkmcnt(0)
	v_pk_add_f32 v[2:3], v[4:5], v[2:3]
	ds_write_b64 v1, v[2:3]
.LBB157_19:
	s_or_b64 exec, exec, s[4:5]
	v_cmp_gt_u32_e32 vcc, 64, v0
	s_waitcnt lgkmcnt(0)
	s_barrier
	s_and_saveexec_b64 s[4:5], vcc
	s_cbranch_execz .LBB157_21
; %bb.20:
	ds_read2st64_b64 v[2:5], v1 offset1:1
	s_waitcnt lgkmcnt(0)
	v_pk_add_f32 v[2:3], v[4:5], v[2:3]
	ds_write_b64 v1, v[2:3]
.LBB157_21:
	s_or_b64 exec, exec, s[4:5]
	v_cmp_gt_u32_e32 vcc, 32, v0
	s_waitcnt lgkmcnt(0)
	s_barrier
	s_and_saveexec_b64 s[4:5], vcc
	s_cbranch_execz .LBB157_23
; %bb.22:
	ds_read2_b64 v[2:5], v1 offset1:32
	s_waitcnt lgkmcnt(0)
	v_pk_add_f32 v[2:3], v[4:5], v[2:3]
	ds_write_b64 v1, v[2:3]
.LBB157_23:
	s_or_b64 exec, exec, s[4:5]
	v_cmp_gt_u32_e32 vcc, 16, v0
	s_waitcnt lgkmcnt(0)
	s_barrier
	s_and_saveexec_b64 s[4:5], vcc
	s_cbranch_execz .LBB157_25
; %bb.24:
	ds_read2_b64 v[2:5], v1 offset1:16
	s_waitcnt lgkmcnt(0)
	v_pk_add_f32 v[2:3], v[4:5], v[2:3]
	ds_write_b64 v1, v[2:3]
.LBB157_25:
	;; [unrolled: 12-line block ×5, first 2 shown]
	s_or_b64 exec, exec, s[4:5]
	v_cmp_eq_u32_e32 vcc, 0, v0
	s_waitcnt lgkmcnt(0)
	s_barrier
	s_and_saveexec_b64 s[4:5], vcc
	s_cbranch_execz .LBB157_33
; %bb.32:
	v_mov_b32_e32 v4, 0
	ds_read2_b64 v[0:3], v4 offset1:1
	s_waitcnt lgkmcnt(0)
	v_pk_add_f32 v[0:1], v[2:3], v[0:1]
	ds_write_b64 v4, v[0:1]
.LBB157_33:
	s_or_b64 exec, exec, s[4:5]
	s_waitcnt lgkmcnt(0)
	s_barrier
	s_and_b64 exec, exec, vcc
	s_cbranch_execz .LBB157_48
; %bb.34:
	s_cmp_eq_u32 s24, 0
	s_cbranch_scc1 .LBB157_42
; %bb.35:
	s_ashr_i32 s15, s14, 31
	s_lshl_b64 s[4:5], s[14:15], 2
	s_add_u32 s0, s0, s4
	s_addc_u32 s1, s1, s5
	v_mov_b32_e32 v0, 0
	s_branch .LBB157_37
.LBB157_36:                             ;   in Loop: Header=BB157_37 Depth=1
	s_or_b64 exec, exec, s[4:5]
	s_waitcnt vmcnt(0)
	v_readfirstlane_b32 s4, v1
	s_cmp_eq_u32 s4, s17
	s_cbranch_scc0 .LBB157_41
.LBB157_37:                             ; =>This Inner Loop Header: Depth=1
	v_mbcnt_lo_u32_b32 v1, exec_lo, 0
	v_mbcnt_hi_u32_b32 v1, exec_hi, v1
	v_cmp_eq_u32_e32 vcc, 0, v1
                                        ; implicit-def: $vgpr1
	s_and_saveexec_b64 s[4:5], vcc
	s_cbranch_execz .LBB157_36
; %bb.38:                               ;   in Loop: Header=BB157_37 Depth=1
	global_load_dword v1, v0, s[0:1] glc
	s_branch .LBB157_36
.LBB157_39:
	v_pk_mov_b32 v[4:5], s[8:9], s[8:9] op_sel:[0,1]
	flat_load_dword v3, v[4:5] offset:4
	s_and_b64 vcc, exec, s[0:1]
	v_mov_b32_e32 v1, s2
	s_cbranch_vccnz .LBB157_4
.LBB157_40:
	v_pk_mov_b32 v[4:5], s[2:3], s[2:3] op_sel:[0,1]
	flat_load_dword v1, v[4:5]
	s_and_b64 vcc, exec, s[0:1]
	v_mov_b32_e32 v5, s3
	s_cbranch_vccz .LBB157_5
	s_branch .LBB157_6
.LBB157_41:
	v_mov_b32_e32 v0, 0
	global_load_dword v1, v0, s[6:7]
	s_waitcnt vmcnt(0)
	v_xor_b32_e32 v1, 1, v1
	global_store_dword v0, v1, s[6:7]
.LBB157_42:
	v_mov_b32_e32 v4, 0
	ds_read_b64 v[0:1], v4
	s_mov_b64 s[4:5], exec
	s_lshl_b64 s[0:1], s[12:13], 3
	v_mbcnt_lo_u32_b32 v2, s4, 0
	s_add_u32 s0, s2, s0
	v_mbcnt_hi_u32_b32 v2, s5, v2
	s_addc_u32 s1, s3, s1
	v_cmp_eq_u32_e32 vcc, 0, v2
	s_and_saveexec_b64 s[2:3], vcc
	s_cbranch_execz .LBB157_45
; %bb.43:
	global_load_dword v3, v4, s[0:1]
	s_bcnt1_i32_b64 s4, s[4:5]
	v_cvt_f32_ubyte0_e32 v2, s4
	s_waitcnt lgkmcnt(0)
	v_mul_f32_e32 v0, v0, v2
	s_mov_b64 s[4:5], 0
.LBB157_44:                             ; =>This Inner Loop Header: Depth=1
	s_waitcnt vmcnt(0)
	v_add_f32_e32 v2, v3, v0
	global_atomic_cmpswap v2, v4, v[2:3], s[0:1] glc
	s_waitcnt vmcnt(0)
	v_cmp_eq_u32_e32 vcc, v2, v3
	s_or_b64 s[4:5], vcc, s[4:5]
	v_mov_b32_e32 v3, v2
	s_andn2_b64 exec, exec, s[4:5]
	s_cbranch_execnz .LBB157_44
.LBB157_45:
	s_or_b64 exec, exec, s[2:3]
	s_mov_b64 s[2:3], exec
	s_waitcnt lgkmcnt(0)
	v_mbcnt_lo_u32_b32 v0, s2, 0
	v_mbcnt_hi_u32_b32 v0, s3, v0
	v_cmp_eq_u32_e32 vcc, 0, v0
	s_and_b64 s[4:5], exec, vcc
	s_mov_b64 exec, s[4:5]
	s_cbranch_execz .LBB157_48
; %bb.46:
	v_mov_b32_e32 v0, 0
	global_load_dword v3, v0, s[0:1] offset:4
	s_bcnt1_i32_b64 s2, s[2:3]
	v_cvt_f32_ubyte0_e32 v2, s2
	v_mul_f32_e32 v1, v1, v2
	s_mov_b64 s[2:3], 0
.LBB157_47:                             ; =>This Inner Loop Header: Depth=1
	s_waitcnt vmcnt(0)
	v_add_f32_e32 v2, v3, v1
	global_atomic_cmpswap v2, v0, v[2:3], s[0:1] offset:4 glc
	s_waitcnt vmcnt(0)
	v_cmp_eq_u32_e32 vcc, v2, v3
	s_or_b64 s[2:3], vcc, s[2:3]
	v_mov_b32_e32 v3, v2
	s_andn2_b64 exec, exec, s[2:3]
	s_cbranch_execnz .LBB157_47
.LBB157_48:
	s_endpgm
	.section	.rodata,"a",@progbits
	.p2align	6, 0x0
	.amdhsa_kernel _ZN9rocsparseL27csrmvn_lrb_long_rows_kernelIiif21rocsparse_complex_numIfES2_S2_EEvbT_PjPT0_S6_jNS_24const_host_device_scalarIT4_EEPKS3_PKS5_PKT1_PKT2_S9_PT3_21rocsparse_index_base_b
		.amdhsa_group_segment_fixed_size 2048
		.amdhsa_private_segment_fixed_size 0
		.amdhsa_kernarg_size 104
		.amdhsa_user_sgpr_count 6
		.amdhsa_user_sgpr_private_segment_buffer 1
		.amdhsa_user_sgpr_dispatch_ptr 0
		.amdhsa_user_sgpr_queue_ptr 0
		.amdhsa_user_sgpr_kernarg_segment_ptr 1
		.amdhsa_user_sgpr_dispatch_id 0
		.amdhsa_user_sgpr_flat_scratch_init 0
		.amdhsa_user_sgpr_kernarg_preload_length 0
		.amdhsa_user_sgpr_kernarg_preload_offset 0
		.amdhsa_user_sgpr_private_segment_size 0
		.amdhsa_uses_dynamic_stack 0
		.amdhsa_system_sgpr_private_segment_wavefront_offset 0
		.amdhsa_system_sgpr_workgroup_id_x 1
		.amdhsa_system_sgpr_workgroup_id_y 0
		.amdhsa_system_sgpr_workgroup_id_z 0
		.amdhsa_system_sgpr_workgroup_info 0
		.amdhsa_system_vgpr_workitem_id 0
		.amdhsa_next_free_vgpr 16
		.amdhsa_next_free_sgpr 28
		.amdhsa_accum_offset 16
		.amdhsa_reserve_vcc 1
		.amdhsa_reserve_flat_scratch 0
		.amdhsa_float_round_mode_32 0
		.amdhsa_float_round_mode_16_64 0
		.amdhsa_float_denorm_mode_32 3
		.amdhsa_float_denorm_mode_16_64 3
		.amdhsa_dx10_clamp 1
		.amdhsa_ieee_mode 1
		.amdhsa_fp16_overflow 0
		.amdhsa_tg_split 0
		.amdhsa_exception_fp_ieee_invalid_op 0
		.amdhsa_exception_fp_denorm_src 0
		.amdhsa_exception_fp_ieee_div_zero 0
		.amdhsa_exception_fp_ieee_overflow 0
		.amdhsa_exception_fp_ieee_underflow 0
		.amdhsa_exception_fp_ieee_inexact 0
		.amdhsa_exception_int_div_zero 0
	.end_amdhsa_kernel
	.section	.text._ZN9rocsparseL27csrmvn_lrb_long_rows_kernelIiif21rocsparse_complex_numIfES2_S2_EEvbT_PjPT0_S6_jNS_24const_host_device_scalarIT4_EEPKS3_PKS5_PKT1_PKT2_S9_PT3_21rocsparse_index_base_b,"axG",@progbits,_ZN9rocsparseL27csrmvn_lrb_long_rows_kernelIiif21rocsparse_complex_numIfES2_S2_EEvbT_PjPT0_S6_jNS_24const_host_device_scalarIT4_EEPKS3_PKS5_PKT1_PKT2_S9_PT3_21rocsparse_index_base_b,comdat
.Lfunc_end157:
	.size	_ZN9rocsparseL27csrmvn_lrb_long_rows_kernelIiif21rocsparse_complex_numIfES2_S2_EEvbT_PjPT0_S6_jNS_24const_host_device_scalarIT4_EEPKS3_PKS5_PKT1_PKT2_S9_PT3_21rocsparse_index_base_b, .Lfunc_end157-_ZN9rocsparseL27csrmvn_lrb_long_rows_kernelIiif21rocsparse_complex_numIfES2_S2_EEvbT_PjPT0_S6_jNS_24const_host_device_scalarIT4_EEPKS3_PKS5_PKT1_PKT2_S9_PT3_21rocsparse_index_base_b
                                        ; -- End function
	.section	.AMDGPU.csdata,"",@progbits
; Kernel info:
; codeLenInByte = 1760
; NumSgprs: 32
; NumVgprs: 16
; NumAgprs: 0
; TotalNumVgprs: 16
; ScratchSize: 0
; MemoryBound: 0
; FloatMode: 240
; IeeeMode: 1
; LDSByteSize: 2048 bytes/workgroup (compile time only)
; SGPRBlocks: 3
; VGPRBlocks: 1
; NumSGPRsForWavesPerEU: 32
; NumVGPRsForWavesPerEU: 16
; AccumOffset: 16
; Occupancy: 8
; WaveLimiterHint : 1
; COMPUTE_PGM_RSRC2:SCRATCH_EN: 0
; COMPUTE_PGM_RSRC2:USER_SGPR: 6
; COMPUTE_PGM_RSRC2:TRAP_HANDLER: 0
; COMPUTE_PGM_RSRC2:TGID_X_EN: 1
; COMPUTE_PGM_RSRC2:TGID_Y_EN: 0
; COMPUTE_PGM_RSRC2:TGID_Z_EN: 0
; COMPUTE_PGM_RSRC2:TIDIG_COMP_CNT: 0
; COMPUTE_PGM_RSRC3_GFX90A:ACCUM_OFFSET: 3
; COMPUTE_PGM_RSRC3_GFX90A:TG_SPLIT: 0
	.section	.text._ZN9rocsparseL28csrmvn_lrb_short_rows_kernelIlif21rocsparse_complex_numIfES2_S2_EEvbT_PT0_S5_jNS_24const_host_device_scalarIT4_EEPKS3_PKS4_PKT1_PKT2_S8_PT3_21rocsparse_index_base_b,"axG",@progbits,_ZN9rocsparseL28csrmvn_lrb_short_rows_kernelIlif21rocsparse_complex_numIfES2_S2_EEvbT_PT0_S5_jNS_24const_host_device_scalarIT4_EEPKS3_PKS4_PKT1_PKT2_S8_PT3_21rocsparse_index_base_b,comdat
	.globl	_ZN9rocsparseL28csrmvn_lrb_short_rows_kernelIlif21rocsparse_complex_numIfES2_S2_EEvbT_PT0_S5_jNS_24const_host_device_scalarIT4_EEPKS3_PKS4_PKT1_PKT2_S8_PT3_21rocsparse_index_base_b ; -- Begin function _ZN9rocsparseL28csrmvn_lrb_short_rows_kernelIlif21rocsparse_complex_numIfES2_S2_EEvbT_PT0_S5_jNS_24const_host_device_scalarIT4_EEPKS3_PKS4_PKT1_PKT2_S8_PT3_21rocsparse_index_base_b
	.p2align	8
	.type	_ZN9rocsparseL28csrmvn_lrb_short_rows_kernelIlif21rocsparse_complex_numIfES2_S2_EEvbT_PT0_S5_jNS_24const_host_device_scalarIT4_EEPKS3_PKS4_PKT1_PKT2_S8_PT3_21rocsparse_index_base_b,@function
_ZN9rocsparseL28csrmvn_lrb_short_rows_kernelIlif21rocsparse_complex_numIfES2_S2_EEvbT_PT0_S5_jNS_24const_host_device_scalarIT4_EEPKS3_PKS4_PKT1_PKT2_S8_PT3_21rocsparse_index_base_b: ; @_ZN9rocsparseL28csrmvn_lrb_short_rows_kernelIlif21rocsparse_complex_numIfES2_S2_EEvbT_PT0_S5_jNS_24const_host_device_scalarIT4_EEPKS3_PKS4_PKT1_PKT2_S8_PT3_21rocsparse_index_base_b
; %bb.0:
	s_load_dwordx2 s[16:17], s[4:5], 0x60
	s_load_dwordx2 s[8:9], s[4:5], 0x28
	;; [unrolled: 1-line block ×3, first 2 shown]
	s_waitcnt lgkmcnt(0)
	s_bitcmp1_b32 s17, 0
	s_cselect_b64 s[0:1], -1, 0
	s_xor_b64 s[10:11], s[0:1], -1
	s_and_b64 vcc, exec, s[0:1]
	v_mov_b32_e32 v8, s8
	s_cbranch_vccnz .LBB158_2
; %bb.1:
	v_pk_mov_b32 v[2:3], s[8:9], s[8:9] op_sel:[0,1]
	flat_load_dword v8, v[2:3]
.LBB158_2:
	v_cndmask_b32_e64 v1, 0, 1, s[10:11]
	v_cmp_ne_u32_e64 s[0:1], 1, v1
	s_andn2_b64 vcc, exec, s[10:11]
	v_mov_b32_e32 v9, s9
	s_cbranch_vccz .LBB158_17
; %bb.3:
	s_and_b64 vcc, exec, s[0:1]
	v_mov_b32_e32 v6, s2
	s_cbranch_vccz .LBB158_18
.LBB158_4:
	s_and_b64 vcc, exec, s[0:1]
	v_mov_b32_e32 v7, s3
	s_cbranch_vccnz .LBB158_6
.LBB158_5:
	v_pk_mov_b32 v[2:3], s[2:3], s[2:3] op_sel:[0,1]
	flat_load_dword v7, v[2:3] offset:4
.LBB158_6:
	s_waitcnt vmcnt(0) lgkmcnt(0)
	v_or_b32_e32 v1, v8, v9
	v_and_b32_e32 v1, 0x7fffffff, v1
	v_cmp_eq_u32_e32 vcc, 0, v1
	s_mov_b64 s[0:1], -1
	s_and_saveexec_b64 s[2:3], vcc
; %bb.7:
	v_and_b32_e32 v1, 0x7fffffff, v7
	v_cmp_neq_f32_e32 vcc, 1.0, v6
	v_cmp_ne_u32_e64 s[0:1], 0, v1
	s_or_b64 s[0:1], vcc, s[0:1]
	s_orn2_b64 s[0:1], s[0:1], exec
; %bb.8:
	s_or_b64 exec, exec, s[2:3]
	s_and_saveexec_b64 s[2:3], s[0:1]
	s_cbranch_execz .LBB158_25
; %bb.9:
	s_load_dword s18, s[4:5], 0x20
	s_load_dwordx4 s[0:3], s[4:5], 0x10
	s_mov_b32 s20, 0
	s_mov_b32 s19, s20
	;; [unrolled: 1-line block ×3, first 2 shown]
	s_waitcnt lgkmcnt(0)
	s_lshl_b64 s[8:9], s[18:19], 2
	s_add_u32 s8, s2, s8
	s_addc_u32 s9, s3, s9
	s_add_i32 s10, s18, 1
	s_lshl_b64 s[10:11], s[10:11], 2
	s_add_u32 s2, s2, s10
	s_addc_u32 s3, s3, s11
	s_load_dword s17, s[8:9], 0x0
	s_load_dword s7, s[2:3], 0x0
	s_lshl_b32 s19, s6, 8
	s_add_i32 s3, s19, 0x100
	s_waitcnt lgkmcnt(0)
	s_sub_i32 s2, s7, s17
	s_min_u32 s21, s2, s3
	s_cmp_gt_u32 s18, 23
	s_cbranch_scc1 .LBB158_19
; %bb.10:
	s_load_dwordx8 s[8:15], s[4:5], 0x30
	s_brev_b32 s3, 1
	s_mov_b32 s2, s20
	v_mov_b32_e32 v13, 0
	v_pk_mul_f32 v[2:3], v[8:9], s[2:3]
	s_lshl_b32 s22, 0x100, s18
	v_bfe_u32 v10, v0, 0, s18
	v_mov_b32_e32 v11, v13
	v_mov_b32_e32 v14, v3
	;; [unrolled: 1-line block ×3, first 2 shown]
	v_lshl_add_u32 v1, v0, 3, 0
	s_mov_b32 s23, s20
	s_branch .LBB158_12
.LBB158_11:                             ;   in Loop: Header=BB158_12 Depth=1
	s_or_b64 exec, exec, s[2:3]
	s_addk_i32 s23, 0x100
	s_cmp_ge_u32 s23, s22
	v_add_u32_e32 v1, 0x800, v1
	s_cbranch_scc1 .LBB158_19
.LBB158_12:                             ; =>This Inner Loop Header: Depth=1
	v_add_u32_e32 v2, s23, v0
	v_lshrrev_b32_e32 v2, s18, v2
	v_add_u32_e32 v2, s19, v2
	v_cmp_gt_u32_e32 vcc, s21, v2
	s_and_saveexec_b64 s[2:3], vcc
	s_cbranch_execz .LBB158_11
; %bb.13:                               ;   in Loop: Header=BB158_12 Depth=1
	v_add_u32_e32 v12, s17, v2
	v_lshlrev_b64 v[2:3], 2, v[12:13]
	v_mov_b32_e32 v4, s1
	v_add_co_u32_e32 v2, vcc, s0, v2
	v_addc_co_u32_e32 v3, vcc, v4, v3, vcc
	global_load_dword v2, v[2:3], off
	s_waitcnt lgkmcnt(0)
	v_mov_b32_e32 v4, s9
	s_waitcnt vmcnt(0)
	v_ashrrev_i32_e32 v3, 31, v2
	v_lshlrev_b64 v[2:3], 3, v[2:3]
	v_add_co_u32_e32 v2, vcc, s8, v2
	v_addc_co_u32_e32 v3, vcc, v4, v3, vcc
	global_load_dwordx4 v[2:5], v[2:3], off
	s_waitcnt vmcnt(0)
	v_sub_co_u32_e32 v4, vcc, v4, v2
	v_subb_co_u32_e32 v5, vcc, v5, v3, vcc
	v_cmp_le_i64_e32 vcc, v[4:5], v[10:11]
	s_and_saveexec_b64 s[6:7], vcc
	s_xor_b64 s[6:7], exec, s[6:7]
	s_cbranch_execz .LBB158_15
; %bb.14:                               ;   in Loop: Header=BB158_12 Depth=1
	ds_write2_b32 v1, v13, v13 offset1:1
                                        ; implicit-def: $vgpr2_vgpr3
.LBB158_15:                             ;   in Loop: Header=BB158_12 Depth=1
	s_andn2_saveexec_b64 s[6:7], s[6:7]
	s_cbranch_execz .LBB158_11
; %bb.16:                               ;   in Loop: Header=BB158_12 Depth=1
	v_mov_b32_e32 v4, s20
	v_subrev_co_u32_e32 v2, vcc, s16, v2
	v_subb_co_u32_e32 v3, vcc, v3, v4, vcc
	v_add_co_u32_e32 v2, vcc, v2, v10
	v_addc_co_u32_e32 v3, vcc, 0, v3, vcc
	v_lshlrev_b64 v[2:3], 2, v[2:3]
	v_mov_b32_e32 v5, s11
	v_add_co_u32_e32 v4, vcc, s10, v2
	v_addc_co_u32_e32 v5, vcc, v5, v3, vcc
	global_load_dword v4, v[4:5], off
	v_mov_b32_e32 v5, s13
	v_add_co_u32_e32 v2, vcc, s12, v2
	v_addc_co_u32_e32 v3, vcc, v5, v3, vcc
	v_mov_b32_e32 v12, s15
	global_load_dword v2, v[2:3], off
	s_waitcnt vmcnt(1)
	v_subrev_u32_e32 v4, s16, v4
	v_ashrrev_i32_e32 v5, 31, v4
	v_lshlrev_b64 v[4:5], 3, v[4:5]
	v_add_co_u32_e32 v4, vcc, s14, v4
	v_addc_co_u32_e32 v5, vcc, v12, v5, vcc
	global_load_dwordx2 v[4:5], v[4:5], off
	s_waitcnt vmcnt(1)
	v_pk_fma_f32 v[2:3], v[8:9], v[2:3], v[14:15] op_sel_hi:[1,0,1]
	s_waitcnt vmcnt(0)
	v_pk_mul_f32 v[16:17], v[4:5], v[2:3] op_sel:[1,1] op_sel_hi:[1,0] neg_lo:[0,1]
	v_pk_fma_f32 v[2:3], v[2:3], v[4:5], v[16:17] op_sel_hi:[1,0,1]
	ds_write2_b32 v1, v2, v3 offset1:1
	s_branch .LBB158_11
.LBB158_17:
	v_pk_mov_b32 v[2:3], s[8:9], s[8:9] op_sel:[0,1]
	flat_load_dword v9, v[2:3] offset:4
	s_and_b64 vcc, exec, s[0:1]
	v_mov_b32_e32 v6, s2
	s_cbranch_vccnz .LBB158_4
.LBB158_18:
	v_pk_mov_b32 v[2:3], s[2:3], s[2:3] op_sel:[0,1]
	flat_load_dword v6, v[2:3]
	s_and_b64 vcc, exec, s[0:1]
	v_mov_b32_e32 v7, s3
	s_cbranch_vccz .LBB158_5
	s_branch .LBB158_6
.LBB158_19:
	s_sub_i32 s2, s21, s19
	v_cmp_gt_u32_e32 vcc, s2, v0
	s_waitcnt lgkmcnt(0)
	s_barrier
	s_and_b64 exec, exec, vcc
	s_cbranch_execz .LBB158_25
; %bb.20:
	s_add_i32 s17, s17, s19
	v_add_u32_e32 v2, s17, v0
	v_mov_b32_e32 v3, 0
	v_lshlrev_b64 v[4:5], 2, v[2:3]
	v_mov_b32_e32 v1, s1
	v_add_co_u32_e32 v4, vcc, s0, v4
	v_addc_co_u32_e32 v5, vcc, v1, v5, vcc
	global_load_dword v4, v[4:5], off
	s_load_dwordx2 s[2:3], s[4:5], 0x58
	v_lshlrev_b32_e32 v0, s18, v0
	v_lshl_add_u32 v0, v0, 3, 0
	s_mov_b32 s0, 1
	v_mov_b32_e32 v2, v3
.LBB158_21:                             ; =>This Inner Loop Header: Depth=1
	ds_read2_b32 v[8:9], v0 offset1:1
	s_lshr_b32 s1, s0, s18
	s_add_i32 s0, s0, 1
	v_add_u32_e32 v0, 8, v0
	s_cmp_lg_u32 s1, 0
	s_waitcnt lgkmcnt(0)
	v_pk_add_f32 v[2:3], v[2:3], v[8:9]
	s_cbranch_scc0 .LBB158_21
; %bb.22:
	v_and_b32_e32 v0, 0x7fffffff, v6
	v_cmp_ne_u32_e32 vcc, 0, v0
	v_cmp_neq_f32_e64 s[0:1], 0, v7
	s_waitcnt vmcnt(0)
	v_ashrrev_i32_e32 v5, 31, v4
	s_or_b64 s[4:5], vcc, s[0:1]
	v_lshlrev_b64 v[0:1], 3, v[4:5]
	s_and_saveexec_b64 s[0:1], s[4:5]
	s_cbranch_execz .LBB158_24
; %bb.23:
	v_mov_b32_e32 v5, s3
	v_add_co_u32_e32 v4, vcc, s2, v0
	v_addc_co_u32_e32 v5, vcc, v5, v1, vcc
	global_load_dwordx2 v[4:5], v[4:5], off
	v_xor_b32_e32 v8, 0x80000000, v7
	v_mov_b32_e32 v9, v6
	s_waitcnt vmcnt(0)
	v_pk_fma_f32 v[2:3], v[6:7], v[4:5], v[2:3] op_sel_hi:[1,0,1]
	v_pk_fma_f32 v[2:3], v[8:9], v[4:5], v[2:3] op_sel:[0,1,0]
.LBB158_24:
	s_or_b64 exec, exec, s[0:1]
	v_mov_b32_e32 v4, s3
	v_add_co_u32_e32 v0, vcc, s2, v0
	v_addc_co_u32_e32 v1, vcc, v4, v1, vcc
	global_store_dwordx2 v[0:1], v[2:3], off
.LBB158_25:
	s_endpgm
	.section	.rodata,"a",@progbits
	.p2align	6, 0x0
	.amdhsa_kernel _ZN9rocsparseL28csrmvn_lrb_short_rows_kernelIlif21rocsparse_complex_numIfES2_S2_EEvbT_PT0_S5_jNS_24const_host_device_scalarIT4_EEPKS3_PKS4_PKT1_PKT2_S8_PT3_21rocsparse_index_base_b
		.amdhsa_group_segment_fixed_size 0
		.amdhsa_private_segment_fixed_size 0
		.amdhsa_kernarg_size 104
		.amdhsa_user_sgpr_count 6
		.amdhsa_user_sgpr_private_segment_buffer 1
		.amdhsa_user_sgpr_dispatch_ptr 0
		.amdhsa_user_sgpr_queue_ptr 0
		.amdhsa_user_sgpr_kernarg_segment_ptr 1
		.amdhsa_user_sgpr_dispatch_id 0
		.amdhsa_user_sgpr_flat_scratch_init 0
		.amdhsa_user_sgpr_kernarg_preload_length 0
		.amdhsa_user_sgpr_kernarg_preload_offset 0
		.amdhsa_user_sgpr_private_segment_size 0
		.amdhsa_uses_dynamic_stack 0
		.amdhsa_system_sgpr_private_segment_wavefront_offset 0
		.amdhsa_system_sgpr_workgroup_id_x 1
		.amdhsa_system_sgpr_workgroup_id_y 0
		.amdhsa_system_sgpr_workgroup_id_z 0
		.amdhsa_system_sgpr_workgroup_info 0
		.amdhsa_system_vgpr_workitem_id 0
		.amdhsa_next_free_vgpr 18
		.amdhsa_next_free_sgpr 24
		.amdhsa_accum_offset 20
		.amdhsa_reserve_vcc 1
		.amdhsa_reserve_flat_scratch 0
		.amdhsa_float_round_mode_32 0
		.amdhsa_float_round_mode_16_64 0
		.amdhsa_float_denorm_mode_32 3
		.amdhsa_float_denorm_mode_16_64 3
		.amdhsa_dx10_clamp 1
		.amdhsa_ieee_mode 1
		.amdhsa_fp16_overflow 0
		.amdhsa_tg_split 0
		.amdhsa_exception_fp_ieee_invalid_op 0
		.amdhsa_exception_fp_denorm_src 0
		.amdhsa_exception_fp_ieee_div_zero 0
		.amdhsa_exception_fp_ieee_overflow 0
		.amdhsa_exception_fp_ieee_underflow 0
		.amdhsa_exception_fp_ieee_inexact 0
		.amdhsa_exception_int_div_zero 0
	.end_amdhsa_kernel
	.section	.text._ZN9rocsparseL28csrmvn_lrb_short_rows_kernelIlif21rocsparse_complex_numIfES2_S2_EEvbT_PT0_S5_jNS_24const_host_device_scalarIT4_EEPKS3_PKS4_PKT1_PKT2_S8_PT3_21rocsparse_index_base_b,"axG",@progbits,_ZN9rocsparseL28csrmvn_lrb_short_rows_kernelIlif21rocsparse_complex_numIfES2_S2_EEvbT_PT0_S5_jNS_24const_host_device_scalarIT4_EEPKS3_PKS4_PKT1_PKT2_S8_PT3_21rocsparse_index_base_b,comdat
.Lfunc_end158:
	.size	_ZN9rocsparseL28csrmvn_lrb_short_rows_kernelIlif21rocsparse_complex_numIfES2_S2_EEvbT_PT0_S5_jNS_24const_host_device_scalarIT4_EEPKS3_PKS4_PKT1_PKT2_S8_PT3_21rocsparse_index_base_b, .Lfunc_end158-_ZN9rocsparseL28csrmvn_lrb_short_rows_kernelIlif21rocsparse_complex_numIfES2_S2_EEvbT_PT0_S5_jNS_24const_host_device_scalarIT4_EEPKS3_PKS4_PKT1_PKT2_S8_PT3_21rocsparse_index_base_b
                                        ; -- End function
	.section	.AMDGPU.csdata,"",@progbits
; Kernel info:
; codeLenInByte = 1020
; NumSgprs: 28
; NumVgprs: 18
; NumAgprs: 0
; TotalNumVgprs: 18
; ScratchSize: 0
; MemoryBound: 0
; FloatMode: 240
; IeeeMode: 1
; LDSByteSize: 0 bytes/workgroup (compile time only)
; SGPRBlocks: 3
; VGPRBlocks: 2
; NumSGPRsForWavesPerEU: 28
; NumVGPRsForWavesPerEU: 18
; AccumOffset: 20
; Occupancy: 8
; WaveLimiterHint : 1
; COMPUTE_PGM_RSRC2:SCRATCH_EN: 0
; COMPUTE_PGM_RSRC2:USER_SGPR: 6
; COMPUTE_PGM_RSRC2:TRAP_HANDLER: 0
; COMPUTE_PGM_RSRC2:TGID_X_EN: 1
; COMPUTE_PGM_RSRC2:TGID_Y_EN: 0
; COMPUTE_PGM_RSRC2:TGID_Z_EN: 0
; COMPUTE_PGM_RSRC2:TIDIG_COMP_CNT: 0
; COMPUTE_PGM_RSRC3_GFX90A:ACCUM_OFFSET: 4
; COMPUTE_PGM_RSRC3_GFX90A:TG_SPLIT: 0
	.section	.text._ZN9rocsparseL30csrmvn_lrb_short_rows_2_kernelIlif21rocsparse_complex_numIfES2_S2_EEvbT_PT0_S5_jNS_24const_host_device_scalarIT4_EEPKS3_PKS4_PKT1_PKT2_S8_PT3_21rocsparse_index_base_b,"axG",@progbits,_ZN9rocsparseL30csrmvn_lrb_short_rows_2_kernelIlif21rocsparse_complex_numIfES2_S2_EEvbT_PT0_S5_jNS_24const_host_device_scalarIT4_EEPKS3_PKS4_PKT1_PKT2_S8_PT3_21rocsparse_index_base_b,comdat
	.globl	_ZN9rocsparseL30csrmvn_lrb_short_rows_2_kernelIlif21rocsparse_complex_numIfES2_S2_EEvbT_PT0_S5_jNS_24const_host_device_scalarIT4_EEPKS3_PKS4_PKT1_PKT2_S8_PT3_21rocsparse_index_base_b ; -- Begin function _ZN9rocsparseL30csrmvn_lrb_short_rows_2_kernelIlif21rocsparse_complex_numIfES2_S2_EEvbT_PT0_S5_jNS_24const_host_device_scalarIT4_EEPKS3_PKS4_PKT1_PKT2_S8_PT3_21rocsparse_index_base_b
	.p2align	8
	.type	_ZN9rocsparseL30csrmvn_lrb_short_rows_2_kernelIlif21rocsparse_complex_numIfES2_S2_EEvbT_PT0_S5_jNS_24const_host_device_scalarIT4_EEPKS3_PKS4_PKT1_PKT2_S8_PT3_21rocsparse_index_base_b,@function
_ZN9rocsparseL30csrmvn_lrb_short_rows_2_kernelIlif21rocsparse_complex_numIfES2_S2_EEvbT_PT0_S5_jNS_24const_host_device_scalarIT4_EEPKS3_PKS4_PKT1_PKT2_S8_PT3_21rocsparse_index_base_b: ; @_ZN9rocsparseL30csrmvn_lrb_short_rows_2_kernelIlif21rocsparse_complex_numIfES2_S2_EEvbT_PT0_S5_jNS_24const_host_device_scalarIT4_EEPKS3_PKS4_PKT1_PKT2_S8_PT3_21rocsparse_index_base_b
; %bb.0:
	s_load_dwordx2 s[20:21], s[4:5], 0x60
	s_load_dwordx2 s[8:9], s[4:5], 0x28
	;; [unrolled: 1-line block ×3, first 2 shown]
	s_waitcnt lgkmcnt(0)
	s_bitcmp1_b32 s21, 0
	s_cselect_b64 s[0:1], -1, 0
	s_xor_b64 s[10:11], s[0:1], -1
	s_and_b64 vcc, exec, s[0:1]
	v_mov_b32_e32 v8, s8
	s_cbranch_vccnz .LBB159_2
; %bb.1:
	v_pk_mov_b32 v[2:3], s[8:9], s[8:9] op_sel:[0,1]
	flat_load_dword v8, v[2:3]
.LBB159_2:
	v_cndmask_b32_e64 v1, 0, 1, s[10:11]
	v_cmp_ne_u32_e64 s[0:1], 1, v1
	s_andn2_b64 vcc, exec, s[10:11]
	v_mov_b32_e32 v9, s9
	s_cbranch_vccz .LBB159_39
; %bb.3:
	s_and_b64 vcc, exec, s[0:1]
	v_mov_b32_e32 v6, s2
	s_cbranch_vccz .LBB159_40
.LBB159_4:
	s_and_b64 vcc, exec, s[0:1]
	v_mov_b32_e32 v7, s3
	s_cbranch_vccnz .LBB159_6
.LBB159_5:
	v_pk_mov_b32 v[2:3], s[2:3], s[2:3] op_sel:[0,1]
	flat_load_dword v7, v[2:3] offset:4
.LBB159_6:
	s_waitcnt vmcnt(0) lgkmcnt(0)
	v_or_b32_e32 v1, v8, v9
	v_and_b32_e32 v1, 0x7fffffff, v1
	v_cmp_eq_u32_e32 vcc, 0, v1
	s_mov_b64 s[0:1], -1
	s_and_saveexec_b64 s[2:3], vcc
; %bb.7:
	v_and_b32_e32 v1, 0x7fffffff, v7
	v_cmp_neq_f32_e32 vcc, 1.0, v6
	v_cmp_ne_u32_e64 s[0:1], 0, v1
	s_or_b64 s[0:1], vcc, s[0:1]
	s_orn2_b64 s[0:1], s[0:1], exec
; %bb.8:
	s_or_b64 exec, exec, s[2:3]
	s_and_saveexec_b64 s[2:3], s[0:1]
	s_cbranch_execz .LBB159_38
; %bb.9:
	s_load_dword s2, s[4:5], 0x20
	s_load_dwordx4 s[16:19], s[4:5], 0x10
	s_mov_b32 s3, 0
	s_mov_b32 s1, s3
	v_mov_b32_e32 v13, 0
	s_waitcnt lgkmcnt(0)
	s_lshl_b64 s[8:9], s[2:3], 2
	s_add_u32 s22, s18, s8
	s_addc_u32 s23, s19, s9
	s_add_i32 s0, s2, 1
	s_lshl_b64 s[0:1], s[0:1], 2
	s_add_u32 s0, s18, s0
	s_addc_u32 s1, s19, s1
	s_load_dword s19, s[22:23], 0x0
	s_load_dword s7, s[0:1], 0x0
	s_load_dwordx8 s[8:15], s[4:5], 0x30
	s_lshr_b32 s18, 0x400, s2
	s_mul_i32 s21, s18, s6
	s_add_i32 s1, s21, s18
	s_waitcnt lgkmcnt(0)
	s_sub_i32 s0, s7, s19
	s_min_u32 s22, s0, s1
	s_brev_b32 s1, 1
	s_mov_b32 s0, s3
	v_lshrrev_b32_e32 v1, s2, v0
	v_pk_mul_f32 v[2:3], v[8:9], s[0:1]
	v_add_u32_e32 v1, s21, v1
	v_bfe_u32 v12, v0, 0, s2
	v_mov_b32_e32 v10, v3
	v_mov_b32_e32 v11, v2
	v_cmp_gt_u32_e32 vcc, s22, v1
	s_and_saveexec_b64 s[0:1], vcc
	s_cbranch_execz .LBB159_14
; %bb.10:
	v_add_u32_e32 v2, s19, v1
	v_mov_b32_e32 v3, v13
	v_lshlrev_b64 v[2:3], 2, v[2:3]
	v_mov_b32_e32 v1, s17
	v_add_co_u32_e32 v2, vcc, s16, v2
	v_addc_co_u32_e32 v3, vcc, v1, v3, vcc
	global_load_dword v2, v[2:3], off
	v_mov_b32_e32 v1, s9
	s_waitcnt vmcnt(0)
	v_ashrrev_i32_e32 v3, 31, v2
	v_lshlrev_b64 v[2:3], 3, v[2:3]
	v_add_co_u32_e32 v2, vcc, s8, v2
	v_addc_co_u32_e32 v3, vcc, v1, v3, vcc
	global_load_dwordx4 v[2:5], v[2:3], off
	s_waitcnt vmcnt(0)
	v_sub_co_u32_e32 v4, vcc, v4, v2
	v_subb_co_u32_e32 v5, vcc, v5, v3, vcc
	v_cmp_le_i64_e32 vcc, v[4:5], v[12:13]
	s_and_saveexec_b64 s[6:7], vcc
	s_xor_b64 s[6:7], exec, s[6:7]
	s_cbranch_execz .LBB159_12
; %bb.11:
	v_mov_b32_e32 v2, 0
	v_lshlrev_b32_e32 v1, 3, v0
	v_mov_b32_e32 v3, v2
	ds_write_b64 v1, v[2:3]
                                        ; implicit-def: $vgpr2_vgpr3
.LBB159_12:
	s_andn2_saveexec_b64 s[6:7], s[6:7]
	s_cbranch_execz .LBB159_14
; %bb.13:
	v_subrev_co_u32_e32 v1, vcc, s20, v2
	v_subbrev_co_u32_e32 v3, vcc, 0, v3, vcc
	v_add_co_u32_e32 v2, vcc, v1, v12
	v_addc_co_u32_e32 v3, vcc, 0, v3, vcc
	v_lshlrev_b64 v[2:3], 2, v[2:3]
	v_mov_b32_e32 v1, s11
	v_add_co_u32_e32 v4, vcc, s10, v2
	v_addc_co_u32_e32 v5, vcc, v1, v3, vcc
	global_load_dword v1, v[4:5], off
	v_mov_b32_e32 v4, s13
	v_add_co_u32_e32 v2, vcc, s12, v2
	v_addc_co_u32_e32 v3, vcc, v4, v3, vcc
	v_mov_b32_e32 v14, s15
	global_load_dword v2, v[2:3], off
	s_waitcnt vmcnt(1)
	v_subrev_u32_e32 v4, s20, v1
	v_ashrrev_i32_e32 v5, 31, v4
	v_lshlrev_b64 v[4:5], 3, v[4:5]
	v_add_co_u32_e32 v4, vcc, s14, v4
	v_addc_co_u32_e32 v5, vcc, v14, v5, vcc
	global_load_dwordx2 v[4:5], v[4:5], off
	s_waitcnt vmcnt(1)
	v_pk_fma_f32 v[2:3], v[8:9], v[2:3], v[10:11] op_sel_hi:[1,0,1]
	v_lshlrev_b32_e32 v1, 3, v0
	s_waitcnt vmcnt(0)
	v_pk_mul_f32 v[14:15], v[4:5], v[2:3] op_sel:[1,1] op_sel_hi:[1,0] neg_lo:[0,1]
	v_pk_fma_f32 v[2:3], v[2:3], v[4:5], v[14:15] op_sel_hi:[1,0,1]
	ds_write_b64 v1, v[2:3]
.LBB159_14:
	s_or_b64 exec, exec, s[0:1]
	v_or_b32_e32 v1, 0x100, v0
	v_lshrrev_b32_e32 v1, s2, v1
	v_add_u32_e32 v1, s21, v1
	v_cmp_gt_u32_e32 vcc, s22, v1
	s_and_saveexec_b64 s[0:1], vcc
	s_cbranch_execz .LBB159_19
; %bb.15:
	v_add_u32_e32 v14, s19, v1
	v_mov_b32_e32 v15, 0
	v_lshlrev_b64 v[2:3], 2, v[14:15]
	v_mov_b32_e32 v1, s17
	v_add_co_u32_e32 v2, vcc, s16, v2
	v_addc_co_u32_e32 v3, vcc, v1, v3, vcc
	global_load_dword v2, v[2:3], off
	v_mov_b32_e32 v1, s9
	s_waitcnt vmcnt(0)
	v_ashrrev_i32_e32 v3, 31, v2
	v_lshlrev_b64 v[2:3], 3, v[2:3]
	v_add_co_u32_e32 v2, vcc, s8, v2
	v_addc_co_u32_e32 v3, vcc, v1, v3, vcc
	global_load_dwordx4 v[2:5], v[2:3], off
	s_waitcnt vmcnt(0)
	v_sub_co_u32_e32 v4, vcc, v4, v2
	v_subb_co_u32_e32 v5, vcc, v5, v3, vcc
	v_cmp_le_i64_e32 vcc, v[4:5], v[12:13]
	s_and_saveexec_b64 s[6:7], vcc
	s_xor_b64 s[6:7], exec, s[6:7]
	s_cbranch_execz .LBB159_17
; %bb.16:
	v_lshlrev_b32_e32 v1, 3, v0
	v_mov_b32_e32 v14, v15
	ds_write_b64 v1, v[14:15] offset:2048
                                        ; implicit-def: $vgpr2_vgpr3
.LBB159_17:
	s_andn2_saveexec_b64 s[6:7], s[6:7]
	s_cbranch_execz .LBB159_19
; %bb.18:
	v_subrev_co_u32_e32 v1, vcc, s20, v2
	v_subbrev_co_u32_e32 v3, vcc, 0, v3, vcc
	v_add_co_u32_e32 v2, vcc, v1, v12
	v_addc_co_u32_e32 v3, vcc, 0, v3, vcc
	v_lshlrev_b64 v[2:3], 2, v[2:3]
	v_mov_b32_e32 v1, s11
	v_add_co_u32_e32 v4, vcc, s10, v2
	v_addc_co_u32_e32 v5, vcc, v1, v3, vcc
	global_load_dword v1, v[4:5], off
	v_mov_b32_e32 v4, s13
	v_add_co_u32_e32 v2, vcc, s12, v2
	v_addc_co_u32_e32 v3, vcc, v4, v3, vcc
	v_mov_b32_e32 v14, s15
	global_load_dword v2, v[2:3], off
	s_waitcnt vmcnt(1)
	v_subrev_u32_e32 v4, s20, v1
	v_ashrrev_i32_e32 v5, 31, v4
	v_lshlrev_b64 v[4:5], 3, v[4:5]
	v_add_co_u32_e32 v4, vcc, s14, v4
	v_addc_co_u32_e32 v5, vcc, v14, v5, vcc
	global_load_dwordx2 v[4:5], v[4:5], off
	s_waitcnt vmcnt(1)
	v_pk_fma_f32 v[2:3], v[8:9], v[2:3], v[10:11] op_sel_hi:[1,0,1]
	v_lshlrev_b32_e32 v1, 3, v0
	s_waitcnt vmcnt(0)
	v_pk_mul_f32 v[14:15], v[4:5], v[2:3] op_sel:[1,1] op_sel_hi:[1,0] neg_lo:[0,1]
	v_pk_fma_f32 v[2:3], v[2:3], v[4:5], v[14:15] op_sel_hi:[1,0,1]
	ds_write_b64 v1, v[2:3] offset:2048
.LBB159_19:
	s_or_b64 exec, exec, s[0:1]
	v_or_b32_e32 v1, 0x200, v0
	v_lshrrev_b32_e32 v1, s2, v1
	v_add_u32_e32 v1, s21, v1
	v_cmp_gt_u32_e32 vcc, s22, v1
	s_and_saveexec_b64 s[0:1], vcc
	s_cbranch_execz .LBB159_24
; %bb.20:
	v_add_u32_e32 v14, s19, v1
	v_mov_b32_e32 v15, 0
	v_lshlrev_b64 v[2:3], 2, v[14:15]
	v_mov_b32_e32 v1, s17
	v_add_co_u32_e32 v2, vcc, s16, v2
	v_addc_co_u32_e32 v3, vcc, v1, v3, vcc
	global_load_dword v2, v[2:3], off
	v_mov_b32_e32 v1, s9
	s_waitcnt vmcnt(0)
	v_ashrrev_i32_e32 v3, 31, v2
	v_lshlrev_b64 v[2:3], 3, v[2:3]
	v_add_co_u32_e32 v2, vcc, s8, v2
	v_addc_co_u32_e32 v3, vcc, v1, v3, vcc
	global_load_dwordx4 v[2:5], v[2:3], off
	s_waitcnt vmcnt(0)
	v_sub_co_u32_e32 v4, vcc, v4, v2
	v_subb_co_u32_e32 v5, vcc, v5, v3, vcc
	v_cmp_le_i64_e32 vcc, v[4:5], v[12:13]
	s_and_saveexec_b64 s[6:7], vcc
	s_xor_b64 s[6:7], exec, s[6:7]
	s_cbranch_execz .LBB159_22
; %bb.21:
	v_lshlrev_b32_e32 v1, 3, v0
	v_mov_b32_e32 v14, v15
	ds_write_b64 v1, v[14:15] offset:4096
                                        ; implicit-def: $vgpr2_vgpr3
.LBB159_22:
	s_andn2_saveexec_b64 s[6:7], s[6:7]
	s_cbranch_execz .LBB159_24
; %bb.23:
	v_subrev_co_u32_e32 v1, vcc, s20, v2
	v_subbrev_co_u32_e32 v3, vcc, 0, v3, vcc
	v_add_co_u32_e32 v2, vcc, v1, v12
	v_addc_co_u32_e32 v3, vcc, 0, v3, vcc
	v_lshlrev_b64 v[2:3], 2, v[2:3]
	v_mov_b32_e32 v1, s11
	v_add_co_u32_e32 v4, vcc, s10, v2
	v_addc_co_u32_e32 v5, vcc, v1, v3, vcc
	global_load_dword v1, v[4:5], off
	v_mov_b32_e32 v4, s13
	v_add_co_u32_e32 v2, vcc, s12, v2
	v_addc_co_u32_e32 v3, vcc, v4, v3, vcc
	v_mov_b32_e32 v14, s15
	global_load_dword v2, v[2:3], off
	s_waitcnt vmcnt(1)
	v_subrev_u32_e32 v4, s20, v1
	v_ashrrev_i32_e32 v5, 31, v4
	v_lshlrev_b64 v[4:5], 3, v[4:5]
	v_add_co_u32_e32 v4, vcc, s14, v4
	v_addc_co_u32_e32 v5, vcc, v14, v5, vcc
	global_load_dwordx2 v[4:5], v[4:5], off
	s_waitcnt vmcnt(1)
	v_pk_fma_f32 v[2:3], v[8:9], v[2:3], v[10:11] op_sel_hi:[1,0,1]
	v_lshlrev_b32_e32 v1, 3, v0
	s_waitcnt vmcnt(0)
	v_pk_mul_f32 v[14:15], v[4:5], v[2:3] op_sel:[1,1] op_sel_hi:[1,0] neg_lo:[0,1]
	v_pk_fma_f32 v[2:3], v[2:3], v[4:5], v[14:15] op_sel_hi:[1,0,1]
	ds_write_b64 v1, v[2:3] offset:4096
.LBB159_24:
	s_or_b64 exec, exec, s[0:1]
	v_or_b32_e32 v1, 0x300, v0
	v_lshrrev_b32_e32 v1, s2, v1
	v_add_u32_e32 v1, s21, v1
	v_cmp_gt_u32_e32 vcc, s22, v1
	s_and_saveexec_b64 s[0:1], vcc
	s_cbranch_execz .LBB159_29
; %bb.25:
	v_add_u32_e32 v14, s19, v1
	v_mov_b32_e32 v15, 0
	v_lshlrev_b64 v[2:3], 2, v[14:15]
	v_mov_b32_e32 v1, s17
	v_add_co_u32_e32 v2, vcc, s16, v2
	v_addc_co_u32_e32 v3, vcc, v1, v3, vcc
	global_load_dword v2, v[2:3], off
	v_mov_b32_e32 v1, s9
	s_waitcnt vmcnt(0)
	v_ashrrev_i32_e32 v3, 31, v2
	v_lshlrev_b64 v[2:3], 3, v[2:3]
	v_add_co_u32_e32 v2, vcc, s8, v2
	v_addc_co_u32_e32 v3, vcc, v1, v3, vcc
	global_load_dwordx4 v[2:5], v[2:3], off
	v_lshlrev_b32_e32 v1, 3, v0
	s_waitcnt vmcnt(0)
	v_sub_co_u32_e32 v4, vcc, v4, v2
	v_subb_co_u32_e32 v5, vcc, v5, v3, vcc
	v_cmp_le_i64_e32 vcc, v[4:5], v[12:13]
	s_and_saveexec_b64 s[6:7], vcc
	s_xor_b64 s[6:7], exec, s[6:7]
	s_cbranch_execz .LBB159_27
; %bb.26:
	v_mov_b32_e32 v14, v15
	ds_write_b64 v1, v[14:15] offset:6144
                                        ; implicit-def: $vgpr2_vgpr3
                                        ; implicit-def: $vgpr12_vgpr13
                                        ; implicit-def: $vgpr8_vgpr9
                                        ; implicit-def: $vgpr10_vgpr11
                                        ; implicit-def: $vgpr1
.LBB159_27:
	s_andn2_saveexec_b64 s[6:7], s[6:7]
	s_cbranch_execz .LBB159_29
; %bb.28:
	v_subrev_co_u32_e32 v2, vcc, s20, v2
	v_subbrev_co_u32_e32 v3, vcc, 0, v3, vcc
	v_add_co_u32_e32 v2, vcc, v2, v12
	v_addc_co_u32_e32 v3, vcc, 0, v3, vcc
	v_lshlrev_b64 v[2:3], 2, v[2:3]
	v_mov_b32_e32 v5, s11
	v_add_co_u32_e32 v4, vcc, s10, v2
	v_addc_co_u32_e32 v5, vcc, v5, v3, vcc
	global_load_dword v4, v[4:5], off
	v_mov_b32_e32 v5, s13
	v_add_co_u32_e32 v2, vcc, s12, v2
	v_addc_co_u32_e32 v3, vcc, v5, v3, vcc
	v_mov_b32_e32 v12, s15
	global_load_dword v2, v[2:3], off
	s_waitcnt vmcnt(1)
	v_subrev_u32_e32 v4, s20, v4
	v_ashrrev_i32_e32 v5, 31, v4
	v_lshlrev_b64 v[4:5], 3, v[4:5]
	v_add_co_u32_e32 v4, vcc, s14, v4
	v_addc_co_u32_e32 v5, vcc, v12, v5, vcc
	global_load_dwordx2 v[4:5], v[4:5], off
	s_waitcnt vmcnt(1)
	v_pk_fma_f32 v[2:3], v[8:9], v[2:3], v[10:11] op_sel_hi:[1,0,1]
	s_waitcnt vmcnt(0)
	v_pk_mul_f32 v[8:9], v[4:5], v[2:3] op_sel:[1,1] op_sel_hi:[1,0] neg_lo:[0,1]
	v_pk_fma_f32 v[2:3], v[2:3], v[4:5], v[8:9] op_sel_hi:[1,0,1]
	ds_write_b64 v1, v[2:3] offset:6144
.LBB159_29:
	s_or_b64 exec, exec, s[0:1]
	s_cmp_lt_u32 s2, 11
	s_waitcnt lgkmcnt(0)
	s_barrier
	s_cbranch_scc0 .LBB159_38
; %bb.30:
	s_load_dwordx2 s[4:5], s[4:5], 0x58
	v_and_b32_e32 v1, 0x7fffffff, v6
	v_cmp_ne_u32_e32 vcc, 0, v1
	v_cmp_neq_f32_e64 s[0:1], 0, v7
	s_sub_i32 s3, s22, s21
	s_add_i32 s19, s19, s21
	s_mov_b32 s10, 0
	s_or_b64 s[0:1], vcc, s[0:1]
	v_xor_b32_e32 v2, 0x80000000, v7
	v_mov_b32_e32 v3, v6
	v_mov_b32_e32 v5, 0
	s_branch .LBB159_33
.LBB159_31:                             ;   in Loop: Header=BB159_33 Depth=1
	s_or_b64 exec, exec, s[8:9]
	v_mov_b32_e32 v1, s5
	v_add_co_u32_e32 v10, vcc, s4, v10
	v_addc_co_u32_e32 v11, vcc, v1, v11, vcc
	global_store_dwordx2 v[10:11], v[8:9], off
.LBB159_32:                             ;   in Loop: Header=BB159_33 Depth=1
	s_or_b64 exec, exec, s[6:7]
	s_addk_i32 s10, 0x100
	s_cmp_lt_u32 s10, s18
	s_cbranch_scc0 .LBB159_38
.LBB159_33:                             ; =>This Loop Header: Depth=1
                                        ;     Child Loop BB159_35 Depth 2
	v_add_u32_e32 v1, s10, v0
	v_cmp_gt_u32_e32 vcc, s3, v1
	s_and_saveexec_b64 s[6:7], vcc
	s_cbranch_execz .LBB159_32
; %bb.34:                               ;   in Loop: Header=BB159_33 Depth=1
	v_add_u32_e32 v4, s19, v1
	v_lshlrev_b64 v[8:9], 2, v[4:5]
	v_mov_b32_e32 v4, s17
	v_add_co_u32_e32 v8, vcc, s16, v8
	v_addc_co_u32_e32 v9, vcc, v4, v9, vcc
	global_load_dword v10, v[8:9], off
	v_lshlrev_b32_e32 v1, s2, v1
	v_mov_b32_e32 v8, 0
	v_lshlrev_b32_e32 v1, 3, v1
	s_mov_b32 s8, 1
	v_mov_b32_e32 v9, v8
.LBB159_35:                             ;   Parent Loop BB159_33 Depth=1
                                        ; =>  This Inner Loop Header: Depth=2
	ds_read_b64 v[12:13], v1
	s_lshr_b32 s9, s8, s2
	s_add_i32 s8, s8, 1
	v_add_u32_e32 v1, 8, v1
	s_cmp_lg_u32 s9, 0
	s_waitcnt lgkmcnt(0)
	v_pk_add_f32 v[8:9], v[8:9], v[12:13]
	s_cbranch_scc0 .LBB159_35
; %bb.36:                               ;   in Loop: Header=BB159_33 Depth=1
	s_waitcnt vmcnt(0)
	v_ashrrev_i32_e32 v11, 31, v10
	v_lshlrev_b64 v[10:11], 3, v[10:11]
	s_and_saveexec_b64 s[8:9], s[0:1]
	s_cbranch_execz .LBB159_31
; %bb.37:                               ;   in Loop: Header=BB159_33 Depth=1
	v_mov_b32_e32 v1, s5
	v_add_co_u32_e32 v12, vcc, s4, v10
	v_addc_co_u32_e32 v13, vcc, v1, v11, vcc
	global_load_dwordx2 v[12:13], v[12:13], off
	s_waitcnt vmcnt(0)
	v_pk_fma_f32 v[8:9], v[6:7], v[12:13], v[8:9] op_sel_hi:[1,0,1]
	v_pk_fma_f32 v[8:9], v[2:3], v[12:13], v[8:9] op_sel:[0,1,0]
	s_branch .LBB159_31
.LBB159_38:
	s_endpgm
.LBB159_39:
	v_pk_mov_b32 v[2:3], s[8:9], s[8:9] op_sel:[0,1]
	flat_load_dword v9, v[2:3] offset:4
	s_and_b64 vcc, exec, s[0:1]
	v_mov_b32_e32 v6, s2
	s_cbranch_vccnz .LBB159_4
.LBB159_40:
	v_pk_mov_b32 v[2:3], s[2:3], s[2:3] op_sel:[0,1]
	flat_load_dword v6, v[2:3]
	s_and_b64 vcc, exec, s[0:1]
	v_mov_b32_e32 v7, s3
	s_cbranch_vccz .LBB159_5
	s_branch .LBB159_6
	.section	.rodata,"a",@progbits
	.p2align	6, 0x0
	.amdhsa_kernel _ZN9rocsparseL30csrmvn_lrb_short_rows_2_kernelIlif21rocsparse_complex_numIfES2_S2_EEvbT_PT0_S5_jNS_24const_host_device_scalarIT4_EEPKS3_PKS4_PKT1_PKT2_S8_PT3_21rocsparse_index_base_b
		.amdhsa_group_segment_fixed_size 8192
		.amdhsa_private_segment_fixed_size 0
		.amdhsa_kernarg_size 104
		.amdhsa_user_sgpr_count 6
		.amdhsa_user_sgpr_private_segment_buffer 1
		.amdhsa_user_sgpr_dispatch_ptr 0
		.amdhsa_user_sgpr_queue_ptr 0
		.amdhsa_user_sgpr_kernarg_segment_ptr 1
		.amdhsa_user_sgpr_dispatch_id 0
		.amdhsa_user_sgpr_flat_scratch_init 0
		.amdhsa_user_sgpr_kernarg_preload_length 0
		.amdhsa_user_sgpr_kernarg_preload_offset 0
		.amdhsa_user_sgpr_private_segment_size 0
		.amdhsa_uses_dynamic_stack 0
		.amdhsa_system_sgpr_private_segment_wavefront_offset 0
		.amdhsa_system_sgpr_workgroup_id_x 1
		.amdhsa_system_sgpr_workgroup_id_y 0
		.amdhsa_system_sgpr_workgroup_id_z 0
		.amdhsa_system_sgpr_workgroup_info 0
		.amdhsa_system_vgpr_workitem_id 0
		.amdhsa_next_free_vgpr 16
		.amdhsa_next_free_sgpr 24
		.amdhsa_accum_offset 16
		.amdhsa_reserve_vcc 1
		.amdhsa_reserve_flat_scratch 0
		.amdhsa_float_round_mode_32 0
		.amdhsa_float_round_mode_16_64 0
		.amdhsa_float_denorm_mode_32 3
		.amdhsa_float_denorm_mode_16_64 3
		.amdhsa_dx10_clamp 1
		.amdhsa_ieee_mode 1
		.amdhsa_fp16_overflow 0
		.amdhsa_tg_split 0
		.amdhsa_exception_fp_ieee_invalid_op 0
		.amdhsa_exception_fp_denorm_src 0
		.amdhsa_exception_fp_ieee_div_zero 0
		.amdhsa_exception_fp_ieee_overflow 0
		.amdhsa_exception_fp_ieee_underflow 0
		.amdhsa_exception_fp_ieee_inexact 0
		.amdhsa_exception_int_div_zero 0
	.end_amdhsa_kernel
	.section	.text._ZN9rocsparseL30csrmvn_lrb_short_rows_2_kernelIlif21rocsparse_complex_numIfES2_S2_EEvbT_PT0_S5_jNS_24const_host_device_scalarIT4_EEPKS3_PKS4_PKT1_PKT2_S8_PT3_21rocsparse_index_base_b,"axG",@progbits,_ZN9rocsparseL30csrmvn_lrb_short_rows_2_kernelIlif21rocsparse_complex_numIfES2_S2_EEvbT_PT0_S5_jNS_24const_host_device_scalarIT4_EEPKS3_PKS4_PKT1_PKT2_S8_PT3_21rocsparse_index_base_b,comdat
.Lfunc_end159:
	.size	_ZN9rocsparseL30csrmvn_lrb_short_rows_2_kernelIlif21rocsparse_complex_numIfES2_S2_EEvbT_PT0_S5_jNS_24const_host_device_scalarIT4_EEPKS3_PKS4_PKT1_PKT2_S8_PT3_21rocsparse_index_base_b, .Lfunc_end159-_ZN9rocsparseL30csrmvn_lrb_short_rows_2_kernelIlif21rocsparse_complex_numIfES2_S2_EEvbT_PT0_S5_jNS_24const_host_device_scalarIT4_EEPKS3_PKS4_PKT1_PKT2_S8_PT3_21rocsparse_index_base_b
                                        ; -- End function
	.section	.AMDGPU.csdata,"",@progbits
; Kernel info:
; codeLenInByte = 1916
; NumSgprs: 28
; NumVgprs: 16
; NumAgprs: 0
; TotalNumVgprs: 16
; ScratchSize: 0
; MemoryBound: 0
; FloatMode: 240
; IeeeMode: 1
; LDSByteSize: 8192 bytes/workgroup (compile time only)
; SGPRBlocks: 3
; VGPRBlocks: 1
; NumSGPRsForWavesPerEU: 28
; NumVGPRsForWavesPerEU: 16
; AccumOffset: 16
; Occupancy: 8
; WaveLimiterHint : 1
; COMPUTE_PGM_RSRC2:SCRATCH_EN: 0
; COMPUTE_PGM_RSRC2:USER_SGPR: 6
; COMPUTE_PGM_RSRC2:TRAP_HANDLER: 0
; COMPUTE_PGM_RSRC2:TGID_X_EN: 1
; COMPUTE_PGM_RSRC2:TGID_Y_EN: 0
; COMPUTE_PGM_RSRC2:TGID_Z_EN: 0
; COMPUTE_PGM_RSRC2:TIDIG_COMP_CNT: 0
; COMPUTE_PGM_RSRC3_GFX90A:ACCUM_OFFSET: 3
; COMPUTE_PGM_RSRC3_GFX90A:TG_SPLIT: 0
	.section	.text._ZN9rocsparseL41csrmvn_lrb_medium_rows_warp_reduce_kernelILj256ELj32Elif21rocsparse_complex_numIfES2_S2_EEvbT1_lPT2_S5_jNS_24const_host_device_scalarIT6_EEPKS3_PKS4_PKT3_PKT4_S8_PT5_21rocsparse_index_base_b,"axG",@progbits,_ZN9rocsparseL41csrmvn_lrb_medium_rows_warp_reduce_kernelILj256ELj32Elif21rocsparse_complex_numIfES2_S2_EEvbT1_lPT2_S5_jNS_24const_host_device_scalarIT6_EEPKS3_PKS4_PKT3_PKT4_S8_PT5_21rocsparse_index_base_b,comdat
	.globl	_ZN9rocsparseL41csrmvn_lrb_medium_rows_warp_reduce_kernelILj256ELj32Elif21rocsparse_complex_numIfES2_S2_EEvbT1_lPT2_S5_jNS_24const_host_device_scalarIT6_EEPKS3_PKS4_PKT3_PKT4_S8_PT5_21rocsparse_index_base_b ; -- Begin function _ZN9rocsparseL41csrmvn_lrb_medium_rows_warp_reduce_kernelILj256ELj32Elif21rocsparse_complex_numIfES2_S2_EEvbT1_lPT2_S5_jNS_24const_host_device_scalarIT6_EEPKS3_PKS4_PKT3_PKT4_S8_PT5_21rocsparse_index_base_b
	.p2align	8
	.type	_ZN9rocsparseL41csrmvn_lrb_medium_rows_warp_reduce_kernelILj256ELj32Elif21rocsparse_complex_numIfES2_S2_EEvbT1_lPT2_S5_jNS_24const_host_device_scalarIT6_EEPKS3_PKS4_PKT3_PKT4_S8_PT5_21rocsparse_index_base_b,@function
_ZN9rocsparseL41csrmvn_lrb_medium_rows_warp_reduce_kernelILj256ELj32Elif21rocsparse_complex_numIfES2_S2_EEvbT1_lPT2_S5_jNS_24const_host_device_scalarIT6_EEPKS3_PKS4_PKT3_PKT4_S8_PT5_21rocsparse_index_base_b: ; @_ZN9rocsparseL41csrmvn_lrb_medium_rows_warp_reduce_kernelILj256ELj32Elif21rocsparse_complex_numIfES2_S2_EEvbT1_lPT2_S5_jNS_24const_host_device_scalarIT6_EEPKS3_PKS4_PKT3_PKT4_S8_PT5_21rocsparse_index_base_b
; %bb.0:
	s_load_dwordx2 s[2:3], s[4:5], 0x68
	s_load_dwordx2 s[10:11], s[4:5], 0x30
	;; [unrolled: 1-line block ×3, first 2 shown]
	s_waitcnt lgkmcnt(0)
	s_bitcmp1_b32 s3, 0
	s_cselect_b64 s[0:1], -1, 0
	s_xor_b64 s[12:13], s[0:1], -1
	s_and_b64 vcc, exec, s[0:1]
	v_mov_b32_e32 v4, s10
	s_cbranch_vccnz .LBB160_2
; %bb.1:
	v_pk_mov_b32 v[2:3], s[10:11], s[10:11] op_sel:[0,1]
	flat_load_dword v4, v[2:3]
.LBB160_2:
	v_cndmask_b32_e64 v1, 0, 1, s[12:13]
	v_cmp_ne_u32_e64 s[0:1], 1, v1
	s_andn2_b64 vcc, exec, s[12:13]
	v_mov_b32_e32 v5, s11
	s_cbranch_vccz .LBB160_19
; %bb.3:
	s_and_b64 vcc, exec, s[0:1]
	v_mov_b32_e32 v2, s8
	s_cbranch_vccz .LBB160_20
.LBB160_4:
	s_and_b64 vcc, exec, s[0:1]
	v_mov_b32_e32 v3, s9
	s_cbranch_vccnz .LBB160_6
.LBB160_5:
	v_pk_mov_b32 v[6:7], s[8:9], s[8:9] op_sel:[0,1]
	flat_load_dword v3, v[6:7] offset:4
.LBB160_6:
	s_waitcnt vmcnt(0) lgkmcnt(0)
	v_or_b32_e32 v1, v4, v5
	v_and_b32_e32 v1, 0x7fffffff, v1
	v_cmp_eq_u32_e32 vcc, 0, v1
	s_mov_b64 s[0:1], -1
	s_and_saveexec_b64 s[8:9], vcc
; %bb.7:
	v_and_b32_e32 v1, 0x7fffffff, v3
	v_cmp_neq_f32_e32 vcc, 1.0, v2
	v_cmp_ne_u32_e64 s[0:1], 0, v1
	s_or_b64 s[0:1], vcc, s[0:1]
	s_orn2_b64 s[0:1], s[0:1], exec
; %bb.8:
	s_or_b64 exec, exec, s[8:9]
	s_and_saveexec_b64 s[8:9], s[0:1]
	s_cbranch_execz .LBB160_18
; %bb.9:
	s_load_dwordx2 s[0:1], s[4:5], 0x10
	v_lshrrev_b32_e32 v1, 5, v0
	v_lshl_or_b32 v6, s6, 3, v1
	v_ashrrev_i32_e32 v7, 31, v6
	s_waitcnt lgkmcnt(0)
	v_cmp_gt_i64_e32 vcc, s[0:1], v[6:7]
	s_and_b64 exec, exec, vcc
	s_cbranch_execz .LBB160_18
; %bb.10:
	s_load_dword s0, s[4:5], 0x28
	s_load_dwordx4 s[8:11], s[4:5], 0x18
	s_mov_b32 s1, 0
	v_and_b32_e32 v18, 31, v0
	v_mov_b32_e32 v11, 0
	s_waitcnt lgkmcnt(0)
	s_lshl_b64 s[6:7], s[0:1], 2
	s_add_u32 s6, s10, s6
	s_addc_u32 s7, s11, s7
	s_load_dword s0, s[6:7], 0x0
	v_mov_b32_e32 v1, s9
	s_load_dwordx2 s[6:7], s[4:5], 0x38
	v_mov_b32_e32 v10, v11
	s_waitcnt lgkmcnt(0)
	v_add_u32_e32 v6, s0, v6
	v_ashrrev_i32_e32 v7, 31, v6
	v_lshlrev_b64 v[6:7], 2, v[6:7]
	v_add_co_u32_e32 v6, vcc, s8, v6
	v_addc_co_u32_e32 v7, vcc, v1, v7, vcc
	global_load_dword v6, v[6:7], off
	v_mov_b32_e32 v1, s7
	s_waitcnt vmcnt(0)
	v_ashrrev_i32_e32 v7, 31, v6
	v_lshlrev_b64 v[6:7], 3, v[6:7]
	v_add_co_u32_e32 v8, vcc, s6, v6
	v_addc_co_u32_e32 v9, vcc, v1, v7, vcc
	global_load_dwordx4 v[12:15], v[8:9], off
	v_subrev_co_u32_e32 v8, vcc, s2, v18
	s_load_dwordx2 s[6:7], s[4:5], 0x60
	v_subb_co_u32_e64 v9, s[8:9], 0, 0, vcc
	s_waitcnt vmcnt(0)
	v_subrev_co_u32_e32 v0, vcc, s2, v14
	v_subbrev_co_u32_e32 v1, vcc, 0, v15, vcc
	v_add_co_u32_e32 v8, vcc, v12, v8
	v_addc_co_u32_e32 v9, vcc, v13, v9, vcc
	v_cmp_lt_i64_e32 vcc, v[8:9], v[0:1]
	s_and_saveexec_b64 s[8:9], vcc
	s_cbranch_execz .LBB160_14
; %bb.11:
	s_load_dwordx4 s[12:15], s[4:5], 0x40
	s_load_dwordx2 s[10:11], s[4:5], 0x50
	s_brev_b32 s5, 1
	s_mov_b32 s4, s1
	v_pk_mul_f32 v[10:11], v[4:5], s[4:5]
	v_mov_b32_e32 v12, v11
	v_mov_b32_e32 v13, v10
	v_lshlrev_b64 v[10:11], 2, v[8:9]
	s_waitcnt lgkmcnt(0)
	v_mov_b32_e32 v15, s15
	v_add_co_u32_e32 v14, vcc, s14, v10
	v_addc_co_u32_e32 v15, vcc, v15, v11, vcc
	v_mov_b32_e32 v17, s13
	v_add_co_u32_e32 v16, vcc, s12, v10
	v_addc_co_u32_e32 v17, vcc, v17, v11, vcc
	v_mov_b32_e32 v11, 0
	s_mov_b64 s[4:5], 0
	v_mov_b32_e32 v19, s11
	v_mov_b32_e32 v10, v11
.LBB160_12:                             ; =>This Inner Loop Header: Depth=1
	global_load_dword v21, v[16:17], off
	global_load_dword v20, v[14:15], off
	s_waitcnt vmcnt(1)
	v_subrev_u32_e32 v22, s2, v21
	v_ashrrev_i32_e32 v23, 31, v22
	v_lshlrev_b64 v[22:23], 3, v[22:23]
	v_add_co_u32_e32 v22, vcc, s10, v22
	v_addc_co_u32_e32 v23, vcc, v19, v23, vcc
	global_load_dwordx2 v[22:23], v[22:23], off
	v_add_co_u32_e32 v8, vcc, 32, v8
	v_addc_co_u32_e32 v9, vcc, 0, v9, vcc
	v_add_co_u32_e32 v14, vcc, 0x80, v14
	v_addc_co_u32_e32 v15, vcc, 0, v15, vcc
	s_waitcnt vmcnt(1)
	v_pk_fma_f32 v[20:21], v[4:5], v[20:21], v[12:13] op_sel_hi:[1,0,1]
	v_add_co_u32_e32 v16, vcc, 0x80, v16
	v_cmp_ge_i64_e64 s[0:1], v[8:9], v[0:1]
	v_addc_co_u32_e32 v17, vcc, 0, v17, vcc
	s_or_b64 s[4:5], s[0:1], s[4:5]
	s_waitcnt vmcnt(0)
	v_pk_fma_f32 v[10:11], v[20:21], v[22:23], v[10:11] op_sel_hi:[1,0,1]
	v_pk_fma_f32 v[10:11], v[20:21], v[22:23], v[10:11] op_sel:[1,1,0] op_sel_hi:[0,1,1] neg_lo:[1,0,0]
	s_andn2_b64 exec, exec, s[4:5]
	s_cbranch_execnz .LBB160_12
; %bb.13:
	s_or_b64 exec, exec, s[4:5]
.LBB160_14:
	s_or_b64 exec, exec, s[8:9]
	v_mov_b32_dpp v0, v10 row_shr:1 row_mask:0xf bank_mask:0xf
	v_mov_b32_dpp v1, v11 row_shr:1 row_mask:0xf bank_mask:0xf
	v_pk_add_f32 v[0:1], v[10:11], v[0:1]
	v_cmp_eq_u32_e32 vcc, 31, v18
	s_nop 0
	v_mov_b32_dpp v4, v0 row_shr:2 row_mask:0xf bank_mask:0xf
	v_mov_b32_dpp v5, v1 row_shr:2 row_mask:0xf bank_mask:0xf
	v_pk_add_f32 v[0:1], v[0:1], v[4:5]
	s_nop 1
	v_mov_b32_dpp v4, v0 row_shr:4 row_mask:0xf bank_mask:0xe
	v_mov_b32_dpp v5, v1 row_shr:4 row_mask:0xf bank_mask:0xe
	v_pk_add_f32 v[0:1], v[0:1], v[4:5]
	;; [unrolled: 4-line block ×3, first 2 shown]
	s_nop 1
	v_mov_b32_dpp v4, v0 row_bcast:15 row_mask:0xa bank_mask:0xf
	v_mov_b32_dpp v5, v1 row_bcast:15 row_mask:0xa bank_mask:0xf
	s_and_b64 exec, exec, vcc
	s_cbranch_execz .LBB160_18
; %bb.15:
	v_pk_add_f32 v[0:1], v[0:1], v[4:5]
	v_and_b32_e32 v4, 0x7fffffff, v2
	v_cmp_ne_u32_e32 vcc, 0, v4
	v_cmp_neq_f32_e64 s[0:1], 0, v3
	s_or_b64 s[2:3], vcc, s[0:1]
	s_and_saveexec_b64 s[0:1], s[2:3]
	s_cbranch_execz .LBB160_17
; %bb.16:
	s_waitcnt lgkmcnt(0)
	v_mov_b32_e32 v5, s7
	v_add_co_u32_e32 v4, vcc, s6, v6
	v_addc_co_u32_e32 v5, vcc, v5, v7, vcc
	global_load_dwordx2 v[4:5], v[4:5], off
	v_xor_b32_e32 v8, 0x80000000, v3
	v_mov_b32_e32 v9, v2
	s_waitcnt vmcnt(0)
	v_pk_fma_f32 v[0:1], v[2:3], v[4:5], v[0:1] op_sel_hi:[1,0,1]
	v_pk_fma_f32 v[0:1], v[8:9], v[4:5], v[0:1] op_sel:[0,1,0]
.LBB160_17:
	s_or_b64 exec, exec, s[0:1]
	s_waitcnt lgkmcnt(0)
	v_mov_b32_e32 v3, s7
	v_add_co_u32_e32 v2, vcc, s6, v6
	v_addc_co_u32_e32 v3, vcc, v3, v7, vcc
	global_store_dwordx2 v[2:3], v[0:1], off
.LBB160_18:
	s_endpgm
.LBB160_19:
	v_pk_mov_b32 v[2:3], s[10:11], s[10:11] op_sel:[0,1]
	flat_load_dword v5, v[2:3] offset:4
	s_and_b64 vcc, exec, s[0:1]
	v_mov_b32_e32 v2, s8
	s_cbranch_vccnz .LBB160_4
.LBB160_20:
	v_pk_mov_b32 v[2:3], s[8:9], s[8:9] op_sel:[0,1]
	flat_load_dword v2, v[2:3]
	s_and_b64 vcc, exec, s[0:1]
	v_mov_b32_e32 v3, s9
	s_cbranch_vccz .LBB160_5
	s_branch .LBB160_6
	.section	.rodata,"a",@progbits
	.p2align	6, 0x0
	.amdhsa_kernel _ZN9rocsparseL41csrmvn_lrb_medium_rows_warp_reduce_kernelILj256ELj32Elif21rocsparse_complex_numIfES2_S2_EEvbT1_lPT2_S5_jNS_24const_host_device_scalarIT6_EEPKS3_PKS4_PKT3_PKT4_S8_PT5_21rocsparse_index_base_b
		.amdhsa_group_segment_fixed_size 0
		.amdhsa_private_segment_fixed_size 0
		.amdhsa_kernarg_size 112
		.amdhsa_user_sgpr_count 6
		.amdhsa_user_sgpr_private_segment_buffer 1
		.amdhsa_user_sgpr_dispatch_ptr 0
		.amdhsa_user_sgpr_queue_ptr 0
		.amdhsa_user_sgpr_kernarg_segment_ptr 1
		.amdhsa_user_sgpr_dispatch_id 0
		.amdhsa_user_sgpr_flat_scratch_init 0
		.amdhsa_user_sgpr_kernarg_preload_length 0
		.amdhsa_user_sgpr_kernarg_preload_offset 0
		.amdhsa_user_sgpr_private_segment_size 0
		.amdhsa_uses_dynamic_stack 0
		.amdhsa_system_sgpr_private_segment_wavefront_offset 0
		.amdhsa_system_sgpr_workgroup_id_x 1
		.amdhsa_system_sgpr_workgroup_id_y 0
		.amdhsa_system_sgpr_workgroup_id_z 0
		.amdhsa_system_sgpr_workgroup_info 0
		.amdhsa_system_vgpr_workitem_id 0
		.amdhsa_next_free_vgpr 24
		.amdhsa_next_free_sgpr 16
		.amdhsa_accum_offset 24
		.amdhsa_reserve_vcc 1
		.amdhsa_reserve_flat_scratch 0
		.amdhsa_float_round_mode_32 0
		.amdhsa_float_round_mode_16_64 0
		.amdhsa_float_denorm_mode_32 3
		.amdhsa_float_denorm_mode_16_64 3
		.amdhsa_dx10_clamp 1
		.amdhsa_ieee_mode 1
		.amdhsa_fp16_overflow 0
		.amdhsa_tg_split 0
		.amdhsa_exception_fp_ieee_invalid_op 0
		.amdhsa_exception_fp_denorm_src 0
		.amdhsa_exception_fp_ieee_div_zero 0
		.amdhsa_exception_fp_ieee_overflow 0
		.amdhsa_exception_fp_ieee_underflow 0
		.amdhsa_exception_fp_ieee_inexact 0
		.amdhsa_exception_int_div_zero 0
	.end_amdhsa_kernel
	.section	.text._ZN9rocsparseL41csrmvn_lrb_medium_rows_warp_reduce_kernelILj256ELj32Elif21rocsparse_complex_numIfES2_S2_EEvbT1_lPT2_S5_jNS_24const_host_device_scalarIT6_EEPKS3_PKS4_PKT3_PKT4_S8_PT5_21rocsparse_index_base_b,"axG",@progbits,_ZN9rocsparseL41csrmvn_lrb_medium_rows_warp_reduce_kernelILj256ELj32Elif21rocsparse_complex_numIfES2_S2_EEvbT1_lPT2_S5_jNS_24const_host_device_scalarIT6_EEPKS3_PKS4_PKT3_PKT4_S8_PT5_21rocsparse_index_base_b,comdat
.Lfunc_end160:
	.size	_ZN9rocsparseL41csrmvn_lrb_medium_rows_warp_reduce_kernelILj256ELj32Elif21rocsparse_complex_numIfES2_S2_EEvbT1_lPT2_S5_jNS_24const_host_device_scalarIT6_EEPKS3_PKS4_PKT3_PKT4_S8_PT5_21rocsparse_index_base_b, .Lfunc_end160-_ZN9rocsparseL41csrmvn_lrb_medium_rows_warp_reduce_kernelILj256ELj32Elif21rocsparse_complex_numIfES2_S2_EEvbT1_lPT2_S5_jNS_24const_host_device_scalarIT6_EEPKS3_PKS4_PKT3_PKT4_S8_PT5_21rocsparse_index_base_b
                                        ; -- End function
	.section	.AMDGPU.csdata,"",@progbits
; Kernel info:
; codeLenInByte = 1000
; NumSgprs: 20
; NumVgprs: 24
; NumAgprs: 0
; TotalNumVgprs: 24
; ScratchSize: 0
; MemoryBound: 0
; FloatMode: 240
; IeeeMode: 1
; LDSByteSize: 0 bytes/workgroup (compile time only)
; SGPRBlocks: 2
; VGPRBlocks: 2
; NumSGPRsForWavesPerEU: 20
; NumVGPRsForWavesPerEU: 24
; AccumOffset: 24
; Occupancy: 8
; WaveLimiterHint : 1
; COMPUTE_PGM_RSRC2:SCRATCH_EN: 0
; COMPUTE_PGM_RSRC2:USER_SGPR: 6
; COMPUTE_PGM_RSRC2:TRAP_HANDLER: 0
; COMPUTE_PGM_RSRC2:TGID_X_EN: 1
; COMPUTE_PGM_RSRC2:TGID_Y_EN: 0
; COMPUTE_PGM_RSRC2:TGID_Z_EN: 0
; COMPUTE_PGM_RSRC2:TIDIG_COMP_CNT: 0
; COMPUTE_PGM_RSRC3_GFX90A:ACCUM_OFFSET: 5
; COMPUTE_PGM_RSRC3_GFX90A:TG_SPLIT: 0
	.section	.text._ZN9rocsparseL41csrmvn_lrb_medium_rows_warp_reduce_kernelILj256ELj64Elif21rocsparse_complex_numIfES2_S2_EEvbT1_lPT2_S5_jNS_24const_host_device_scalarIT6_EEPKS3_PKS4_PKT3_PKT4_S8_PT5_21rocsparse_index_base_b,"axG",@progbits,_ZN9rocsparseL41csrmvn_lrb_medium_rows_warp_reduce_kernelILj256ELj64Elif21rocsparse_complex_numIfES2_S2_EEvbT1_lPT2_S5_jNS_24const_host_device_scalarIT6_EEPKS3_PKS4_PKT3_PKT4_S8_PT5_21rocsparse_index_base_b,comdat
	.globl	_ZN9rocsparseL41csrmvn_lrb_medium_rows_warp_reduce_kernelILj256ELj64Elif21rocsparse_complex_numIfES2_S2_EEvbT1_lPT2_S5_jNS_24const_host_device_scalarIT6_EEPKS3_PKS4_PKT3_PKT4_S8_PT5_21rocsparse_index_base_b ; -- Begin function _ZN9rocsparseL41csrmvn_lrb_medium_rows_warp_reduce_kernelILj256ELj64Elif21rocsparse_complex_numIfES2_S2_EEvbT1_lPT2_S5_jNS_24const_host_device_scalarIT6_EEPKS3_PKS4_PKT3_PKT4_S8_PT5_21rocsparse_index_base_b
	.p2align	8
	.type	_ZN9rocsparseL41csrmvn_lrb_medium_rows_warp_reduce_kernelILj256ELj64Elif21rocsparse_complex_numIfES2_S2_EEvbT1_lPT2_S5_jNS_24const_host_device_scalarIT6_EEPKS3_PKS4_PKT3_PKT4_S8_PT5_21rocsparse_index_base_b,@function
_ZN9rocsparseL41csrmvn_lrb_medium_rows_warp_reduce_kernelILj256ELj64Elif21rocsparse_complex_numIfES2_S2_EEvbT1_lPT2_S5_jNS_24const_host_device_scalarIT6_EEPKS3_PKS4_PKT3_PKT4_S8_PT5_21rocsparse_index_base_b: ; @_ZN9rocsparseL41csrmvn_lrb_medium_rows_warp_reduce_kernelILj256ELj64Elif21rocsparse_complex_numIfES2_S2_EEvbT1_lPT2_S5_jNS_24const_host_device_scalarIT6_EEPKS3_PKS4_PKT3_PKT4_S8_PT5_21rocsparse_index_base_b
; %bb.0:
	s_load_dwordx2 s[2:3], s[4:5], 0x68
	s_load_dwordx2 s[10:11], s[4:5], 0x30
	;; [unrolled: 1-line block ×3, first 2 shown]
	s_waitcnt lgkmcnt(0)
	s_bitcmp1_b32 s3, 0
	s_cselect_b64 s[0:1], -1, 0
	s_xor_b64 s[12:13], s[0:1], -1
	s_and_b64 vcc, exec, s[0:1]
	v_mov_b32_e32 v4, s10
	s_cbranch_vccnz .LBB161_2
; %bb.1:
	v_pk_mov_b32 v[2:3], s[10:11], s[10:11] op_sel:[0,1]
	flat_load_dword v4, v[2:3]
.LBB161_2:
	v_cndmask_b32_e64 v1, 0, 1, s[12:13]
	v_cmp_ne_u32_e64 s[0:1], 1, v1
	s_andn2_b64 vcc, exec, s[12:13]
	v_mov_b32_e32 v5, s11
	s_cbranch_vccz .LBB161_19
; %bb.3:
	s_and_b64 vcc, exec, s[0:1]
	v_mov_b32_e32 v2, s8
	s_cbranch_vccz .LBB161_20
.LBB161_4:
	s_and_b64 vcc, exec, s[0:1]
	v_mov_b32_e32 v3, s9
	s_cbranch_vccnz .LBB161_6
.LBB161_5:
	v_pk_mov_b32 v[6:7], s[8:9], s[8:9] op_sel:[0,1]
	flat_load_dword v3, v[6:7] offset:4
.LBB161_6:
	s_waitcnt vmcnt(0) lgkmcnt(0)
	v_or_b32_e32 v1, v4, v5
	v_and_b32_e32 v1, 0x7fffffff, v1
	v_cmp_eq_u32_e32 vcc, 0, v1
	s_mov_b64 s[0:1], -1
	s_and_saveexec_b64 s[8:9], vcc
; %bb.7:
	v_and_b32_e32 v1, 0x7fffffff, v3
	v_cmp_neq_f32_e32 vcc, 1.0, v2
	v_cmp_ne_u32_e64 s[0:1], 0, v1
	s_or_b64 s[0:1], vcc, s[0:1]
	s_orn2_b64 s[0:1], s[0:1], exec
; %bb.8:
	s_or_b64 exec, exec, s[8:9]
	s_and_saveexec_b64 s[8:9], s[0:1]
	s_cbranch_execz .LBB161_18
; %bb.9:
	s_load_dwordx2 s[0:1], s[4:5], 0x10
	v_lshrrev_b32_e32 v1, 6, v0
	v_lshl_or_b32 v6, s6, 2, v1
	v_ashrrev_i32_e32 v7, 31, v6
	s_waitcnt lgkmcnt(0)
	v_cmp_gt_i64_e32 vcc, s[0:1], v[6:7]
	s_and_b64 exec, exec, vcc
	s_cbranch_execz .LBB161_18
; %bb.10:
	s_load_dword s0, s[4:5], 0x28
	s_load_dwordx4 s[8:11], s[4:5], 0x18
	s_mov_b32 s1, 0
	v_and_b32_e32 v18, 63, v0
	v_mov_b32_e32 v11, 0
	s_waitcnt lgkmcnt(0)
	s_lshl_b64 s[6:7], s[0:1], 2
	s_add_u32 s6, s10, s6
	s_addc_u32 s7, s11, s7
	s_load_dword s0, s[6:7], 0x0
	v_mov_b32_e32 v1, s9
	s_load_dwordx2 s[6:7], s[4:5], 0x38
	v_mov_b32_e32 v10, v11
	s_waitcnt lgkmcnt(0)
	v_add_u32_e32 v6, s0, v6
	v_ashrrev_i32_e32 v7, 31, v6
	v_lshlrev_b64 v[6:7], 2, v[6:7]
	v_add_co_u32_e32 v6, vcc, s8, v6
	v_addc_co_u32_e32 v7, vcc, v1, v7, vcc
	global_load_dword v6, v[6:7], off
	v_mov_b32_e32 v1, s7
	s_waitcnt vmcnt(0)
	v_ashrrev_i32_e32 v7, 31, v6
	v_lshlrev_b64 v[6:7], 3, v[6:7]
	v_add_co_u32_e32 v8, vcc, s6, v6
	v_addc_co_u32_e32 v9, vcc, v1, v7, vcc
	global_load_dwordx4 v[12:15], v[8:9], off
	v_subrev_co_u32_e32 v8, vcc, s2, v18
	s_load_dwordx2 s[6:7], s[4:5], 0x60
	v_subb_co_u32_e64 v9, s[8:9], 0, 0, vcc
	s_waitcnt vmcnt(0)
	v_subrev_co_u32_e32 v0, vcc, s2, v14
	v_subbrev_co_u32_e32 v1, vcc, 0, v15, vcc
	v_add_co_u32_e32 v8, vcc, v12, v8
	v_addc_co_u32_e32 v9, vcc, v13, v9, vcc
	v_cmp_lt_i64_e32 vcc, v[8:9], v[0:1]
	s_and_saveexec_b64 s[8:9], vcc
	s_cbranch_execz .LBB161_14
; %bb.11:
	s_load_dwordx4 s[12:15], s[4:5], 0x40
	s_load_dwordx2 s[10:11], s[4:5], 0x50
	s_brev_b32 s5, 1
	s_mov_b32 s4, s1
	v_pk_mul_f32 v[10:11], v[4:5], s[4:5]
	v_mov_b32_e32 v12, v11
	v_mov_b32_e32 v13, v10
	v_lshlrev_b64 v[10:11], 2, v[8:9]
	s_waitcnt lgkmcnt(0)
	v_mov_b32_e32 v15, s15
	v_add_co_u32_e32 v14, vcc, s14, v10
	v_addc_co_u32_e32 v15, vcc, v15, v11, vcc
	v_mov_b32_e32 v17, s13
	v_add_co_u32_e32 v16, vcc, s12, v10
	v_mov_b32_e32 v10, 0
	v_addc_co_u32_e32 v17, vcc, v17, v11, vcc
	s_mov_b64 s[4:5], 0
	v_mov_b32_e32 v19, s11
	v_mov_b32_e32 v11, v10
.LBB161_12:                             ; =>This Inner Loop Header: Depth=1
	global_load_dword v21, v[16:17], off
	global_load_dword v20, v[14:15], off
	s_waitcnt vmcnt(1)
	v_subrev_u32_e32 v22, s2, v21
	v_ashrrev_i32_e32 v23, 31, v22
	v_lshlrev_b64 v[22:23], 3, v[22:23]
	v_add_co_u32_e32 v22, vcc, s10, v22
	v_addc_co_u32_e32 v23, vcc, v19, v23, vcc
	global_load_dwordx2 v[22:23], v[22:23], off
	v_add_co_u32_e32 v8, vcc, 64, v8
	v_addc_co_u32_e32 v9, vcc, 0, v9, vcc
	v_add_co_u32_e32 v14, vcc, 0x100, v14
	v_addc_co_u32_e32 v15, vcc, 0, v15, vcc
	s_waitcnt vmcnt(1)
	v_pk_fma_f32 v[20:21], v[4:5], v[20:21], v[12:13] op_sel_hi:[1,0,1]
	v_add_co_u32_e32 v16, vcc, 0x100, v16
	v_cmp_ge_i64_e64 s[0:1], v[8:9], v[0:1]
	v_addc_co_u32_e32 v17, vcc, 0, v17, vcc
	s_or_b64 s[4:5], s[0:1], s[4:5]
	s_waitcnt vmcnt(0)
	v_pk_fma_f32 v[10:11], v[20:21], v[22:23], v[10:11] op_sel_hi:[1,0,1]
	v_pk_fma_f32 v[10:11], v[20:21], v[22:23], v[10:11] op_sel:[1,1,0] op_sel_hi:[0,1,1] neg_lo:[1,0,0]
	s_andn2_b64 exec, exec, s[4:5]
	s_cbranch_execnz .LBB161_12
; %bb.13:
	s_or_b64 exec, exec, s[4:5]
.LBB161_14:
	s_or_b64 exec, exec, s[8:9]
	v_mov_b32_dpp v0, v10 row_shr:1 row_mask:0xf bank_mask:0xf
	v_mov_b32_dpp v1, v11 row_shr:1 row_mask:0xf bank_mask:0xf
	v_pk_add_f32 v[0:1], v[10:11], v[0:1]
	v_cmp_eq_u32_e32 vcc, 63, v18
	s_nop 0
	v_mov_b32_dpp v4, v0 row_shr:2 row_mask:0xf bank_mask:0xf
	v_mov_b32_dpp v5, v1 row_shr:2 row_mask:0xf bank_mask:0xf
	v_pk_add_f32 v[0:1], v[0:1], v[4:5]
	s_nop 1
	v_mov_b32_dpp v4, v0 row_shr:4 row_mask:0xf bank_mask:0xe
	v_mov_b32_dpp v5, v1 row_shr:4 row_mask:0xf bank_mask:0xe
	v_pk_add_f32 v[0:1], v[0:1], v[4:5]
	;; [unrolled: 4-line block ×3, first 2 shown]
	s_nop 1
	v_mov_b32_dpp v4, v0 row_bcast:15 row_mask:0xa bank_mask:0xf
	v_mov_b32_dpp v5, v1 row_bcast:15 row_mask:0xa bank_mask:0xf
	v_pk_add_f32 v[0:1], v[0:1], v[4:5]
	s_nop 1
	v_mov_b32_dpp v4, v0 row_bcast:31 row_mask:0xc bank_mask:0xf
	v_mov_b32_dpp v5, v1 row_bcast:31 row_mask:0xc bank_mask:0xf
	s_and_b64 exec, exec, vcc
	s_cbranch_execz .LBB161_18
; %bb.15:
	v_pk_add_f32 v[0:1], v[0:1], v[4:5]
	v_and_b32_e32 v4, 0x7fffffff, v2
	v_cmp_ne_u32_e32 vcc, 0, v4
	v_cmp_neq_f32_e64 s[0:1], 0, v3
	s_or_b64 s[2:3], vcc, s[0:1]
	s_and_saveexec_b64 s[0:1], s[2:3]
	s_cbranch_execz .LBB161_17
; %bb.16:
	s_waitcnt lgkmcnt(0)
	v_mov_b32_e32 v5, s7
	v_add_co_u32_e32 v4, vcc, s6, v6
	v_addc_co_u32_e32 v5, vcc, v5, v7, vcc
	global_load_dwordx2 v[4:5], v[4:5], off
	v_xor_b32_e32 v8, 0x80000000, v3
	v_mov_b32_e32 v9, v2
	s_waitcnt vmcnt(0)
	v_pk_fma_f32 v[0:1], v[2:3], v[4:5], v[0:1] op_sel_hi:[1,0,1]
	v_pk_fma_f32 v[0:1], v[8:9], v[4:5], v[0:1] op_sel:[0,1,0]
.LBB161_17:
	s_or_b64 exec, exec, s[0:1]
	s_waitcnt lgkmcnt(0)
	v_mov_b32_e32 v3, s7
	v_add_co_u32_e32 v2, vcc, s6, v6
	v_addc_co_u32_e32 v3, vcc, v3, v7, vcc
	global_store_dwordx2 v[2:3], v[0:1], off
.LBB161_18:
	s_endpgm
.LBB161_19:
	v_pk_mov_b32 v[2:3], s[10:11], s[10:11] op_sel:[0,1]
	flat_load_dword v5, v[2:3] offset:4
	s_and_b64 vcc, exec, s[0:1]
	v_mov_b32_e32 v2, s8
	s_cbranch_vccnz .LBB161_4
.LBB161_20:
	v_pk_mov_b32 v[2:3], s[8:9], s[8:9] op_sel:[0,1]
	flat_load_dword v2, v[2:3]
	s_and_b64 vcc, exec, s[0:1]
	v_mov_b32_e32 v3, s9
	s_cbranch_vccz .LBB161_5
	s_branch .LBB161_6
	.section	.rodata,"a",@progbits
	.p2align	6, 0x0
	.amdhsa_kernel _ZN9rocsparseL41csrmvn_lrb_medium_rows_warp_reduce_kernelILj256ELj64Elif21rocsparse_complex_numIfES2_S2_EEvbT1_lPT2_S5_jNS_24const_host_device_scalarIT6_EEPKS3_PKS4_PKT3_PKT4_S8_PT5_21rocsparse_index_base_b
		.amdhsa_group_segment_fixed_size 0
		.amdhsa_private_segment_fixed_size 0
		.amdhsa_kernarg_size 112
		.amdhsa_user_sgpr_count 6
		.amdhsa_user_sgpr_private_segment_buffer 1
		.amdhsa_user_sgpr_dispatch_ptr 0
		.amdhsa_user_sgpr_queue_ptr 0
		.amdhsa_user_sgpr_kernarg_segment_ptr 1
		.amdhsa_user_sgpr_dispatch_id 0
		.amdhsa_user_sgpr_flat_scratch_init 0
		.amdhsa_user_sgpr_kernarg_preload_length 0
		.amdhsa_user_sgpr_kernarg_preload_offset 0
		.amdhsa_user_sgpr_private_segment_size 0
		.amdhsa_uses_dynamic_stack 0
		.amdhsa_system_sgpr_private_segment_wavefront_offset 0
		.amdhsa_system_sgpr_workgroup_id_x 1
		.amdhsa_system_sgpr_workgroup_id_y 0
		.amdhsa_system_sgpr_workgroup_id_z 0
		.amdhsa_system_sgpr_workgroup_info 0
		.amdhsa_system_vgpr_workitem_id 0
		.amdhsa_next_free_vgpr 24
		.amdhsa_next_free_sgpr 16
		.amdhsa_accum_offset 24
		.amdhsa_reserve_vcc 1
		.amdhsa_reserve_flat_scratch 0
		.amdhsa_float_round_mode_32 0
		.amdhsa_float_round_mode_16_64 0
		.amdhsa_float_denorm_mode_32 3
		.amdhsa_float_denorm_mode_16_64 3
		.amdhsa_dx10_clamp 1
		.amdhsa_ieee_mode 1
		.amdhsa_fp16_overflow 0
		.amdhsa_tg_split 0
		.amdhsa_exception_fp_ieee_invalid_op 0
		.amdhsa_exception_fp_denorm_src 0
		.amdhsa_exception_fp_ieee_div_zero 0
		.amdhsa_exception_fp_ieee_overflow 0
		.amdhsa_exception_fp_ieee_underflow 0
		.amdhsa_exception_fp_ieee_inexact 0
		.amdhsa_exception_int_div_zero 0
	.end_amdhsa_kernel
	.section	.text._ZN9rocsparseL41csrmvn_lrb_medium_rows_warp_reduce_kernelILj256ELj64Elif21rocsparse_complex_numIfES2_S2_EEvbT1_lPT2_S5_jNS_24const_host_device_scalarIT6_EEPKS3_PKS4_PKT3_PKT4_S8_PT5_21rocsparse_index_base_b,"axG",@progbits,_ZN9rocsparseL41csrmvn_lrb_medium_rows_warp_reduce_kernelILj256ELj64Elif21rocsparse_complex_numIfES2_S2_EEvbT1_lPT2_S5_jNS_24const_host_device_scalarIT6_EEPKS3_PKS4_PKT3_PKT4_S8_PT5_21rocsparse_index_base_b,comdat
.Lfunc_end161:
	.size	_ZN9rocsparseL41csrmvn_lrb_medium_rows_warp_reduce_kernelILj256ELj64Elif21rocsparse_complex_numIfES2_S2_EEvbT1_lPT2_S5_jNS_24const_host_device_scalarIT6_EEPKS3_PKS4_PKT3_PKT4_S8_PT5_21rocsparse_index_base_b, .Lfunc_end161-_ZN9rocsparseL41csrmvn_lrb_medium_rows_warp_reduce_kernelILj256ELj64Elif21rocsparse_complex_numIfES2_S2_EEvbT1_lPT2_S5_jNS_24const_host_device_scalarIT6_EEPKS3_PKS4_PKT3_PKT4_S8_PT5_21rocsparse_index_base_b
                                        ; -- End function
	.section	.AMDGPU.csdata,"",@progbits
; Kernel info:
; codeLenInByte = 1028
; NumSgprs: 20
; NumVgprs: 24
; NumAgprs: 0
; TotalNumVgprs: 24
; ScratchSize: 0
; MemoryBound: 0
; FloatMode: 240
; IeeeMode: 1
; LDSByteSize: 0 bytes/workgroup (compile time only)
; SGPRBlocks: 2
; VGPRBlocks: 2
; NumSGPRsForWavesPerEU: 20
; NumVGPRsForWavesPerEU: 24
; AccumOffset: 24
; Occupancy: 8
; WaveLimiterHint : 1
; COMPUTE_PGM_RSRC2:SCRATCH_EN: 0
; COMPUTE_PGM_RSRC2:USER_SGPR: 6
; COMPUTE_PGM_RSRC2:TRAP_HANDLER: 0
; COMPUTE_PGM_RSRC2:TGID_X_EN: 1
; COMPUTE_PGM_RSRC2:TGID_Y_EN: 0
; COMPUTE_PGM_RSRC2:TGID_Z_EN: 0
; COMPUTE_PGM_RSRC2:TIDIG_COMP_CNT: 0
; COMPUTE_PGM_RSRC3_GFX90A:ACCUM_OFFSET: 5
; COMPUTE_PGM_RSRC3_GFX90A:TG_SPLIT: 0
	.section	.text._ZN9rocsparseL29csrmvn_lrb_medium_rows_kernelILj256Elif21rocsparse_complex_numIfES2_S2_EEvbT0_PT1_S5_jNS_24const_host_device_scalarIT5_EEPKS3_PKS4_PKT2_PKT3_S8_PT4_21rocsparse_index_base_b,"axG",@progbits,_ZN9rocsparseL29csrmvn_lrb_medium_rows_kernelILj256Elif21rocsparse_complex_numIfES2_S2_EEvbT0_PT1_S5_jNS_24const_host_device_scalarIT5_EEPKS3_PKS4_PKT2_PKT3_S8_PT4_21rocsparse_index_base_b,comdat
	.globl	_ZN9rocsparseL29csrmvn_lrb_medium_rows_kernelILj256Elif21rocsparse_complex_numIfES2_S2_EEvbT0_PT1_S5_jNS_24const_host_device_scalarIT5_EEPKS3_PKS4_PKT2_PKT3_S8_PT4_21rocsparse_index_base_b ; -- Begin function _ZN9rocsparseL29csrmvn_lrb_medium_rows_kernelILj256Elif21rocsparse_complex_numIfES2_S2_EEvbT0_PT1_S5_jNS_24const_host_device_scalarIT5_EEPKS3_PKS4_PKT2_PKT3_S8_PT4_21rocsparse_index_base_b
	.p2align	8
	.type	_ZN9rocsparseL29csrmvn_lrb_medium_rows_kernelILj256Elif21rocsparse_complex_numIfES2_S2_EEvbT0_PT1_S5_jNS_24const_host_device_scalarIT5_EEPKS3_PKS4_PKT2_PKT3_S8_PT4_21rocsparse_index_base_b,@function
_ZN9rocsparseL29csrmvn_lrb_medium_rows_kernelILj256Elif21rocsparse_complex_numIfES2_S2_EEvbT0_PT1_S5_jNS_24const_host_device_scalarIT5_EEPKS3_PKS4_PKT2_PKT3_S8_PT4_21rocsparse_index_base_b: ; @_ZN9rocsparseL29csrmvn_lrb_medium_rows_kernelILj256Elif21rocsparse_complex_numIfES2_S2_EEvbT0_PT1_S5_jNS_24const_host_device_scalarIT5_EEPKS3_PKS4_PKT2_PKT3_S8_PT4_21rocsparse_index_base_b
; %bb.0:
	s_load_dwordx2 s[8:9], s[4:5], 0x60
	s_load_dwordx2 s[10:11], s[4:5], 0x28
	;; [unrolled: 1-line block ×3, first 2 shown]
	s_waitcnt lgkmcnt(0)
	s_bitcmp1_b32 s9, 0
	s_cselect_b64 s[0:1], -1, 0
	s_xor_b64 s[12:13], s[0:1], -1
	s_and_b64 vcc, exec, s[0:1]
	v_mov_b32_e32 v4, s10
	s_cbranch_vccnz .LBB162_2
; %bb.1:
	v_pk_mov_b32 v[2:3], s[10:11], s[10:11] op_sel:[0,1]
	flat_load_dword v4, v[2:3]
.LBB162_2:
	v_cndmask_b32_e64 v1, 0, 1, s[12:13]
	v_cmp_ne_u32_e64 s[0:1], 1, v1
	s_andn2_b64 vcc, exec, s[12:13]
	v_mov_b32_e32 v5, s11
	s_cbranch_vccz .LBB162_34
; %bb.3:
	s_and_b64 vcc, exec, s[0:1]
	v_mov_b32_e32 v2, s2
	s_cbranch_vccz .LBB162_35
.LBB162_4:
	s_and_b64 vcc, exec, s[0:1]
	v_mov_b32_e32 v3, s3
	s_cbranch_vccnz .LBB162_6
.LBB162_5:
	v_pk_mov_b32 v[6:7], s[2:3], s[2:3] op_sel:[0,1]
	flat_load_dword v3, v[6:7] offset:4
.LBB162_6:
	s_waitcnt vmcnt(0) lgkmcnt(0)
	v_or_b32_e32 v1, v4, v5
	v_and_b32_e32 v1, 0x7fffffff, v1
	v_cmp_eq_u32_e32 vcc, 0, v1
	s_mov_b64 s[0:1], -1
	s_and_saveexec_b64 s[2:3], vcc
; %bb.7:
	v_and_b32_e32 v1, 0x7fffffff, v3
	v_cmp_neq_f32_e32 vcc, 1.0, v2
	v_cmp_ne_u32_e64 s[0:1], 0, v1
	s_or_b64 s[0:1], vcc, s[0:1]
	s_orn2_b64 s[0:1], s[0:1], exec
; %bb.8:
	s_or_b64 exec, exec, s[2:3]
	s_and_saveexec_b64 s[2:3], s[0:1]
	s_cbranch_execz .LBB162_33
; %bb.9:
	s_load_dword s0, s[4:5], 0x20
	s_load_dwordx4 s[12:15], s[4:5], 0x10
	s_mov_b32 s1, 0
	v_subrev_co_u32_e32 v1, vcc, s8, v0
	s_waitcnt lgkmcnt(0)
	s_lshl_b64 s[2:3], s[0:1], 2
	s_add_u32 s2, s14, s2
	s_addc_u32 s3, s15, s3
	s_load_dword s0, s[2:3], 0x0
	v_mov_b32_e32 v9, 0
	s_waitcnt lgkmcnt(0)
	s_add_i32 s2, s0, s6
	s_ashr_i32 s3, s2, 31
	s_lshl_b64 s[2:3], s[2:3], 2
	s_add_u32 s6, s12, s2
	s_addc_u32 s7, s13, s3
	s_load_dword s10, s[6:7], 0x0
	s_load_dwordx2 s[12:13], s[4:5], 0x30
	s_load_dwordx2 s[2:3], s[4:5], 0x58
	s_waitcnt lgkmcnt(0)
	s_ashr_i32 s11, s10, 31
	s_lshl_b64 s[6:7], s[10:11], 3
	s_add_u32 s10, s12, s6
	s_addc_u32 s11, s13, s7
	s_load_dwordx4 s[12:15], s[10:11], 0x0
	v_subb_co_u32_e64 v7, s[10:11], 0, 0, vcc
	s_waitcnt lgkmcnt(0)
	s_sub_u32 s10, s14, s8
	v_mov_b32_e32 v8, s13
	v_add_co_u32_e32 v6, vcc, s12, v1
	s_subb_u32 s11, s15, 0
	v_addc_co_u32_e32 v7, vcc, v8, v7, vcc
	v_cmp_gt_i64_e32 vcc, s[10:11], v[6:7]
	v_mov_b32_e32 v8, v9
	s_and_saveexec_b64 s[12:13], vcc
	s_cbranch_execz .LBB162_13
; %bb.10:
	s_load_dwordx4 s[16:19], s[4:5], 0x38
	s_load_dwordx2 s[14:15], s[4:5], 0x48
	s_brev_b32 s5, 1
	s_mov_b32 s4, s1
	v_pk_mul_f32 v[8:9], v[4:5], s[4:5]
	v_mov_b32_e32 v10, v9
	v_mov_b32_e32 v11, v8
	v_lshlrev_b64 v[8:9], 2, v[6:7]
	s_waitcnt lgkmcnt(0)
	v_mov_b32_e32 v1, s19
	v_add_co_u32_e32 v12, vcc, s18, v8
	v_addc_co_u32_e32 v13, vcc, v1, v9, vcc
	v_mov_b32_e32 v1, s17
	v_add_co_u32_e32 v14, vcc, s16, v8
	v_mov_b32_e32 v8, 0
	v_addc_co_u32_e32 v15, vcc, v1, v9, vcc
	s_mov_b64 s[4:5], 0
	v_mov_b32_e32 v1, s15
	s_movk_i32 s9, 0x100
	v_mov_b32_e32 v9, v8
.LBB162_11:                             ; =>This Inner Loop Header: Depth=1
	global_load_dword v17, v[14:15], off
	global_load_dword v16, v[12:13], off
	s_waitcnt vmcnt(1)
	v_subrev_u32_e32 v18, s8, v17
	v_ashrrev_i32_e32 v19, 31, v18
	v_lshlrev_b64 v[18:19], 3, v[18:19]
	v_add_co_u32_e32 v18, vcc, s14, v18
	v_addc_co_u32_e32 v19, vcc, v1, v19, vcc
	global_load_dwordx2 v[18:19], v[18:19], off
	v_add_co_u32_e32 v6, vcc, s9, v6
	v_addc_co_u32_e32 v7, vcc, 0, v7, vcc
	v_add_co_u32_e32 v12, vcc, 0x400, v12
	v_addc_co_u32_e32 v13, vcc, 0, v13, vcc
	s_waitcnt vmcnt(1)
	v_pk_fma_f32 v[16:17], v[4:5], v[16:17], v[10:11] op_sel_hi:[1,0,1]
	v_add_co_u32_e32 v14, vcc, 0x400, v14
	v_cmp_le_i64_e64 s[0:1], s[10:11], v[6:7]
	v_addc_co_u32_e32 v15, vcc, 0, v15, vcc
	s_or_b64 s[4:5], s[0:1], s[4:5]
	s_waitcnt vmcnt(0)
	v_pk_fma_f32 v[8:9], v[16:17], v[18:19], v[8:9] op_sel_hi:[1,0,1]
	v_pk_fma_f32 v[8:9], v[16:17], v[18:19], v[8:9] op_sel:[1,1,0] op_sel_hi:[0,1,1] neg_lo:[1,0,0]
	s_andn2_b64 exec, exec, s[4:5]
	s_cbranch_execnz .LBB162_11
; %bb.12:
	s_or_b64 exec, exec, s[4:5]
.LBB162_13:
	s_or_b64 exec, exec, s[12:13]
	s_movk_i32 s0, 0x80
	v_lshlrev_b32_e32 v1, 3, v0
	v_cmp_gt_u32_e32 vcc, s0, v0
	ds_write_b64 v1, v[8:9]
	s_waitcnt lgkmcnt(0)
	s_barrier
	s_and_saveexec_b64 s[0:1], vcc
	s_cbranch_execz .LBB162_15
; %bb.14:
	ds_read2st64_b64 v[4:7], v1 offset1:2
	s_waitcnt lgkmcnt(0)
	v_pk_add_f32 v[4:5], v[6:7], v[4:5]
	ds_write_b64 v1, v[4:5]
.LBB162_15:
	s_or_b64 exec, exec, s[0:1]
	v_cmp_gt_u32_e32 vcc, 64, v0
	s_waitcnt lgkmcnt(0)
	s_barrier
	s_and_saveexec_b64 s[0:1], vcc
	s_cbranch_execz .LBB162_17
; %bb.16:
	ds_read2st64_b64 v[4:7], v1 offset1:1
	s_waitcnt lgkmcnt(0)
	v_pk_add_f32 v[4:5], v[6:7], v[4:5]
	ds_write_b64 v1, v[4:5]
.LBB162_17:
	s_or_b64 exec, exec, s[0:1]
	v_cmp_gt_u32_e32 vcc, 32, v0
	s_waitcnt lgkmcnt(0)
	s_barrier
	s_and_saveexec_b64 s[0:1], vcc
	s_cbranch_execz .LBB162_19
; %bb.18:
	ds_read2_b64 v[4:7], v1 offset1:32
	s_waitcnt lgkmcnt(0)
	v_pk_add_f32 v[4:5], v[6:7], v[4:5]
	ds_write_b64 v1, v[4:5]
.LBB162_19:
	s_or_b64 exec, exec, s[0:1]
	v_cmp_gt_u32_e32 vcc, 16, v0
	s_waitcnt lgkmcnt(0)
	s_barrier
	s_and_saveexec_b64 s[0:1], vcc
	s_cbranch_execz .LBB162_21
; %bb.20:
	ds_read2_b64 v[4:7], v1 offset1:16
	s_waitcnt lgkmcnt(0)
	v_pk_add_f32 v[4:5], v[6:7], v[4:5]
	ds_write_b64 v1, v[4:5]
.LBB162_21:
	;; [unrolled: 12-line block ×5, first 2 shown]
	s_or_b64 exec, exec, s[0:1]
	v_cmp_eq_u32_e32 vcc, 0, v0
	s_waitcnt lgkmcnt(0)
	s_barrier
	s_and_saveexec_b64 s[0:1], vcc
	s_cbranch_execz .LBB162_29
; %bb.28:
	v_mov_b32_e32 v8, 0
	ds_read2_b64 v[4:7], v8 offset1:1
	s_waitcnt lgkmcnt(0)
	v_pk_add_f32 v[0:1], v[6:7], v[4:5]
	ds_write_b64 v8, v[0:1]
.LBB162_29:
	s_or_b64 exec, exec, s[0:1]
	s_waitcnt lgkmcnt(0)
	s_barrier
	s_and_b64 exec, exec, vcc
	s_cbranch_execz .LBB162_33
; %bb.30:
	v_mov_b32_e32 v4, 0
	ds_read_b64 v[0:1], v4
	v_and_b32_e32 v5, 0x7fffffff, v2
	v_cmp_ne_u32_e32 vcc, 0, v5
	v_cmp_neq_f32_e64 s[0:1], 0, v3
	s_or_b64 s[4:5], vcc, s[0:1]
	s_and_saveexec_b64 s[0:1], s[4:5]
	s_cbranch_execz .LBB162_32
; %bb.31:
	s_add_u32 s4, s2, s6
	s_addc_u32 s5, s3, s7
	s_load_dwordx2 s[4:5], s[4:5], 0x0
	v_xor_b32_e32 v6, 0x80000000, v3
	v_mov_b32_e32 v7, v2
	s_waitcnt lgkmcnt(0)
	v_pk_fma_f32 v[0:1], v[2:3], s[4:5], v[0:1] op_sel_hi:[1,0,1]
	v_pk_fma_f32 v[0:1], v[6:7], s[4:5], v[0:1] op_sel:[0,1,0]
.LBB162_32:
	s_or_b64 exec, exec, s[0:1]
	s_add_u32 s0, s2, s6
	s_addc_u32 s1, s3, s7
	s_waitcnt lgkmcnt(0)
	global_store_dwordx2 v4, v[0:1], s[0:1]
.LBB162_33:
	s_endpgm
.LBB162_34:
	v_pk_mov_b32 v[2:3], s[10:11], s[10:11] op_sel:[0,1]
	flat_load_dword v5, v[2:3] offset:4
	s_and_b64 vcc, exec, s[0:1]
	v_mov_b32_e32 v2, s2
	s_cbranch_vccnz .LBB162_4
.LBB162_35:
	v_pk_mov_b32 v[2:3], s[2:3], s[2:3] op_sel:[0,1]
	flat_load_dword v2, v[2:3]
	s_and_b64 vcc, exec, s[0:1]
	v_mov_b32_e32 v3, s3
	s_cbranch_vccz .LBB162_5
	s_branch .LBB162_6
	.section	.rodata,"a",@progbits
	.p2align	6, 0x0
	.amdhsa_kernel _ZN9rocsparseL29csrmvn_lrb_medium_rows_kernelILj256Elif21rocsparse_complex_numIfES2_S2_EEvbT0_PT1_S5_jNS_24const_host_device_scalarIT5_EEPKS3_PKS4_PKT2_PKT3_S8_PT4_21rocsparse_index_base_b
		.amdhsa_group_segment_fixed_size 2048
		.amdhsa_private_segment_fixed_size 0
		.amdhsa_kernarg_size 104
		.amdhsa_user_sgpr_count 6
		.amdhsa_user_sgpr_private_segment_buffer 1
		.amdhsa_user_sgpr_dispatch_ptr 0
		.amdhsa_user_sgpr_queue_ptr 0
		.amdhsa_user_sgpr_kernarg_segment_ptr 1
		.amdhsa_user_sgpr_dispatch_id 0
		.amdhsa_user_sgpr_flat_scratch_init 0
		.amdhsa_user_sgpr_kernarg_preload_length 0
		.amdhsa_user_sgpr_kernarg_preload_offset 0
		.amdhsa_user_sgpr_private_segment_size 0
		.amdhsa_uses_dynamic_stack 0
		.amdhsa_system_sgpr_private_segment_wavefront_offset 0
		.amdhsa_system_sgpr_workgroup_id_x 1
		.amdhsa_system_sgpr_workgroup_id_y 0
		.amdhsa_system_sgpr_workgroup_id_z 0
		.amdhsa_system_sgpr_workgroup_info 0
		.amdhsa_system_vgpr_workitem_id 0
		.amdhsa_next_free_vgpr 20
		.amdhsa_next_free_sgpr 20
		.amdhsa_accum_offset 20
		.amdhsa_reserve_vcc 1
		.amdhsa_reserve_flat_scratch 0
		.amdhsa_float_round_mode_32 0
		.amdhsa_float_round_mode_16_64 0
		.amdhsa_float_denorm_mode_32 3
		.amdhsa_float_denorm_mode_16_64 3
		.amdhsa_dx10_clamp 1
		.amdhsa_ieee_mode 1
		.amdhsa_fp16_overflow 0
		.amdhsa_tg_split 0
		.amdhsa_exception_fp_ieee_invalid_op 0
		.amdhsa_exception_fp_denorm_src 0
		.amdhsa_exception_fp_ieee_div_zero 0
		.amdhsa_exception_fp_ieee_overflow 0
		.amdhsa_exception_fp_ieee_underflow 0
		.amdhsa_exception_fp_ieee_inexact 0
		.amdhsa_exception_int_div_zero 0
	.end_amdhsa_kernel
	.section	.text._ZN9rocsparseL29csrmvn_lrb_medium_rows_kernelILj256Elif21rocsparse_complex_numIfES2_S2_EEvbT0_PT1_S5_jNS_24const_host_device_scalarIT5_EEPKS3_PKS4_PKT2_PKT3_S8_PT4_21rocsparse_index_base_b,"axG",@progbits,_ZN9rocsparseL29csrmvn_lrb_medium_rows_kernelILj256Elif21rocsparse_complex_numIfES2_S2_EEvbT0_PT1_S5_jNS_24const_host_device_scalarIT5_EEPKS3_PKS4_PKT2_PKT3_S8_PT4_21rocsparse_index_base_b,comdat
.Lfunc_end162:
	.size	_ZN9rocsparseL29csrmvn_lrb_medium_rows_kernelILj256Elif21rocsparse_complex_numIfES2_S2_EEvbT0_PT1_S5_jNS_24const_host_device_scalarIT5_EEPKS3_PKS4_PKT2_PKT3_S8_PT4_21rocsparse_index_base_b, .Lfunc_end162-_ZN9rocsparseL29csrmvn_lrb_medium_rows_kernelILj256Elif21rocsparse_complex_numIfES2_S2_EEvbT0_PT1_S5_jNS_24const_host_device_scalarIT5_EEPKS3_PKS4_PKT2_PKT3_S8_PT4_21rocsparse_index_base_b
                                        ; -- End function
	.section	.AMDGPU.csdata,"",@progbits
; Kernel info:
; codeLenInByte = 1252
; NumSgprs: 24
; NumVgprs: 20
; NumAgprs: 0
; TotalNumVgprs: 20
; ScratchSize: 0
; MemoryBound: 0
; FloatMode: 240
; IeeeMode: 1
; LDSByteSize: 2048 bytes/workgroup (compile time only)
; SGPRBlocks: 2
; VGPRBlocks: 2
; NumSGPRsForWavesPerEU: 24
; NumVGPRsForWavesPerEU: 20
; AccumOffset: 20
; Occupancy: 8
; WaveLimiterHint : 1
; COMPUTE_PGM_RSRC2:SCRATCH_EN: 0
; COMPUTE_PGM_RSRC2:USER_SGPR: 6
; COMPUTE_PGM_RSRC2:TRAP_HANDLER: 0
; COMPUTE_PGM_RSRC2:TGID_X_EN: 1
; COMPUTE_PGM_RSRC2:TGID_Y_EN: 0
; COMPUTE_PGM_RSRC2:TGID_Z_EN: 0
; COMPUTE_PGM_RSRC2:TIDIG_COMP_CNT: 0
; COMPUTE_PGM_RSRC3_GFX90A:ACCUM_OFFSET: 4
; COMPUTE_PGM_RSRC3_GFX90A:TG_SPLIT: 0
	.section	.text._ZN9rocsparseL27csrmvn_lrb_long_rows_kernelIlif21rocsparse_complex_numIfES2_S2_EEvbT_PjPT0_S6_jNS_24const_host_device_scalarIT4_EEPKS3_PKS5_PKT1_PKT2_S9_PT3_21rocsparse_index_base_b,"axG",@progbits,_ZN9rocsparseL27csrmvn_lrb_long_rows_kernelIlif21rocsparse_complex_numIfES2_S2_EEvbT_PjPT0_S6_jNS_24const_host_device_scalarIT4_EEPKS3_PKS5_PKT1_PKT2_S9_PT3_21rocsparse_index_base_b,comdat
	.globl	_ZN9rocsparseL27csrmvn_lrb_long_rows_kernelIlif21rocsparse_complex_numIfES2_S2_EEvbT_PjPT0_S6_jNS_24const_host_device_scalarIT4_EEPKS3_PKS5_PKT1_PKT2_S9_PT3_21rocsparse_index_base_b ; -- Begin function _ZN9rocsparseL27csrmvn_lrb_long_rows_kernelIlif21rocsparse_complex_numIfES2_S2_EEvbT_PjPT0_S6_jNS_24const_host_device_scalarIT4_EEPKS3_PKS5_PKT1_PKT2_S9_PT3_21rocsparse_index_base_b
	.p2align	8
	.type	_ZN9rocsparseL27csrmvn_lrb_long_rows_kernelIlif21rocsparse_complex_numIfES2_S2_EEvbT_PjPT0_S6_jNS_24const_host_device_scalarIT4_EEPKS3_PKS5_PKT1_PKT2_S9_PT3_21rocsparse_index_base_b,@function
_ZN9rocsparseL27csrmvn_lrb_long_rows_kernelIlif21rocsparse_complex_numIfES2_S2_EEvbT_PjPT0_S6_jNS_24const_host_device_scalarIT4_EEPKS3_PKS5_PKT1_PKT2_S9_PT3_21rocsparse_index_base_b: ; @_ZN9rocsparseL27csrmvn_lrb_long_rows_kernelIlif21rocsparse_complex_numIfES2_S2_EEvbT_PjPT0_S6_jNS_24const_host_device_scalarIT4_EEPKS3_PKS5_PKT1_PKT2_S9_PT3_21rocsparse_index_base_b
; %bb.0:
	s_load_dwordx2 s[16:17], s[4:5], 0x68
	s_load_dwordx2 s[8:9], s[4:5], 0x30
	;; [unrolled: 1-line block ×3, first 2 shown]
	s_waitcnt lgkmcnt(0)
	s_bitcmp1_b32 s17, 0
	s_cselect_b64 s[0:1], -1, 0
	s_xor_b64 s[10:11], s[0:1], -1
	s_and_b64 vcc, exec, s[0:1]
	v_mov_b32_e32 v2, s8
	s_cbranch_vccnz .LBB163_2
; %bb.1:
	v_pk_mov_b32 v[2:3], s[8:9], s[8:9] op_sel:[0,1]
	flat_load_dword v2, v[2:3]
.LBB163_2:
	v_cndmask_b32_e64 v1, 0, 1, s[10:11]
	v_cmp_ne_u32_e64 s[0:1], 1, v1
	s_andn2_b64 vcc, exec, s[10:11]
	v_mov_b32_e32 v3, s9
	s_cbranch_vccz .LBB163_39
; %bb.3:
	s_and_b64 vcc, exec, s[0:1]
	v_mov_b32_e32 v1, s2
	s_cbranch_vccz .LBB163_40
.LBB163_4:
	s_and_b64 vcc, exec, s[0:1]
	v_mov_b32_e32 v5, s3
	s_cbranch_vccnz .LBB163_6
.LBB163_5:
	v_pk_mov_b32 v[4:5], s[2:3], s[2:3] op_sel:[0,1]
	flat_load_dword v5, v[4:5] offset:4
.LBB163_6:
	s_waitcnt vmcnt(0) lgkmcnt(0)
	v_or_b32_e32 v4, v2, v3
	v_and_b32_e32 v4, 0x7fffffff, v4
	v_cmp_eq_u32_e32 vcc, 0, v4
	s_mov_b64 s[0:1], -1
	s_and_saveexec_b64 s[2:3], vcc
; %bb.7:
	v_cmp_neq_f32_e32 vcc, 1.0, v1
	v_cmp_neq_f32_e64 s[0:1], 0, v5
	s_or_b64 s[0:1], vcc, s[0:1]
	s_orn2_b64 s[0:1], s[0:1], exec
; %bb.8:
	s_or_b64 exec, exec, s[2:3]
	s_and_saveexec_b64 s[2:3], s[0:1]
	s_cbranch_execz .LBB163_48
; %bb.9:
	s_load_dword s18, s[4:5], 0x28
	s_load_dwordx2 s[0:1], s[4:5], 0x20
	s_mov_b32 s19, 0
	s_waitcnt lgkmcnt(0)
	s_lshl_b64 s[2:3], s[18:19], 2
	s_add_u32 s0, s0, s2
	s_addc_u32 s1, s1, s3
	s_lshl_b32 s2, -1, s18
	s_not_b32 s2, s2
	s_mul_hi_u32 s2, s2, 0x2aaaaaab
	s_lshr_b32 s2, s2, 7
	s_add_i32 s3, s2, 1
	v_cvt_f32_u32_e32 v4, s3
	s_load_dwordx4 s[8:11], s[4:5], 0x10
	s_load_dword s7, s[0:1], 0x0
	s_not_b32 s0, s2
	s_mov_b32 s18, s19
	v_rcp_iflag_f32_e32 v4, v4
	v_pk_mov_b32 v[6:7], s[18:19], s[18:19] op_sel:[0,1]
	v_mul_f32_e32 v4, 0x4f7ffffe, v4
	v_cvt_u32_f32_e32 v4, v4
	v_readfirstlane_b32 s1, v4
	s_mul_i32 s0, s0, s1
	s_mul_hi_u32 s0, s1, s0
	s_add_i32 s1, s1, s0
	s_mul_hi_u32 s0, s6, s1
	s_mul_i32 s1, s0, s3
	s_sub_i32 s1, s6, s1
	s_add_i32 s2, s0, 1
	s_sub_i32 s12, s1, s3
	s_cmp_ge_u32 s1, s3
	s_cselect_b32 s0, s2, s0
	s_cselect_b32 s1, s12, s1
	s_add_i32 s2, s0, 1
	s_cmp_ge_u32 s1, s3
	s_cselect_b32 s0, s2, s0
	s_mul_i32 s14, s0, s3
	s_waitcnt lgkmcnt(0)
	s_add_i32 s0, s0, s7
	s_ashr_i32 s1, s0, 31
	s_sub_i32 s28, s6, s14
	s_lshl_b64 s[0:1], s[0:1], 2
	s_add_u32 s0, s10, s0
	s_addc_u32 s1, s11, s1
	s_load_dword s2, s[0:1], 0x0
	s_load_dwordx2 s[20:21], s[4:5], 0x38
	s_load_dwordx2 s[10:11], s[4:5], 0x60
	v_or_b32_e32 v4, s28, v0
	v_cmp_eq_u32_e32 vcc, 0, v4
	s_waitcnt lgkmcnt(0)
	s_ashr_i32 s3, s2, 31
	s_lshl_b64 s[12:13], s[2:3], 3
	s_add_u32 s0, s20, s12
	s_addc_u32 s1, s21, s13
	s_ashr_i32 s7, s6, 31
	s_lshl_b64 s[6:7], s[6:7], 2
	s_add_u32 s6, s8, s6
	s_addc_u32 s7, s9, s7
	s_load_dwordx4 s[0:3], s[0:1], 0x0
	s_nop 0
	s_load_dword s17, s[6:7], 0x0
	s_and_saveexec_b64 s[20:21], vcc
	s_cbranch_execz .LBB163_13
; %bb.10:
	s_add_u32 s22, s10, s12
	s_addc_u32 s23, s11, s13
	s_load_dwordx2 s[22:23], s[22:23], 0x0
	s_mov_b64 s[24:25], exec
	v_add_f32_e32 v7, -1.0, v1
	v_mbcnt_lo_u32_b32 v1, s24, 0
	v_xor_b32_e32 v6, 0x80000000, v5
	v_mbcnt_hi_u32_b32 v1, s25, v1
	v_mov_b32_e32 v4, v7
	s_waitcnt lgkmcnt(0)
	v_pk_mul_f32 v[6:7], s[22:23], v[6:7] op_sel:[1,0]
	v_cmp_eq_u32_e32 vcc, 0, v1
	s_waitcnt vmcnt(0) expcnt(0) lgkmcnt(0)
	s_and_saveexec_b64 s[26:27], vcc
	s_cbranch_execz .LBB163_12
; %bb.11:
	s_ashr_i32 s15, s14, 31
	s_lshl_b64 s[30:31], s[14:15], 2
	s_add_u32 s30, s8, s30
	s_addc_u32 s31, s9, s31
	s_bcnt1_i32_b64 s15, s[24:25]
	s_and_b32 s15, s15, 1
	v_mov_b32_e32 v1, 0
	v_mov_b32_e32 v8, s15
	global_atomic_xor v1, v8, s[30:31]
.LBB163_12:
	s_or_b64 exec, exec, s[26:27]
	v_pk_fma_f32 v[6:7], v[4:5], s[22:23], v[6:7] op_sel_hi:[1,0,1]
.LBB163_13:
	s_or_b64 exec, exec, s[20:21]
	s_mul_i32 s18, s28, 3
	s_lshl_b64 s[18:19], s[18:19], 8
	s_waitcnt lgkmcnt(0)
	s_sub_u32 s0, s0, s16
	s_subb_u32 s1, s1, 0
	s_add_u32 s15, s0, s18
	s_addc_u32 s20, s1, s19
	s_sub_u32 s0, s2, s16
	s_subb_u32 s1, s3, 0
	s_add_u32 s2, s15, 0x300
	s_addc_u32 s3, s20, 0
	v_pk_mov_b32 v[4:5], s[0:1], s[0:1] op_sel:[0,1]
	v_cmp_lt_i64_e32 vcc, s[2:3], v[4:5]
	s_and_b64 s[18:19], vcc, exec
	v_mov_b32_e32 v1, s20
	v_add_co_u32_e32 v4, vcc, s15, v0
	s_cselect_b32 s3, s3, s1
	s_cselect_b32 s2, s2, s0
	v_addc_co_u32_e32 v5, vcc, 0, v1, vcc
	v_cmp_gt_i64_e32 vcc, s[2:3], v[4:5]
	s_and_saveexec_b64 s[18:19], vcc
	s_cbranch_execz .LBB163_17
; %bb.14:
	s_load_dwordx2 s[20:21], s[4:5], 0x50
	s_load_dwordx4 s[24:27], s[4:5], 0x40
	s_mov_b32 s0, 0
	s_brev_b32 s1, 1
	v_pk_mul_f32 v[10:11], v[2:3], s[0:1]
	v_lshlrev_b64 v[12:13], 2, v[4:5]
	v_mov_b32_e32 v9, v10
	s_waitcnt lgkmcnt(0)
	v_mov_b32_e32 v1, s27
	v_add_co_u32_e32 v10, vcc, s26, v12
	v_mov_b32_e32 v8, v11
	v_addc_co_u32_e32 v11, vcc, v1, v13, vcc
	v_mov_b32_e32 v1, s25
	v_add_co_u32_e32 v12, vcc, s24, v12
	v_addc_co_u32_e32 v13, vcc, v1, v13, vcc
	s_mov_b64 s[4:5], 0
	v_mov_b32_e32 v1, s21
	s_movk_i32 s15, 0x100
.LBB163_15:                             ; =>This Inner Loop Header: Depth=1
	global_load_dword v15, v[12:13], off
	global_load_dword v14, v[10:11], off
	s_waitcnt vmcnt(1)
	v_subrev_u32_e32 v16, s16, v15
	v_ashrrev_i32_e32 v17, 31, v16
	v_lshlrev_b64 v[16:17], 3, v[16:17]
	v_add_co_u32_e32 v16, vcc, s20, v16
	v_addc_co_u32_e32 v17, vcc, v1, v17, vcc
	global_load_dwordx2 v[16:17], v[16:17], off
	v_add_co_u32_e32 v4, vcc, s15, v4
	v_addc_co_u32_e32 v5, vcc, 0, v5, vcc
	v_add_co_u32_e32 v10, vcc, 0x400, v10
	v_addc_co_u32_e32 v11, vcc, 0, v11, vcc
	s_waitcnt vmcnt(1)
	v_pk_fma_f32 v[14:15], v[2:3], v[14:15], v[8:9] op_sel_hi:[1,0,1]
	v_add_co_u32_e32 v12, vcc, 0x400, v12
	v_cmp_le_i64_e64 s[0:1], s[2:3], v[4:5]
	v_addc_co_u32_e32 v13, vcc, 0, v13, vcc
	s_or_b64 s[4:5], s[0:1], s[4:5]
	s_waitcnt vmcnt(0)
	v_pk_fma_f32 v[6:7], v[14:15], v[16:17], v[6:7] op_sel_hi:[1,0,1]
	v_pk_fma_f32 v[6:7], v[14:15], v[16:17], v[6:7] op_sel:[1,1,0] op_sel_hi:[0,1,1] neg_lo:[1,0,0]
	s_andn2_b64 exec, exec, s[4:5]
	s_cbranch_execnz .LBB163_15
; %bb.16:
	s_or_b64 exec, exec, s[4:5]
.LBB163_17:
	s_or_b64 exec, exec, s[18:19]
	s_movk_i32 s0, 0x80
	v_lshlrev_b32_e32 v1, 3, v0
	v_cmp_gt_u32_e32 vcc, s0, v0
	ds_write_b64 v1, v[6:7]
	s_waitcnt lgkmcnt(0)
	s_barrier
	s_and_saveexec_b64 s[0:1], vcc
	s_cbranch_execz .LBB163_19
; %bb.18:
	ds_read2st64_b64 v[2:5], v1 offset1:2
	s_waitcnt lgkmcnt(0)
	v_pk_add_f32 v[2:3], v[4:5], v[2:3]
	ds_write_b64 v1, v[2:3]
.LBB163_19:
	s_or_b64 exec, exec, s[0:1]
	v_cmp_gt_u32_e32 vcc, 64, v0
	s_waitcnt lgkmcnt(0)
	s_barrier
	s_and_saveexec_b64 s[0:1], vcc
	s_cbranch_execz .LBB163_21
; %bb.20:
	ds_read2st64_b64 v[2:5], v1 offset1:1
	s_waitcnt lgkmcnt(0)
	v_pk_add_f32 v[2:3], v[4:5], v[2:3]
	ds_write_b64 v1, v[2:3]
.LBB163_21:
	s_or_b64 exec, exec, s[0:1]
	v_cmp_gt_u32_e32 vcc, 32, v0
	s_waitcnt lgkmcnt(0)
	s_barrier
	s_and_saveexec_b64 s[0:1], vcc
	s_cbranch_execz .LBB163_23
; %bb.22:
	ds_read2_b64 v[2:5], v1 offset1:32
	s_waitcnt lgkmcnt(0)
	v_pk_add_f32 v[2:3], v[4:5], v[2:3]
	ds_write_b64 v1, v[2:3]
.LBB163_23:
	s_or_b64 exec, exec, s[0:1]
	v_cmp_gt_u32_e32 vcc, 16, v0
	s_waitcnt lgkmcnt(0)
	s_barrier
	s_and_saveexec_b64 s[0:1], vcc
	s_cbranch_execz .LBB163_25
; %bb.24:
	ds_read2_b64 v[2:5], v1 offset1:16
	s_waitcnt lgkmcnt(0)
	v_pk_add_f32 v[2:3], v[4:5], v[2:3]
	ds_write_b64 v1, v[2:3]
.LBB163_25:
	s_or_b64 exec, exec, s[0:1]
	v_cmp_gt_u32_e32 vcc, 8, v0
	s_waitcnt lgkmcnt(0)
	s_barrier
	s_and_saveexec_b64 s[0:1], vcc
	s_cbranch_execz .LBB163_27
; %bb.26:
	ds_read2_b64 v[2:5], v1 offset1:8
	s_waitcnt lgkmcnt(0)
	v_pk_add_f32 v[2:3], v[4:5], v[2:3]
	ds_write_b64 v1, v[2:3]
.LBB163_27:
	s_or_b64 exec, exec, s[0:1]
	v_cmp_gt_u32_e32 vcc, 4, v0
	s_waitcnt lgkmcnt(0)
	s_barrier
	s_and_saveexec_b64 s[0:1], vcc
	s_cbranch_execz .LBB163_29
; %bb.28:
	ds_read2_b64 v[2:5], v1 offset1:4
	s_waitcnt lgkmcnt(0)
	v_pk_add_f32 v[2:3], v[4:5], v[2:3]
	ds_write_b64 v1, v[2:3]
.LBB163_29:
	s_or_b64 exec, exec, s[0:1]
	v_cmp_gt_u32_e32 vcc, 2, v0
	s_waitcnt lgkmcnt(0)
	s_barrier
	s_and_saveexec_b64 s[0:1], vcc
	s_cbranch_execz .LBB163_31
; %bb.30:
	ds_read2_b64 v[2:5], v1 offset1:2
	s_waitcnt lgkmcnt(0)
	v_pk_add_f32 v[2:3], v[4:5], v[2:3]
	ds_write_b64 v1, v[2:3]
.LBB163_31:
	s_or_b64 exec, exec, s[0:1]
	v_cmp_eq_u32_e32 vcc, 0, v0
	s_waitcnt lgkmcnt(0)
	s_barrier
	s_and_saveexec_b64 s[0:1], vcc
	s_cbranch_execz .LBB163_33
; %bb.32:
	v_mov_b32_e32 v4, 0
	ds_read2_b64 v[0:3], v4 offset1:1
	s_waitcnt lgkmcnt(0)
	v_pk_add_f32 v[0:1], v[2:3], v[0:1]
	ds_write_b64 v4, v[0:1]
.LBB163_33:
	s_or_b64 exec, exec, s[0:1]
	s_waitcnt lgkmcnt(0)
	s_barrier
	s_and_b64 exec, exec, vcc
	s_cbranch_execz .LBB163_48
; %bb.34:
	s_cmp_eq_u32 s28, 0
	s_cbranch_scc1 .LBB163_42
; %bb.35:
	s_ashr_i32 s15, s14, 31
	s_lshl_b64 s[0:1], s[14:15], 2
	s_add_u32 s0, s8, s0
	s_addc_u32 s1, s9, s1
	v_mov_b32_e32 v0, 0
	s_branch .LBB163_37
.LBB163_36:                             ;   in Loop: Header=BB163_37 Depth=1
	s_or_b64 exec, exec, s[2:3]
	s_waitcnt vmcnt(0)
	v_readfirstlane_b32 s2, v1
	s_cmp_eq_u32 s2, s17
	s_cbranch_scc0 .LBB163_41
.LBB163_37:                             ; =>This Inner Loop Header: Depth=1
	v_mbcnt_lo_u32_b32 v1, exec_lo, 0
	v_mbcnt_hi_u32_b32 v1, exec_hi, v1
	v_cmp_eq_u32_e32 vcc, 0, v1
                                        ; implicit-def: $vgpr1
	s_and_saveexec_b64 s[2:3], vcc
	s_cbranch_execz .LBB163_36
; %bb.38:                               ;   in Loop: Header=BB163_37 Depth=1
	global_load_dword v1, v0, s[0:1] glc
	s_branch .LBB163_36
.LBB163_39:
	v_pk_mov_b32 v[4:5], s[8:9], s[8:9] op_sel:[0,1]
	flat_load_dword v3, v[4:5] offset:4
	s_and_b64 vcc, exec, s[0:1]
	v_mov_b32_e32 v1, s2
	s_cbranch_vccnz .LBB163_4
.LBB163_40:
	v_pk_mov_b32 v[4:5], s[2:3], s[2:3] op_sel:[0,1]
	flat_load_dword v1, v[4:5]
	s_and_b64 vcc, exec, s[0:1]
	v_mov_b32_e32 v5, s3
	s_cbranch_vccz .LBB163_5
	s_branch .LBB163_6
.LBB163_41:
	v_mov_b32_e32 v0, 0
	global_load_dword v1, v0, s[6:7]
	s_waitcnt vmcnt(0)
	v_xor_b32_e32 v1, 1, v1
	global_store_dword v0, v1, s[6:7]
.LBB163_42:
	v_mov_b32_e32 v4, 0
	ds_read_b64 v[0:1], v4
	s_mov_b64 s[4:5], exec
	v_mbcnt_lo_u32_b32 v2, s4, 0
	s_add_u32 s0, s10, s12
	v_mbcnt_hi_u32_b32 v2, s5, v2
	s_addc_u32 s1, s11, s13
	v_cmp_eq_u32_e32 vcc, 0, v2
	s_and_saveexec_b64 s[2:3], vcc
	s_cbranch_execz .LBB163_45
; %bb.43:
	global_load_dword v3, v4, s[0:1]
	s_bcnt1_i32_b64 s4, s[4:5]
	v_cvt_f32_ubyte0_e32 v2, s4
	s_waitcnt lgkmcnt(0)
	v_mul_f32_e32 v0, v0, v2
	s_mov_b64 s[4:5], 0
.LBB163_44:                             ; =>This Inner Loop Header: Depth=1
	s_waitcnt vmcnt(0)
	v_add_f32_e32 v2, v3, v0
	global_atomic_cmpswap v2, v4, v[2:3], s[0:1] glc
	s_waitcnt vmcnt(0)
	v_cmp_eq_u32_e32 vcc, v2, v3
	s_or_b64 s[4:5], vcc, s[4:5]
	v_mov_b32_e32 v3, v2
	s_andn2_b64 exec, exec, s[4:5]
	s_cbranch_execnz .LBB163_44
.LBB163_45:
	s_or_b64 exec, exec, s[2:3]
	s_mov_b64 s[2:3], exec
	s_waitcnt lgkmcnt(0)
	v_mbcnt_lo_u32_b32 v0, s2, 0
	v_mbcnt_hi_u32_b32 v0, s3, v0
	v_cmp_eq_u32_e32 vcc, 0, v0
	s_and_b64 s[4:5], exec, vcc
	s_mov_b64 exec, s[4:5]
	s_cbranch_execz .LBB163_48
; %bb.46:
	v_mov_b32_e32 v0, 0
	global_load_dword v3, v0, s[0:1] offset:4
	s_bcnt1_i32_b64 s2, s[2:3]
	v_cvt_f32_ubyte0_e32 v2, s2
	v_mul_f32_e32 v1, v1, v2
	s_mov_b64 s[2:3], 0
.LBB163_47:                             ; =>This Inner Loop Header: Depth=1
	s_waitcnt vmcnt(0)
	v_add_f32_e32 v2, v3, v1
	global_atomic_cmpswap v2, v0, v[2:3], s[0:1] offset:4 glc
	s_waitcnt vmcnt(0)
	v_cmp_eq_u32_e32 vcc, v2, v3
	s_or_b64 s[2:3], vcc, s[2:3]
	v_mov_b32_e32 v3, v2
	s_andn2_b64 exec, exec, s[2:3]
	s_cbranch_execnz .LBB163_47
.LBB163_48:
	s_endpgm
	.section	.rodata,"a",@progbits
	.p2align	6, 0x0
	.amdhsa_kernel _ZN9rocsparseL27csrmvn_lrb_long_rows_kernelIlif21rocsparse_complex_numIfES2_S2_EEvbT_PjPT0_S6_jNS_24const_host_device_scalarIT4_EEPKS3_PKS5_PKT1_PKT2_S9_PT3_21rocsparse_index_base_b
		.amdhsa_group_segment_fixed_size 2048
		.amdhsa_private_segment_fixed_size 0
		.amdhsa_kernarg_size 112
		.amdhsa_user_sgpr_count 6
		.amdhsa_user_sgpr_private_segment_buffer 1
		.amdhsa_user_sgpr_dispatch_ptr 0
		.amdhsa_user_sgpr_queue_ptr 0
		.amdhsa_user_sgpr_kernarg_segment_ptr 1
		.amdhsa_user_sgpr_dispatch_id 0
		.amdhsa_user_sgpr_flat_scratch_init 0
		.amdhsa_user_sgpr_kernarg_preload_length 0
		.amdhsa_user_sgpr_kernarg_preload_offset 0
		.amdhsa_user_sgpr_private_segment_size 0
		.amdhsa_uses_dynamic_stack 0
		.amdhsa_system_sgpr_private_segment_wavefront_offset 0
		.amdhsa_system_sgpr_workgroup_id_x 1
		.amdhsa_system_sgpr_workgroup_id_y 0
		.amdhsa_system_sgpr_workgroup_id_z 0
		.amdhsa_system_sgpr_workgroup_info 0
		.amdhsa_system_vgpr_workitem_id 0
		.amdhsa_next_free_vgpr 18
		.amdhsa_next_free_sgpr 32
		.amdhsa_accum_offset 20
		.amdhsa_reserve_vcc 1
		.amdhsa_reserve_flat_scratch 0
		.amdhsa_float_round_mode_32 0
		.amdhsa_float_round_mode_16_64 0
		.amdhsa_float_denorm_mode_32 3
		.amdhsa_float_denorm_mode_16_64 3
		.amdhsa_dx10_clamp 1
		.amdhsa_ieee_mode 1
		.amdhsa_fp16_overflow 0
		.amdhsa_tg_split 0
		.amdhsa_exception_fp_ieee_invalid_op 0
		.amdhsa_exception_fp_denorm_src 0
		.amdhsa_exception_fp_ieee_div_zero 0
		.amdhsa_exception_fp_ieee_overflow 0
		.amdhsa_exception_fp_ieee_underflow 0
		.amdhsa_exception_fp_ieee_inexact 0
		.amdhsa_exception_int_div_zero 0
	.end_amdhsa_kernel
	.section	.text._ZN9rocsparseL27csrmvn_lrb_long_rows_kernelIlif21rocsparse_complex_numIfES2_S2_EEvbT_PjPT0_S6_jNS_24const_host_device_scalarIT4_EEPKS3_PKS5_PKT1_PKT2_S9_PT3_21rocsparse_index_base_b,"axG",@progbits,_ZN9rocsparseL27csrmvn_lrb_long_rows_kernelIlif21rocsparse_complex_numIfES2_S2_EEvbT_PjPT0_S6_jNS_24const_host_device_scalarIT4_EEPKS3_PKS5_PKT1_PKT2_S9_PT3_21rocsparse_index_base_b,comdat
.Lfunc_end163:
	.size	_ZN9rocsparseL27csrmvn_lrb_long_rows_kernelIlif21rocsparse_complex_numIfES2_S2_EEvbT_PjPT0_S6_jNS_24const_host_device_scalarIT4_EEPKS3_PKS5_PKT1_PKT2_S9_PT3_21rocsparse_index_base_b, .Lfunc_end163-_ZN9rocsparseL27csrmvn_lrb_long_rows_kernelIlif21rocsparse_complex_numIfES2_S2_EEvbT_PjPT0_S6_jNS_24const_host_device_scalarIT4_EEPKS3_PKS5_PKT1_PKT2_S9_PT3_21rocsparse_index_base_b
                                        ; -- End function
	.section	.AMDGPU.csdata,"",@progbits
; Kernel info:
; codeLenInByte = 1828
; NumSgprs: 36
; NumVgprs: 18
; NumAgprs: 0
; TotalNumVgprs: 18
; ScratchSize: 0
; MemoryBound: 0
; FloatMode: 240
; IeeeMode: 1
; LDSByteSize: 2048 bytes/workgroup (compile time only)
; SGPRBlocks: 4
; VGPRBlocks: 2
; NumSGPRsForWavesPerEU: 36
; NumVGPRsForWavesPerEU: 18
; AccumOffset: 20
; Occupancy: 8
; WaveLimiterHint : 1
; COMPUTE_PGM_RSRC2:SCRATCH_EN: 0
; COMPUTE_PGM_RSRC2:USER_SGPR: 6
; COMPUTE_PGM_RSRC2:TRAP_HANDLER: 0
; COMPUTE_PGM_RSRC2:TGID_X_EN: 1
; COMPUTE_PGM_RSRC2:TGID_Y_EN: 0
; COMPUTE_PGM_RSRC2:TGID_Z_EN: 0
; COMPUTE_PGM_RSRC2:TIDIG_COMP_CNT: 0
; COMPUTE_PGM_RSRC3_GFX90A:ACCUM_OFFSET: 4
; COMPUTE_PGM_RSRC3_GFX90A:TG_SPLIT: 0
	.section	.text._ZN9rocsparseL28csrmvn_lrb_short_rows_kernelIllf21rocsparse_complex_numIfES2_S2_EEvbT_PT0_S5_jNS_24const_host_device_scalarIT4_EEPKS3_PKS4_PKT1_PKT2_S8_PT3_21rocsparse_index_base_b,"axG",@progbits,_ZN9rocsparseL28csrmvn_lrb_short_rows_kernelIllf21rocsparse_complex_numIfES2_S2_EEvbT_PT0_S5_jNS_24const_host_device_scalarIT4_EEPKS3_PKS4_PKT1_PKT2_S8_PT3_21rocsparse_index_base_b,comdat
	.globl	_ZN9rocsparseL28csrmvn_lrb_short_rows_kernelIllf21rocsparse_complex_numIfES2_S2_EEvbT_PT0_S5_jNS_24const_host_device_scalarIT4_EEPKS3_PKS4_PKT1_PKT2_S8_PT3_21rocsparse_index_base_b ; -- Begin function _ZN9rocsparseL28csrmvn_lrb_short_rows_kernelIllf21rocsparse_complex_numIfES2_S2_EEvbT_PT0_S5_jNS_24const_host_device_scalarIT4_EEPKS3_PKS4_PKT1_PKT2_S8_PT3_21rocsparse_index_base_b
	.p2align	8
	.type	_ZN9rocsparseL28csrmvn_lrb_short_rows_kernelIllf21rocsparse_complex_numIfES2_S2_EEvbT_PT0_S5_jNS_24const_host_device_scalarIT4_EEPKS3_PKS4_PKT1_PKT2_S8_PT3_21rocsparse_index_base_b,@function
_ZN9rocsparseL28csrmvn_lrb_short_rows_kernelIllf21rocsparse_complex_numIfES2_S2_EEvbT_PT0_S5_jNS_24const_host_device_scalarIT4_EEPKS3_PKS4_PKT1_PKT2_S8_PT3_21rocsparse_index_base_b: ; @_ZN9rocsparseL28csrmvn_lrb_short_rows_kernelIllf21rocsparse_complex_numIfES2_S2_EEvbT_PT0_S5_jNS_24const_host_device_scalarIT4_EEPKS3_PKS4_PKT1_PKT2_S8_PT3_21rocsparse_index_base_b
; %bb.0:
	s_load_dwordx2 s[16:17], s[4:5], 0x60
	s_load_dwordx2 s[8:9], s[4:5], 0x28
	;; [unrolled: 1-line block ×3, first 2 shown]
	s_waitcnt lgkmcnt(0)
	s_bitcmp1_b32 s17, 0
	s_cselect_b64 s[0:1], -1, 0
	s_xor_b64 s[10:11], s[0:1], -1
	s_and_b64 vcc, exec, s[0:1]
	v_mov_b32_e32 v8, s8
	s_cbranch_vccnz .LBB164_2
; %bb.1:
	v_pk_mov_b32 v[2:3], s[8:9], s[8:9] op_sel:[0,1]
	flat_load_dword v8, v[2:3]
.LBB164_2:
	v_cndmask_b32_e64 v1, 0, 1, s[10:11]
	v_cmp_ne_u32_e64 s[0:1], 1, v1
	s_andn2_b64 vcc, exec, s[10:11]
	v_mov_b32_e32 v9, s9
	s_cbranch_vccz .LBB164_17
; %bb.3:
	s_and_b64 vcc, exec, s[0:1]
	v_mov_b32_e32 v6, s2
	s_cbranch_vccz .LBB164_18
.LBB164_4:
	s_and_b64 vcc, exec, s[0:1]
	v_mov_b32_e32 v7, s3
	s_cbranch_vccnz .LBB164_6
.LBB164_5:
	v_pk_mov_b32 v[2:3], s[2:3], s[2:3] op_sel:[0,1]
	flat_load_dword v7, v[2:3] offset:4
.LBB164_6:
	s_waitcnt vmcnt(0) lgkmcnt(0)
	v_or_b32_e32 v1, v8, v9
	v_and_b32_e32 v1, 0x7fffffff, v1
	v_cmp_eq_u32_e32 vcc, 0, v1
	s_mov_b64 s[0:1], -1
	s_and_saveexec_b64 s[2:3], vcc
; %bb.7:
	v_and_b32_e32 v1, 0x7fffffff, v7
	v_cmp_neq_f32_e32 vcc, 1.0, v6
	v_cmp_ne_u32_e64 s[0:1], 0, v1
	s_or_b64 s[0:1], vcc, s[0:1]
	s_orn2_b64 s[0:1], s[0:1], exec
; %bb.8:
	s_or_b64 exec, exec, s[2:3]
	s_and_saveexec_b64 s[2:3], s[0:1]
	s_cbranch_execz .LBB164_25
; %bb.9:
	s_load_dword s18, s[4:5], 0x20
	s_load_dwordx4 s[0:3], s[4:5], 0x10
	s_mov_b32 s7, 0
	s_mov_b32 s19, s7
	;; [unrolled: 1-line block ×3, first 2 shown]
	s_waitcnt lgkmcnt(0)
	s_lshl_b64 s[8:9], s[18:19], 3
	s_add_u32 s8, s2, s8
	s_addc_u32 s9, s3, s9
	s_add_i32 s10, s18, 1
	s_lshl_b64 s[10:11], s[10:11], 3
	s_add_u32 s10, s2, s10
	s_addc_u32 s11, s3, s11
	s_load_dwordx2 s[2:3], s[8:9], 0x0
	s_load_dword s12, s[10:11], 0x0
	s_lshl_b32 s6, s6, 8
	s_add_i32 s9, s6, 0x100
	s_waitcnt lgkmcnt(0)
	s_sub_i32 s8, s12, s2
	s_min_u32 s17, s8, s9
	s_cmp_gt_u32 s18, 23
	s_cbranch_scc1 .LBB164_19
; %bb.10:
	s_load_dwordx8 s[8:15], s[4:5], 0x30
	s_lshl_b32 s19, 0x100, s18
	s_lshl_b64 s[20:21], s[2:3], 3
	s_add_u32 s24, s0, s20
	s_addc_u32 s25, s1, s21
	s_brev_b32 s21, 1
	s_mov_b32 s20, s7
	v_mov_b32_e32 v13, 0
	v_pk_mul_f32 v[2:3], v[8:9], s[20:21]
	v_bfe_u32 v10, v0, 0, s18
	v_mov_b32_e32 v11, v13
	v_mov_b32_e32 v14, v3
	;; [unrolled: 1-line block ×3, first 2 shown]
	v_lshl_add_u32 v1, v0, 3, 0
	s_mov_b32 s26, s7
	s_branch .LBB164_12
.LBB164_11:                             ;   in Loop: Header=BB164_12 Depth=1
	s_or_b64 exec, exec, s[20:21]
	s_addk_i32 s26, 0x100
	s_cmp_ge_u32 s26, s19
	v_add_u32_e32 v1, 0x800, v1
	s_cbranch_scc1 .LBB164_19
.LBB164_12:                             ; =>This Inner Loop Header: Depth=1
	v_add_u32_e32 v2, s26, v0
	v_lshrrev_b32_e32 v2, s18, v2
	v_add_u32_e32 v12, s6, v2
	v_cmp_gt_u32_e32 vcc, s17, v12
	s_and_saveexec_b64 s[20:21], vcc
	s_cbranch_execz .LBB164_11
; %bb.13:                               ;   in Loop: Header=BB164_12 Depth=1
	v_lshlrev_b64 v[2:3], 3, v[12:13]
	v_mov_b32_e32 v4, s25
	v_add_co_u32_e32 v2, vcc, s24, v2
	v_addc_co_u32_e32 v3, vcc, v4, v3, vcc
	global_load_dwordx2 v[2:3], v[2:3], off
	s_waitcnt lgkmcnt(0)
	v_mov_b32_e32 v4, s9
	s_waitcnt vmcnt(0)
	v_lshlrev_b64 v[2:3], 3, v[2:3]
	v_add_co_u32_e32 v2, vcc, s8, v2
	v_addc_co_u32_e32 v3, vcc, v4, v3, vcc
	global_load_dwordx4 v[2:5], v[2:3], off
	s_waitcnt vmcnt(0)
	v_sub_co_u32_e32 v4, vcc, v4, v2
	v_subb_co_u32_e32 v5, vcc, v5, v3, vcc
	v_cmp_le_i64_e32 vcc, v[4:5], v[10:11]
	s_and_saveexec_b64 s[22:23], vcc
	s_xor_b64 s[22:23], exec, s[22:23]
	s_cbranch_execz .LBB164_15
; %bb.14:                               ;   in Loop: Header=BB164_12 Depth=1
	ds_write2_b32 v1, v13, v13 offset1:1
                                        ; implicit-def: $vgpr2_vgpr3
.LBB164_15:                             ;   in Loop: Header=BB164_12 Depth=1
	s_andn2_saveexec_b64 s[22:23], s[22:23]
	s_cbranch_execz .LBB164_11
; %bb.16:                               ;   in Loop: Header=BB164_12 Depth=1
	v_mov_b32_e32 v12, s7
	v_subrev_co_u32_e32 v2, vcc, s16, v2
	v_subb_co_u32_e32 v3, vcc, v3, v12, vcc
	v_add_co_u32_e32 v2, vcc, v2, v10
	v_addc_co_u32_e32 v3, vcc, 0, v3, vcc
	v_lshlrev_b64 v[4:5], 3, v[2:3]
	v_mov_b32_e32 v16, s11
	v_add_co_u32_e32 v4, vcc, s10, v4
	v_addc_co_u32_e32 v5, vcc, v16, v5, vcc
	global_load_dwordx2 v[4:5], v[4:5], off
	v_lshlrev_b64 v[2:3], 2, v[2:3]
	v_mov_b32_e32 v16, s13
	v_add_co_u32_e32 v2, vcc, s12, v2
	v_addc_co_u32_e32 v3, vcc, v16, v3, vcc
	v_mov_b32_e32 v17, s15
	global_load_dword v2, v[2:3], off
	s_waitcnt vmcnt(1)
	v_subrev_co_u32_e32 v4, vcc, s16, v4
	v_subb_co_u32_e32 v5, vcc, v5, v12, vcc
	v_lshlrev_b64 v[4:5], 3, v[4:5]
	v_add_co_u32_e32 v4, vcc, s14, v4
	v_addc_co_u32_e32 v5, vcc, v17, v5, vcc
	global_load_dwordx2 v[4:5], v[4:5], off
	s_waitcnt vmcnt(1)
	v_pk_fma_f32 v[2:3], v[8:9], v[2:3], v[14:15] op_sel_hi:[1,0,1]
	s_waitcnt vmcnt(0)
	v_pk_mul_f32 v[16:17], v[4:5], v[2:3] op_sel:[1,1] op_sel_hi:[1,0] neg_lo:[0,1]
	v_pk_fma_f32 v[2:3], v[2:3], v[4:5], v[16:17] op_sel_hi:[1,0,1]
	ds_write2_b32 v1, v2, v3 offset1:1
	s_branch .LBB164_11
.LBB164_17:
	v_pk_mov_b32 v[2:3], s[8:9], s[8:9] op_sel:[0,1]
	flat_load_dword v9, v[2:3] offset:4
	s_and_b64 vcc, exec, s[0:1]
	v_mov_b32_e32 v6, s2
	s_cbranch_vccnz .LBB164_4
.LBB164_18:
	v_pk_mov_b32 v[2:3], s[2:3], s[2:3] op_sel:[0,1]
	flat_load_dword v6, v[2:3]
	s_and_b64 vcc, exec, s[0:1]
	v_mov_b32_e32 v7, s3
	s_cbranch_vccz .LBB164_5
	s_branch .LBB164_6
.LBB164_19:
	s_sub_i32 s7, s17, s6
	v_cmp_gt_u32_e32 vcc, s7, v0
	s_waitcnt lgkmcnt(0)
	s_barrier
	s_and_b64 exec, exec, vcc
	s_cbranch_execz .LBB164_25
; %bb.20:
	s_lshl_b64 s[2:3], s[2:3], 3
	s_mov_b32 s7, 0
	s_add_u32 s2, s0, s2
	s_addc_u32 s3, s1, s3
	s_lshl_b64 s[0:1], s[6:7], 3
	s_add_u32 s0, s2, s0
	s_addc_u32 s1, s3, s1
	v_lshlrev_b32_e32 v1, 3, v0
	global_load_dwordx2 v[2:3], v1, s[0:1]
	s_load_dwordx2 s[2:3], s[4:5], 0x58
	v_lshlrev_b32_e32 v0, s18, v0
	v_lshl_add_u32 v4, v0, 3, 0
	v_mov_b32_e32 v0, 0
	s_mov_b32 s0, 1
	v_mov_b32_e32 v1, v0
.LBB164_21:                             ; =>This Inner Loop Header: Depth=1
	ds_read2_b32 v[8:9], v4 offset1:1
	s_lshr_b32 s1, s0, s18
	s_add_i32 s0, s0, 1
	v_add_u32_e32 v4, 8, v4
	s_cmp_lg_u32 s1, 0
	s_waitcnt lgkmcnt(0)
	v_pk_add_f32 v[0:1], v[0:1], v[8:9]
	s_cbranch_scc0 .LBB164_21
; %bb.22:
	v_and_b32_e32 v4, 0x7fffffff, v6
	v_cmp_ne_u32_e32 vcc, 0, v4
	v_cmp_neq_f32_e64 s[0:1], 0, v7
	s_or_b64 s[4:5], vcc, s[0:1]
	s_waitcnt vmcnt(0)
	v_lshlrev_b64 v[2:3], 3, v[2:3]
	s_and_saveexec_b64 s[0:1], s[4:5]
	s_cbranch_execz .LBB164_24
; %bb.23:
	v_mov_b32_e32 v5, s3
	v_add_co_u32_e32 v4, vcc, s2, v2
	v_addc_co_u32_e32 v5, vcc, v5, v3, vcc
	global_load_dwordx2 v[4:5], v[4:5], off
	v_xor_b32_e32 v8, 0x80000000, v7
	v_mov_b32_e32 v9, v6
	s_waitcnt vmcnt(0)
	v_pk_fma_f32 v[0:1], v[6:7], v[4:5], v[0:1] op_sel_hi:[1,0,1]
	v_pk_fma_f32 v[0:1], v[8:9], v[4:5], v[0:1] op_sel:[0,1,0]
.LBB164_24:
	s_or_b64 exec, exec, s[0:1]
	v_mov_b32_e32 v4, s3
	v_add_co_u32_e32 v2, vcc, s2, v2
	v_addc_co_u32_e32 v3, vcc, v4, v3, vcc
	global_store_dwordx2 v[2:3], v[0:1], off
.LBB164_25:
	s_endpgm
	.section	.rodata,"a",@progbits
	.p2align	6, 0x0
	.amdhsa_kernel _ZN9rocsparseL28csrmvn_lrb_short_rows_kernelIllf21rocsparse_complex_numIfES2_S2_EEvbT_PT0_S5_jNS_24const_host_device_scalarIT4_EEPKS3_PKS4_PKT1_PKT2_S8_PT3_21rocsparse_index_base_b
		.amdhsa_group_segment_fixed_size 0
		.amdhsa_private_segment_fixed_size 0
		.amdhsa_kernarg_size 104
		.amdhsa_user_sgpr_count 6
		.amdhsa_user_sgpr_private_segment_buffer 1
		.amdhsa_user_sgpr_dispatch_ptr 0
		.amdhsa_user_sgpr_queue_ptr 0
		.amdhsa_user_sgpr_kernarg_segment_ptr 1
		.amdhsa_user_sgpr_dispatch_id 0
		.amdhsa_user_sgpr_flat_scratch_init 0
		.amdhsa_user_sgpr_kernarg_preload_length 0
		.amdhsa_user_sgpr_kernarg_preload_offset 0
		.amdhsa_user_sgpr_private_segment_size 0
		.amdhsa_uses_dynamic_stack 0
		.amdhsa_system_sgpr_private_segment_wavefront_offset 0
		.amdhsa_system_sgpr_workgroup_id_x 1
		.amdhsa_system_sgpr_workgroup_id_y 0
		.amdhsa_system_sgpr_workgroup_id_z 0
		.amdhsa_system_sgpr_workgroup_info 0
		.amdhsa_system_vgpr_workitem_id 0
		.amdhsa_next_free_vgpr 18
		.amdhsa_next_free_sgpr 27
		.amdhsa_accum_offset 20
		.amdhsa_reserve_vcc 1
		.amdhsa_reserve_flat_scratch 0
		.amdhsa_float_round_mode_32 0
		.amdhsa_float_round_mode_16_64 0
		.amdhsa_float_denorm_mode_32 3
		.amdhsa_float_denorm_mode_16_64 3
		.amdhsa_dx10_clamp 1
		.amdhsa_ieee_mode 1
		.amdhsa_fp16_overflow 0
		.amdhsa_tg_split 0
		.amdhsa_exception_fp_ieee_invalid_op 0
		.amdhsa_exception_fp_denorm_src 0
		.amdhsa_exception_fp_ieee_div_zero 0
		.amdhsa_exception_fp_ieee_overflow 0
		.amdhsa_exception_fp_ieee_underflow 0
		.amdhsa_exception_fp_ieee_inexact 0
		.amdhsa_exception_int_div_zero 0
	.end_amdhsa_kernel
	.section	.text._ZN9rocsparseL28csrmvn_lrb_short_rows_kernelIllf21rocsparse_complex_numIfES2_S2_EEvbT_PT0_S5_jNS_24const_host_device_scalarIT4_EEPKS3_PKS4_PKT1_PKT2_S8_PT3_21rocsparse_index_base_b,"axG",@progbits,_ZN9rocsparseL28csrmvn_lrb_short_rows_kernelIllf21rocsparse_complex_numIfES2_S2_EEvbT_PT0_S5_jNS_24const_host_device_scalarIT4_EEPKS3_PKS4_PKT1_PKT2_S8_PT3_21rocsparse_index_base_b,comdat
.Lfunc_end164:
	.size	_ZN9rocsparseL28csrmvn_lrb_short_rows_kernelIllf21rocsparse_complex_numIfES2_S2_EEvbT_PT0_S5_jNS_24const_host_device_scalarIT4_EEPKS3_PKS4_PKT1_PKT2_S8_PT3_21rocsparse_index_base_b, .Lfunc_end164-_ZN9rocsparseL28csrmvn_lrb_short_rows_kernelIllf21rocsparse_complex_numIfES2_S2_EEvbT_PT0_S5_jNS_24const_host_device_scalarIT4_EEPKS3_PKS4_PKT1_PKT2_S8_PT3_21rocsparse_index_base_b
                                        ; -- End function
	.section	.AMDGPU.csdata,"",@progbits
; Kernel info:
; codeLenInByte = 1032
; NumSgprs: 31
; NumVgprs: 18
; NumAgprs: 0
; TotalNumVgprs: 18
; ScratchSize: 0
; MemoryBound: 0
; FloatMode: 240
; IeeeMode: 1
; LDSByteSize: 0 bytes/workgroup (compile time only)
; SGPRBlocks: 3
; VGPRBlocks: 2
; NumSGPRsForWavesPerEU: 31
; NumVGPRsForWavesPerEU: 18
; AccumOffset: 20
; Occupancy: 8
; WaveLimiterHint : 1
; COMPUTE_PGM_RSRC2:SCRATCH_EN: 0
; COMPUTE_PGM_RSRC2:USER_SGPR: 6
; COMPUTE_PGM_RSRC2:TRAP_HANDLER: 0
; COMPUTE_PGM_RSRC2:TGID_X_EN: 1
; COMPUTE_PGM_RSRC2:TGID_Y_EN: 0
; COMPUTE_PGM_RSRC2:TGID_Z_EN: 0
; COMPUTE_PGM_RSRC2:TIDIG_COMP_CNT: 0
; COMPUTE_PGM_RSRC3_GFX90A:ACCUM_OFFSET: 4
; COMPUTE_PGM_RSRC3_GFX90A:TG_SPLIT: 0
	.section	.text._ZN9rocsparseL30csrmvn_lrb_short_rows_2_kernelIllf21rocsparse_complex_numIfES2_S2_EEvbT_PT0_S5_jNS_24const_host_device_scalarIT4_EEPKS3_PKS4_PKT1_PKT2_S8_PT3_21rocsparse_index_base_b,"axG",@progbits,_ZN9rocsparseL30csrmvn_lrb_short_rows_2_kernelIllf21rocsparse_complex_numIfES2_S2_EEvbT_PT0_S5_jNS_24const_host_device_scalarIT4_EEPKS3_PKS4_PKT1_PKT2_S8_PT3_21rocsparse_index_base_b,comdat
	.globl	_ZN9rocsparseL30csrmvn_lrb_short_rows_2_kernelIllf21rocsparse_complex_numIfES2_S2_EEvbT_PT0_S5_jNS_24const_host_device_scalarIT4_EEPKS3_PKS4_PKT1_PKT2_S8_PT3_21rocsparse_index_base_b ; -- Begin function _ZN9rocsparseL30csrmvn_lrb_short_rows_2_kernelIllf21rocsparse_complex_numIfES2_S2_EEvbT_PT0_S5_jNS_24const_host_device_scalarIT4_EEPKS3_PKS4_PKT1_PKT2_S8_PT3_21rocsparse_index_base_b
	.p2align	8
	.type	_ZN9rocsparseL30csrmvn_lrb_short_rows_2_kernelIllf21rocsparse_complex_numIfES2_S2_EEvbT_PT0_S5_jNS_24const_host_device_scalarIT4_EEPKS3_PKS4_PKT1_PKT2_S8_PT3_21rocsparse_index_base_b,@function
_ZN9rocsparseL30csrmvn_lrb_short_rows_2_kernelIllf21rocsparse_complex_numIfES2_S2_EEvbT_PT0_S5_jNS_24const_host_device_scalarIT4_EEPKS3_PKS4_PKT1_PKT2_S8_PT3_21rocsparse_index_base_b: ; @_ZN9rocsparseL30csrmvn_lrb_short_rows_2_kernelIllf21rocsparse_complex_numIfES2_S2_EEvbT_PT0_S5_jNS_24const_host_device_scalarIT4_EEPKS3_PKS4_PKT1_PKT2_S8_PT3_21rocsparse_index_base_b
; %bb.0:
	s_load_dwordx2 s[16:17], s[4:5], 0x60
	s_load_dwordx2 s[8:9], s[4:5], 0x28
	;; [unrolled: 1-line block ×3, first 2 shown]
	s_waitcnt lgkmcnt(0)
	s_bitcmp1_b32 s17, 0
	s_cselect_b64 s[0:1], -1, 0
	s_xor_b64 s[10:11], s[0:1], -1
	s_and_b64 vcc, exec, s[0:1]
	v_mov_b32_e32 v8, s8
	s_cbranch_vccnz .LBB165_2
; %bb.1:
	v_pk_mov_b32 v[2:3], s[8:9], s[8:9] op_sel:[0,1]
	flat_load_dword v8, v[2:3]
.LBB165_2:
	v_cndmask_b32_e64 v1, 0, 1, s[10:11]
	v_cmp_ne_u32_e64 s[0:1], 1, v1
	s_andn2_b64 vcc, exec, s[10:11]
	v_mov_b32_e32 v9, s9
	s_cbranch_vccz .LBB165_39
; %bb.3:
	s_and_b64 vcc, exec, s[0:1]
	v_mov_b32_e32 v6, s2
	s_cbranch_vccz .LBB165_40
.LBB165_4:
	s_and_b64 vcc, exec, s[0:1]
	v_mov_b32_e32 v7, s3
	s_cbranch_vccnz .LBB165_6
.LBB165_5:
	v_pk_mov_b32 v[2:3], s[2:3], s[2:3] op_sel:[0,1]
	flat_load_dword v7, v[2:3] offset:4
.LBB165_6:
	s_waitcnt vmcnt(0) lgkmcnt(0)
	v_or_b32_e32 v1, v8, v9
	v_and_b32_e32 v1, 0x7fffffff, v1
	v_cmp_eq_u32_e32 vcc, 0, v1
	s_mov_b64 s[0:1], -1
	s_and_saveexec_b64 s[2:3], vcc
; %bb.7:
	v_and_b32_e32 v1, 0x7fffffff, v7
	v_cmp_neq_f32_e32 vcc, 1.0, v6
	v_cmp_ne_u32_e64 s[0:1], 0, v1
	s_or_b64 s[0:1], vcc, s[0:1]
	s_orn2_b64 s[0:1], s[0:1], exec
; %bb.8:
	s_or_b64 exec, exec, s[2:3]
	s_and_saveexec_b64 s[2:3], s[0:1]
	s_cbranch_execz .LBB165_38
; %bb.9:
	s_load_dword s2, s[4:5], 0x20
	s_load_dwordx4 s[20:23], s[4:5], 0x10
	s_mov_b32 s3, 0
	s_mov_b32 s1, s3
	v_mov_b32_e32 v13, 0
	s_waitcnt lgkmcnt(0)
	s_lshl_b64 s[8:9], s[2:3], 3
	s_add_u32 s18, s22, s8
	s_addc_u32 s19, s23, s9
	s_add_i32 s0, s2, 1
	s_lshl_b64 s[0:1], s[0:1], 3
	s_add_u32 s0, s22, s0
	s_addc_u32 s1, s23, s1
	s_load_dwordx2 s[22:23], s[18:19], 0x0
	s_load_dword s7, s[0:1], 0x0
	s_load_dwordx8 s[8:15], s[4:5], 0x30
	s_lshr_b32 s17, 0x400, s2
	s_mul_i32 s6, s17, s6
	s_add_i32 s1, s6, s17
	s_waitcnt lgkmcnt(0)
	s_sub_i32 s0, s7, s22
	s_min_u32 s7, s0, s1
	s_lshl_b64 s[0:1], s[22:23], 3
	s_add_u32 s20, s20, s0
	s_addc_u32 s21, s21, s1
	s_brev_b32 s1, 1
	s_mov_b32 s0, s3
	v_pk_mul_f32 v[2:3], v[8:9], s[0:1]
	v_lshrrev_b32_e32 v1, s2, v0
	v_mov_b32_e32 v11, v2
	v_add_u32_e32 v2, s6, v1
	v_bfe_u32 v12, v0, 0, s2
	v_mov_b32_e32 v10, v3
	v_cmp_gt_u32_e32 vcc, s7, v2
	s_and_saveexec_b64 s[0:1], vcc
	s_cbranch_execz .LBB165_14
; %bb.10:
	v_mov_b32_e32 v3, v13
	v_lshlrev_b64 v[2:3], 3, v[2:3]
	v_mov_b32_e32 v1, s21
	v_add_co_u32_e32 v2, vcc, s20, v2
	v_addc_co_u32_e32 v3, vcc, v1, v3, vcc
	global_load_dwordx2 v[2:3], v[2:3], off
	v_mov_b32_e32 v1, s9
	s_waitcnt vmcnt(0)
	v_lshlrev_b64 v[2:3], 3, v[2:3]
	v_add_co_u32_e32 v2, vcc, s8, v2
	v_addc_co_u32_e32 v3, vcc, v1, v3, vcc
	global_load_dwordx4 v[2:5], v[2:3], off
	s_waitcnt vmcnt(0)
	v_sub_co_u32_e32 v4, vcc, v4, v2
	v_subb_co_u32_e32 v5, vcc, v5, v3, vcc
	v_cmp_le_i64_e32 vcc, v[4:5], v[12:13]
	s_and_saveexec_b64 s[18:19], vcc
	s_xor_b64 s[18:19], exec, s[18:19]
	s_cbranch_execz .LBB165_12
; %bb.11:
	v_mov_b32_e32 v2, 0
	v_lshlrev_b32_e32 v1, 3, v0
	v_mov_b32_e32 v3, v2
	ds_write_b64 v1, v[2:3]
                                        ; implicit-def: $vgpr2_vgpr3
.LBB165_12:
	s_andn2_saveexec_b64 s[18:19], s[18:19]
	s_cbranch_execz .LBB165_14
; %bb.13:
	v_subrev_co_u32_e32 v1, vcc, s16, v2
	v_subbrev_co_u32_e32 v3, vcc, 0, v3, vcc
	v_add_co_u32_e32 v2, vcc, v1, v12
	v_addc_co_u32_e32 v3, vcc, 0, v3, vcc
	v_lshlrev_b64 v[4:5], 3, v[2:3]
	v_mov_b32_e32 v1, s11
	v_add_co_u32_e32 v4, vcc, s10, v4
	v_addc_co_u32_e32 v5, vcc, v1, v5, vcc
	global_load_dwordx2 v[4:5], v[4:5], off
	v_lshlrev_b64 v[2:3], 2, v[2:3]
	v_mov_b32_e32 v1, s13
	v_add_co_u32_e32 v2, vcc, s12, v2
	v_addc_co_u32_e32 v3, vcc, v1, v3, vcc
	v_mov_b32_e32 v14, s15
	global_load_dword v2, v[2:3], off
	v_lshlrev_b32_e32 v1, 3, v0
	s_waitcnt vmcnt(1)
	v_subrev_co_u32_e32 v4, vcc, s16, v4
	v_subbrev_co_u32_e32 v5, vcc, 0, v5, vcc
	v_lshlrev_b64 v[4:5], 3, v[4:5]
	v_add_co_u32_e32 v4, vcc, s14, v4
	v_addc_co_u32_e32 v5, vcc, v14, v5, vcc
	global_load_dwordx2 v[4:5], v[4:5], off
	s_waitcnt vmcnt(1)
	v_pk_fma_f32 v[2:3], v[8:9], v[2:3], v[10:11] op_sel_hi:[1,0,1]
	s_waitcnt vmcnt(0)
	v_pk_mul_f32 v[14:15], v[4:5], v[2:3] op_sel:[1,1] op_sel_hi:[1,0] neg_lo:[0,1]
	v_pk_fma_f32 v[2:3], v[2:3], v[4:5], v[14:15] op_sel_hi:[1,0,1]
	ds_write_b64 v1, v[2:3]
.LBB165_14:
	s_or_b64 exec, exec, s[0:1]
	v_or_b32_e32 v1, 0x100, v0
	v_lshrrev_b32_e32 v1, s2, v1
	v_add_u32_e32 v14, s6, v1
	v_cmp_gt_u32_e32 vcc, s7, v14
	s_and_saveexec_b64 s[0:1], vcc
	s_cbranch_execz .LBB165_19
; %bb.15:
	v_mov_b32_e32 v15, 0
	v_lshlrev_b64 v[2:3], 3, v[14:15]
	v_mov_b32_e32 v1, s21
	v_add_co_u32_e32 v2, vcc, s20, v2
	v_addc_co_u32_e32 v3, vcc, v1, v3, vcc
	global_load_dwordx2 v[2:3], v[2:3], off
	v_mov_b32_e32 v1, s9
	s_waitcnt vmcnt(0)
	v_lshlrev_b64 v[2:3], 3, v[2:3]
	v_add_co_u32_e32 v2, vcc, s8, v2
	v_addc_co_u32_e32 v3, vcc, v1, v3, vcc
	global_load_dwordx4 v[2:5], v[2:3], off
	s_waitcnt vmcnt(0)
	v_sub_co_u32_e32 v4, vcc, v4, v2
	v_subb_co_u32_e32 v5, vcc, v5, v3, vcc
	v_cmp_le_i64_e32 vcc, v[4:5], v[12:13]
	s_and_saveexec_b64 s[18:19], vcc
	s_xor_b64 s[18:19], exec, s[18:19]
	s_cbranch_execz .LBB165_17
; %bb.16:
	v_lshlrev_b32_e32 v1, 3, v0
	v_mov_b32_e32 v14, v15
	ds_write_b64 v1, v[14:15] offset:2048
                                        ; implicit-def: $vgpr2_vgpr3
.LBB165_17:
	s_andn2_saveexec_b64 s[18:19], s[18:19]
	s_cbranch_execz .LBB165_19
; %bb.18:
	v_subrev_co_u32_e32 v1, vcc, s16, v2
	v_subbrev_co_u32_e32 v3, vcc, 0, v3, vcc
	v_add_co_u32_e32 v2, vcc, v1, v12
	v_addc_co_u32_e32 v3, vcc, 0, v3, vcc
	v_lshlrev_b64 v[4:5], 3, v[2:3]
	v_mov_b32_e32 v1, s11
	v_add_co_u32_e32 v4, vcc, s10, v4
	v_addc_co_u32_e32 v5, vcc, v1, v5, vcc
	global_load_dwordx2 v[4:5], v[4:5], off
	v_lshlrev_b64 v[2:3], 2, v[2:3]
	v_mov_b32_e32 v1, s13
	v_add_co_u32_e32 v2, vcc, s12, v2
	v_addc_co_u32_e32 v3, vcc, v1, v3, vcc
	v_mov_b32_e32 v14, s15
	global_load_dword v2, v[2:3], off
	v_lshlrev_b32_e32 v1, 3, v0
	s_waitcnt vmcnt(1)
	v_subrev_co_u32_e32 v4, vcc, s16, v4
	v_subbrev_co_u32_e32 v5, vcc, 0, v5, vcc
	v_lshlrev_b64 v[4:5], 3, v[4:5]
	v_add_co_u32_e32 v4, vcc, s14, v4
	v_addc_co_u32_e32 v5, vcc, v14, v5, vcc
	global_load_dwordx2 v[4:5], v[4:5], off
	s_waitcnt vmcnt(1)
	v_pk_fma_f32 v[2:3], v[8:9], v[2:3], v[10:11] op_sel_hi:[1,0,1]
	s_waitcnt vmcnt(0)
	v_pk_mul_f32 v[14:15], v[4:5], v[2:3] op_sel:[1,1] op_sel_hi:[1,0] neg_lo:[0,1]
	v_pk_fma_f32 v[2:3], v[2:3], v[4:5], v[14:15] op_sel_hi:[1,0,1]
	ds_write_b64 v1, v[2:3] offset:2048
.LBB165_19:
	s_or_b64 exec, exec, s[0:1]
	v_or_b32_e32 v1, 0x200, v0
	v_lshrrev_b32_e32 v1, s2, v1
	v_add_u32_e32 v14, s6, v1
	v_cmp_gt_u32_e32 vcc, s7, v14
	s_and_saveexec_b64 s[0:1], vcc
	s_cbranch_execz .LBB165_24
; %bb.20:
	v_mov_b32_e32 v15, 0
	v_lshlrev_b64 v[2:3], 3, v[14:15]
	v_mov_b32_e32 v1, s21
	v_add_co_u32_e32 v2, vcc, s20, v2
	v_addc_co_u32_e32 v3, vcc, v1, v3, vcc
	global_load_dwordx2 v[2:3], v[2:3], off
	v_mov_b32_e32 v1, s9
	s_waitcnt vmcnt(0)
	v_lshlrev_b64 v[2:3], 3, v[2:3]
	v_add_co_u32_e32 v2, vcc, s8, v2
	v_addc_co_u32_e32 v3, vcc, v1, v3, vcc
	global_load_dwordx4 v[2:5], v[2:3], off
	s_waitcnt vmcnt(0)
	v_sub_co_u32_e32 v4, vcc, v4, v2
	v_subb_co_u32_e32 v5, vcc, v5, v3, vcc
	v_cmp_le_i64_e32 vcc, v[4:5], v[12:13]
	s_and_saveexec_b64 s[18:19], vcc
	s_xor_b64 s[18:19], exec, s[18:19]
	s_cbranch_execz .LBB165_22
; %bb.21:
	v_lshlrev_b32_e32 v1, 3, v0
	v_mov_b32_e32 v14, v15
	ds_write_b64 v1, v[14:15] offset:4096
                                        ; implicit-def: $vgpr2_vgpr3
.LBB165_22:
	s_andn2_saveexec_b64 s[18:19], s[18:19]
	s_cbranch_execz .LBB165_24
; %bb.23:
	v_subrev_co_u32_e32 v1, vcc, s16, v2
	v_subbrev_co_u32_e32 v3, vcc, 0, v3, vcc
	v_add_co_u32_e32 v2, vcc, v1, v12
	v_addc_co_u32_e32 v3, vcc, 0, v3, vcc
	v_lshlrev_b64 v[4:5], 3, v[2:3]
	v_mov_b32_e32 v1, s11
	v_add_co_u32_e32 v4, vcc, s10, v4
	v_addc_co_u32_e32 v5, vcc, v1, v5, vcc
	global_load_dwordx2 v[4:5], v[4:5], off
	v_lshlrev_b64 v[2:3], 2, v[2:3]
	v_mov_b32_e32 v1, s13
	v_add_co_u32_e32 v2, vcc, s12, v2
	v_addc_co_u32_e32 v3, vcc, v1, v3, vcc
	v_mov_b32_e32 v14, s15
	global_load_dword v2, v[2:3], off
	v_lshlrev_b32_e32 v1, 3, v0
	s_waitcnt vmcnt(1)
	v_subrev_co_u32_e32 v4, vcc, s16, v4
	v_subbrev_co_u32_e32 v5, vcc, 0, v5, vcc
	v_lshlrev_b64 v[4:5], 3, v[4:5]
	v_add_co_u32_e32 v4, vcc, s14, v4
	v_addc_co_u32_e32 v5, vcc, v14, v5, vcc
	global_load_dwordx2 v[4:5], v[4:5], off
	s_waitcnt vmcnt(1)
	v_pk_fma_f32 v[2:3], v[8:9], v[2:3], v[10:11] op_sel_hi:[1,0,1]
	s_waitcnt vmcnt(0)
	v_pk_mul_f32 v[14:15], v[4:5], v[2:3] op_sel:[1,1] op_sel_hi:[1,0] neg_lo:[0,1]
	v_pk_fma_f32 v[2:3], v[2:3], v[4:5], v[14:15] op_sel_hi:[1,0,1]
	ds_write_b64 v1, v[2:3] offset:4096
.LBB165_24:
	s_or_b64 exec, exec, s[0:1]
	v_or_b32_e32 v1, 0x300, v0
	v_lshrrev_b32_e32 v1, s2, v1
	v_add_u32_e32 v14, s6, v1
	v_cmp_gt_u32_e32 vcc, s7, v14
	s_and_saveexec_b64 s[0:1], vcc
	s_cbranch_execz .LBB165_29
; %bb.25:
	v_mov_b32_e32 v15, 0
	v_lshlrev_b64 v[2:3], 3, v[14:15]
	v_mov_b32_e32 v1, s21
	v_add_co_u32_e32 v2, vcc, s20, v2
	v_addc_co_u32_e32 v3, vcc, v1, v3, vcc
	global_load_dwordx2 v[2:3], v[2:3], off
	v_mov_b32_e32 v1, s9
	s_waitcnt vmcnt(0)
	v_lshlrev_b64 v[2:3], 3, v[2:3]
	v_add_co_u32_e32 v2, vcc, s8, v2
	v_addc_co_u32_e32 v3, vcc, v1, v3, vcc
	global_load_dwordx4 v[2:5], v[2:3], off
	v_lshlrev_b32_e32 v1, 3, v0
	s_waitcnt vmcnt(0)
	v_sub_co_u32_e32 v4, vcc, v4, v2
	v_subb_co_u32_e32 v5, vcc, v5, v3, vcc
	v_cmp_le_i64_e32 vcc, v[4:5], v[12:13]
	s_and_saveexec_b64 s[8:9], vcc
	s_xor_b64 s[8:9], exec, s[8:9]
	s_cbranch_execz .LBB165_27
; %bb.26:
	v_mov_b32_e32 v14, v15
	ds_write_b64 v1, v[14:15] offset:6144
                                        ; implicit-def: $vgpr2_vgpr3
                                        ; implicit-def: $vgpr12_vgpr13
                                        ; implicit-def: $vgpr8_vgpr9
                                        ; implicit-def: $vgpr10_vgpr11
                                        ; implicit-def: $vgpr1
.LBB165_27:
	s_andn2_saveexec_b64 s[8:9], s[8:9]
	s_cbranch_execz .LBB165_29
; %bb.28:
	v_subrev_co_u32_e32 v2, vcc, s16, v2
	v_subbrev_co_u32_e32 v3, vcc, 0, v3, vcc
	v_add_co_u32_e32 v2, vcc, v2, v12
	v_addc_co_u32_e32 v3, vcc, 0, v3, vcc
	v_lshlrev_b64 v[4:5], 3, v[2:3]
	v_mov_b32_e32 v12, s11
	v_add_co_u32_e32 v4, vcc, s10, v4
	v_addc_co_u32_e32 v5, vcc, v12, v5, vcc
	global_load_dwordx2 v[4:5], v[4:5], off
	v_lshlrev_b64 v[2:3], 2, v[2:3]
	v_mov_b32_e32 v12, s13
	v_add_co_u32_e32 v2, vcc, s12, v2
	v_addc_co_u32_e32 v3, vcc, v12, v3, vcc
	v_mov_b32_e32 v13, s15
	global_load_dword v2, v[2:3], off
	s_waitcnt vmcnt(1)
	v_subrev_co_u32_e32 v4, vcc, s16, v4
	v_subbrev_co_u32_e32 v5, vcc, 0, v5, vcc
	v_lshlrev_b64 v[4:5], 3, v[4:5]
	v_add_co_u32_e32 v4, vcc, s14, v4
	v_addc_co_u32_e32 v5, vcc, v13, v5, vcc
	global_load_dwordx2 v[4:5], v[4:5], off
	s_waitcnt vmcnt(1)
	v_pk_fma_f32 v[2:3], v[8:9], v[2:3], v[10:11] op_sel_hi:[1,0,1]
	s_waitcnt vmcnt(0)
	v_pk_mul_f32 v[8:9], v[4:5], v[2:3] op_sel:[1,1] op_sel_hi:[1,0] neg_lo:[0,1]
	v_pk_fma_f32 v[2:3], v[2:3], v[4:5], v[8:9] op_sel_hi:[1,0,1]
	ds_write_b64 v1, v[2:3] offset:6144
.LBB165_29:
	s_or_b64 exec, exec, s[0:1]
	s_cmp_lt_u32 s2, 11
	s_waitcnt lgkmcnt(0)
	s_barrier
	s_cbranch_scc0 .LBB165_38
; %bb.30:
	s_load_dwordx2 s[4:5], s[4:5], 0x58
	s_sub_i32 s3, s7, s6
	s_mov_b32 s7, 0
	s_lshl_b64 s[0:1], s[6:7], 3
	s_add_u32 s6, s20, s0
	v_and_b32_e32 v1, 0x7fffffff, v6
	s_addc_u32 s12, s21, s1
	v_cmp_ne_u32_e32 vcc, 0, v1
	v_cmp_neq_f32_e64 s[0:1], 0, v7
	s_or_b64 s[0:1], vcc, s[0:1]
	v_xor_b32_e32 v2, 0x80000000, v7
	v_mov_b32_e32 v3, v6
	v_mov_b32_e32 v5, 0
	s_branch .LBB165_33
.LBB165_31:                             ;   in Loop: Header=BB165_33 Depth=1
	s_or_b64 exec, exec, s[10:11]
	v_mov_b32_e32 v1, s5
	v_add_co_u32_e32 v10, vcc, s4, v10
	v_addc_co_u32_e32 v11, vcc, v1, v11, vcc
	global_store_dwordx2 v[10:11], v[8:9], off
.LBB165_32:                             ;   in Loop: Header=BB165_33 Depth=1
	s_or_b64 exec, exec, s[8:9]
	s_addk_i32 s7, 0x100
	s_cmp_lt_u32 s7, s17
	s_cbranch_scc0 .LBB165_38
.LBB165_33:                             ; =>This Loop Header: Depth=1
                                        ;     Child Loop BB165_35 Depth 2
	v_add_u32_e32 v4, s7, v0
	v_cmp_gt_u32_e32 vcc, s3, v4
	s_and_saveexec_b64 s[8:9], vcc
	s_cbranch_execz .LBB165_32
; %bb.34:                               ;   in Loop: Header=BB165_33 Depth=1
	v_lshlrev_b64 v[8:9], 3, v[4:5]
	v_mov_b32_e32 v1, s12
	v_add_co_u32_e32 v8, vcc, s6, v8
	v_addc_co_u32_e32 v9, vcc, v1, v9, vcc
	global_load_dwordx2 v[10:11], v[8:9], off
	v_lshlrev_b32_e32 v1, s2, v4
	v_mov_b32_e32 v8, 0
	v_lshlrev_b32_e32 v1, 3, v1
	s_mov_b32 s10, 1
	v_mov_b32_e32 v9, v8
.LBB165_35:                             ;   Parent Loop BB165_33 Depth=1
                                        ; =>  This Inner Loop Header: Depth=2
	ds_read_b64 v[12:13], v1
	s_lshr_b32 s11, s10, s2
	s_add_i32 s10, s10, 1
	v_add_u32_e32 v1, 8, v1
	s_cmp_lg_u32 s11, 0
	s_waitcnt lgkmcnt(0)
	v_pk_add_f32 v[8:9], v[8:9], v[12:13]
	s_cbranch_scc0 .LBB165_35
; %bb.36:                               ;   in Loop: Header=BB165_33 Depth=1
	s_waitcnt vmcnt(0)
	v_lshlrev_b64 v[10:11], 3, v[10:11]
	s_and_saveexec_b64 s[10:11], s[0:1]
	s_cbranch_execz .LBB165_31
; %bb.37:                               ;   in Loop: Header=BB165_33 Depth=1
	v_mov_b32_e32 v1, s5
	v_add_co_u32_e32 v12, vcc, s4, v10
	v_addc_co_u32_e32 v13, vcc, v1, v11, vcc
	global_load_dwordx2 v[12:13], v[12:13], off
	s_waitcnt vmcnt(0)
	v_pk_fma_f32 v[8:9], v[6:7], v[12:13], v[8:9] op_sel_hi:[1,0,1]
	v_pk_fma_f32 v[8:9], v[2:3], v[12:13], v[8:9] op_sel:[0,1,0]
	s_branch .LBB165_31
.LBB165_38:
	s_endpgm
.LBB165_39:
	v_pk_mov_b32 v[2:3], s[8:9], s[8:9] op_sel:[0,1]
	flat_load_dword v9, v[2:3] offset:4
	s_and_b64 vcc, exec, s[0:1]
	v_mov_b32_e32 v6, s2
	s_cbranch_vccnz .LBB165_4
.LBB165_40:
	v_pk_mov_b32 v[2:3], s[2:3], s[2:3] op_sel:[0,1]
	flat_load_dword v6, v[2:3]
	s_and_b64 vcc, exec, s[0:1]
	v_mov_b32_e32 v7, s3
	s_cbranch_vccz .LBB165_5
	s_branch .LBB165_6
	.section	.rodata,"a",@progbits
	.p2align	6, 0x0
	.amdhsa_kernel _ZN9rocsparseL30csrmvn_lrb_short_rows_2_kernelIllf21rocsparse_complex_numIfES2_S2_EEvbT_PT0_S5_jNS_24const_host_device_scalarIT4_EEPKS3_PKS4_PKT1_PKT2_S8_PT3_21rocsparse_index_base_b
		.amdhsa_group_segment_fixed_size 8192
		.amdhsa_private_segment_fixed_size 0
		.amdhsa_kernarg_size 104
		.amdhsa_user_sgpr_count 6
		.amdhsa_user_sgpr_private_segment_buffer 1
		.amdhsa_user_sgpr_dispatch_ptr 0
		.amdhsa_user_sgpr_queue_ptr 0
		.amdhsa_user_sgpr_kernarg_segment_ptr 1
		.amdhsa_user_sgpr_dispatch_id 0
		.amdhsa_user_sgpr_flat_scratch_init 0
		.amdhsa_user_sgpr_kernarg_preload_length 0
		.amdhsa_user_sgpr_kernarg_preload_offset 0
		.amdhsa_user_sgpr_private_segment_size 0
		.amdhsa_uses_dynamic_stack 0
		.amdhsa_system_sgpr_private_segment_wavefront_offset 0
		.amdhsa_system_sgpr_workgroup_id_x 1
		.amdhsa_system_sgpr_workgroup_id_y 0
		.amdhsa_system_sgpr_workgroup_id_z 0
		.amdhsa_system_sgpr_workgroup_info 0
		.amdhsa_system_vgpr_workitem_id 0
		.amdhsa_next_free_vgpr 16
		.amdhsa_next_free_sgpr 24
		.amdhsa_accum_offset 16
		.amdhsa_reserve_vcc 1
		.amdhsa_reserve_flat_scratch 0
		.amdhsa_float_round_mode_32 0
		.amdhsa_float_round_mode_16_64 0
		.amdhsa_float_denorm_mode_32 3
		.amdhsa_float_denorm_mode_16_64 3
		.amdhsa_dx10_clamp 1
		.amdhsa_ieee_mode 1
		.amdhsa_fp16_overflow 0
		.amdhsa_tg_split 0
		.amdhsa_exception_fp_ieee_invalid_op 0
		.amdhsa_exception_fp_denorm_src 0
		.amdhsa_exception_fp_ieee_div_zero 0
		.amdhsa_exception_fp_ieee_overflow 0
		.amdhsa_exception_fp_ieee_underflow 0
		.amdhsa_exception_fp_ieee_inexact 0
		.amdhsa_exception_int_div_zero 0
	.end_amdhsa_kernel
	.section	.text._ZN9rocsparseL30csrmvn_lrb_short_rows_2_kernelIllf21rocsparse_complex_numIfES2_S2_EEvbT_PT0_S5_jNS_24const_host_device_scalarIT4_EEPKS3_PKS4_PKT1_PKT2_S8_PT3_21rocsparse_index_base_b,"axG",@progbits,_ZN9rocsparseL30csrmvn_lrb_short_rows_2_kernelIllf21rocsparse_complex_numIfES2_S2_EEvbT_PT0_S5_jNS_24const_host_device_scalarIT4_EEPKS3_PKS4_PKT1_PKT2_S8_PT3_21rocsparse_index_base_b,comdat
.Lfunc_end165:
	.size	_ZN9rocsparseL30csrmvn_lrb_short_rows_2_kernelIllf21rocsparse_complex_numIfES2_S2_EEvbT_PT0_S5_jNS_24const_host_device_scalarIT4_EEPKS3_PKS4_PKT1_PKT2_S8_PT3_21rocsparse_index_base_b, .Lfunc_end165-_ZN9rocsparseL30csrmvn_lrb_short_rows_2_kernelIllf21rocsparse_complex_numIfES2_S2_EEvbT_PT0_S5_jNS_24const_host_device_scalarIT4_EEPKS3_PKS4_PKT1_PKT2_S8_PT3_21rocsparse_index_base_b
                                        ; -- End function
	.section	.AMDGPU.csdata,"",@progbits
; Kernel info:
; codeLenInByte = 1928
; NumSgprs: 28
; NumVgprs: 16
; NumAgprs: 0
; TotalNumVgprs: 16
; ScratchSize: 0
; MemoryBound: 0
; FloatMode: 240
; IeeeMode: 1
; LDSByteSize: 8192 bytes/workgroup (compile time only)
; SGPRBlocks: 3
; VGPRBlocks: 1
; NumSGPRsForWavesPerEU: 28
; NumVGPRsForWavesPerEU: 16
; AccumOffset: 16
; Occupancy: 8
; WaveLimiterHint : 1
; COMPUTE_PGM_RSRC2:SCRATCH_EN: 0
; COMPUTE_PGM_RSRC2:USER_SGPR: 6
; COMPUTE_PGM_RSRC2:TRAP_HANDLER: 0
; COMPUTE_PGM_RSRC2:TGID_X_EN: 1
; COMPUTE_PGM_RSRC2:TGID_Y_EN: 0
; COMPUTE_PGM_RSRC2:TGID_Z_EN: 0
; COMPUTE_PGM_RSRC2:TIDIG_COMP_CNT: 0
; COMPUTE_PGM_RSRC3_GFX90A:ACCUM_OFFSET: 3
; COMPUTE_PGM_RSRC3_GFX90A:TG_SPLIT: 0
	.section	.text._ZN9rocsparseL41csrmvn_lrb_medium_rows_warp_reduce_kernelILj256ELj32Ellf21rocsparse_complex_numIfES2_S2_EEvbT1_lPT2_S5_jNS_24const_host_device_scalarIT6_EEPKS3_PKS4_PKT3_PKT4_S8_PT5_21rocsparse_index_base_b,"axG",@progbits,_ZN9rocsparseL41csrmvn_lrb_medium_rows_warp_reduce_kernelILj256ELj32Ellf21rocsparse_complex_numIfES2_S2_EEvbT1_lPT2_S5_jNS_24const_host_device_scalarIT6_EEPKS3_PKS4_PKT3_PKT4_S8_PT5_21rocsparse_index_base_b,comdat
	.globl	_ZN9rocsparseL41csrmvn_lrb_medium_rows_warp_reduce_kernelILj256ELj32Ellf21rocsparse_complex_numIfES2_S2_EEvbT1_lPT2_S5_jNS_24const_host_device_scalarIT6_EEPKS3_PKS4_PKT3_PKT4_S8_PT5_21rocsparse_index_base_b ; -- Begin function _ZN9rocsparseL41csrmvn_lrb_medium_rows_warp_reduce_kernelILj256ELj32Ellf21rocsparse_complex_numIfES2_S2_EEvbT1_lPT2_S5_jNS_24const_host_device_scalarIT6_EEPKS3_PKS4_PKT3_PKT4_S8_PT5_21rocsparse_index_base_b
	.p2align	8
	.type	_ZN9rocsparseL41csrmvn_lrb_medium_rows_warp_reduce_kernelILj256ELj32Ellf21rocsparse_complex_numIfES2_S2_EEvbT1_lPT2_S5_jNS_24const_host_device_scalarIT6_EEPKS3_PKS4_PKT3_PKT4_S8_PT5_21rocsparse_index_base_b,@function
_ZN9rocsparseL41csrmvn_lrb_medium_rows_warp_reduce_kernelILj256ELj32Ellf21rocsparse_complex_numIfES2_S2_EEvbT1_lPT2_S5_jNS_24const_host_device_scalarIT6_EEPKS3_PKS4_PKT3_PKT4_S8_PT5_21rocsparse_index_base_b: ; @_ZN9rocsparseL41csrmvn_lrb_medium_rows_warp_reduce_kernelILj256ELj32Ellf21rocsparse_complex_numIfES2_S2_EEvbT1_lPT2_S5_jNS_24const_host_device_scalarIT6_EEPKS3_PKS4_PKT3_PKT4_S8_PT5_21rocsparse_index_base_b
; %bb.0:
	s_load_dwordx2 s[2:3], s[4:5], 0x68
	s_load_dwordx2 s[10:11], s[4:5], 0x30
	s_load_dwordx2 s[8:9], s[4:5], 0x58
	s_waitcnt lgkmcnt(0)
	s_bitcmp1_b32 s3, 0
	s_cselect_b64 s[0:1], -1, 0
	s_xor_b64 s[12:13], s[0:1], -1
	s_and_b64 vcc, exec, s[0:1]
	v_mov_b32_e32 v4, s10
	s_cbranch_vccnz .LBB166_2
; %bb.1:
	v_pk_mov_b32 v[2:3], s[10:11], s[10:11] op_sel:[0,1]
	flat_load_dword v4, v[2:3]
.LBB166_2:
	v_cndmask_b32_e64 v1, 0, 1, s[12:13]
	v_cmp_ne_u32_e64 s[0:1], 1, v1
	s_andn2_b64 vcc, exec, s[12:13]
	v_mov_b32_e32 v5, s11
	s_cbranch_vccz .LBB166_19
; %bb.3:
	s_and_b64 vcc, exec, s[0:1]
	v_mov_b32_e32 v2, s8
	s_cbranch_vccz .LBB166_20
.LBB166_4:
	s_and_b64 vcc, exec, s[0:1]
	v_mov_b32_e32 v3, s9
	s_cbranch_vccnz .LBB166_6
.LBB166_5:
	v_pk_mov_b32 v[6:7], s[8:9], s[8:9] op_sel:[0,1]
	flat_load_dword v3, v[6:7] offset:4
.LBB166_6:
	s_waitcnt vmcnt(0) lgkmcnt(0)
	v_or_b32_e32 v1, v4, v5
	v_and_b32_e32 v1, 0x7fffffff, v1
	v_cmp_eq_u32_e32 vcc, 0, v1
	s_mov_b64 s[0:1], -1
	s_and_saveexec_b64 s[8:9], vcc
; %bb.7:
	v_and_b32_e32 v1, 0x7fffffff, v3
	v_cmp_neq_f32_e32 vcc, 1.0, v2
	v_cmp_ne_u32_e64 s[0:1], 0, v1
	s_or_b64 s[0:1], vcc, s[0:1]
	s_orn2_b64 s[0:1], s[0:1], exec
; %bb.8:
	s_or_b64 exec, exec, s[8:9]
	s_and_saveexec_b64 s[8:9], s[0:1]
	s_cbranch_execz .LBB166_18
; %bb.9:
	s_load_dwordx2 s[0:1], s[4:5], 0x10
	v_lshrrev_b32_e32 v1, 5, v0
	v_lshl_or_b32 v6, s6, 3, v1
	v_ashrrev_i32_e32 v7, 31, v6
	s_waitcnt lgkmcnt(0)
	v_cmp_gt_i64_e32 vcc, s[0:1], v[6:7]
	s_and_b64 exec, exec, vcc
	s_cbranch_execz .LBB166_18
; %bb.10:
	s_load_dword s6, s[4:5], 0x28
	s_load_dwordx4 s[8:11], s[4:5], 0x18
	s_mov_b32 s0, 0
	s_mov_b32 s7, s0
	v_lshlrev_b64 v[6:7], 3, v[6:7]
	s_waitcnt lgkmcnt(0)
	s_lshl_b64 s[6:7], s[6:7], 3
	s_add_u32 s6, s10, s6
	s_addc_u32 s7, s11, s7
	s_load_dwordx2 s[6:7], s[6:7], 0x0
	v_and_b32_e32 v18, 31, v0
	v_mov_b32_e32 v11, 0
	v_mov_b32_e32 v10, v11
	s_waitcnt lgkmcnt(0)
	s_lshl_b64 s[6:7], s[6:7], 3
	s_add_u32 s1, s8, s6
	s_addc_u32 s3, s9, s7
	v_mov_b32_e32 v1, s3
	v_add_co_u32_e32 v6, vcc, s1, v6
	v_addc_co_u32_e32 v7, vcc, v1, v7, vcc
	global_load_dwordx2 v[6:7], v[6:7], off
	s_load_dwordx2 s[6:7], s[4:5], 0x38
	s_waitcnt lgkmcnt(0)
	v_mov_b32_e32 v1, s7
	s_waitcnt vmcnt(0)
	v_lshlrev_b64 v[6:7], 3, v[6:7]
	v_add_co_u32_e32 v8, vcc, s6, v6
	v_addc_co_u32_e32 v9, vcc, v1, v7, vcc
	global_load_dwordx4 v[12:15], v[8:9], off
	v_subrev_co_u32_e32 v8, vcc, s2, v18
	s_load_dwordx2 s[6:7], s[4:5], 0x60
	v_subb_co_u32_e64 v9, s[8:9], 0, 0, vcc
	s_waitcnt vmcnt(0)
	v_subrev_co_u32_e32 v0, vcc, s2, v14
	v_subbrev_co_u32_e32 v1, vcc, 0, v15, vcc
	v_add_co_u32_e32 v8, vcc, v12, v8
	v_addc_co_u32_e32 v9, vcc, v13, v9, vcc
	v_cmp_lt_i64_e32 vcc, v[8:9], v[0:1]
	s_and_saveexec_b64 s[8:9], vcc
	s_cbranch_execz .LBB166_14
; %bb.11:
	s_load_dwordx4 s[12:15], s[4:5], 0x40
	s_load_dwordx2 s[10:11], s[4:5], 0x50
	s_brev_b32 s5, 1
	s_mov_b32 s4, s0
	v_pk_mul_f32 v[10:11], v[4:5], s[4:5]
	v_mov_b32_e32 v12, v11
	v_mov_b32_e32 v13, v10
	v_lshlrev_b64 v[10:11], 2, v[8:9]
	s_waitcnt lgkmcnt(0)
	v_mov_b32_e32 v15, s15
	v_add_co_u32_e32 v14, vcc, s14, v10
	v_addc_co_u32_e32 v15, vcc, v15, v11, vcc
	v_lshlrev_b64 v[10:11], 3, v[8:9]
	v_mov_b32_e32 v17, s13
	v_add_co_u32_e32 v16, vcc, s12, v10
	v_addc_co_u32_e32 v17, vcc, v17, v11, vcc
	v_mov_b32_e32 v11, 0
	s_mov_b64 s[4:5], 0
	v_mov_b32_e32 v19, s0
	v_mov_b32_e32 v20, s11
	;; [unrolled: 1-line block ×3, first 2 shown]
.LBB166_12:                             ; =>This Inner Loop Header: Depth=1
	global_load_dwordx2 v[22:23], v[16:17], off
	global_load_dword v24, v[14:15], off
	s_waitcnt vmcnt(1)
	v_subrev_co_u32_e32 v22, vcc, s2, v22
	v_subb_co_u32_e32 v23, vcc, v23, v19, vcc
	v_lshlrev_b64 v[22:23], 3, v[22:23]
	v_add_co_u32_e32 v22, vcc, s10, v22
	v_addc_co_u32_e32 v23, vcc, v20, v23, vcc
	global_load_dwordx2 v[22:23], v[22:23], off
	v_add_co_u32_e32 v8, vcc, 32, v8
	v_addc_co_u32_e32 v9, vcc, 0, v9, vcc
	v_add_co_u32_e32 v14, vcc, 0x80, v14
	v_addc_co_u32_e32 v15, vcc, 0, v15, vcc
	s_waitcnt vmcnt(1)
	v_pk_fma_f32 v[24:25], v[4:5], v[24:25], v[12:13] op_sel_hi:[1,0,1]
	v_add_co_u32_e32 v16, vcc, 0x100, v16
	v_cmp_ge_i64_e64 s[0:1], v[8:9], v[0:1]
	v_addc_co_u32_e32 v17, vcc, 0, v17, vcc
	s_or_b64 s[4:5], s[0:1], s[4:5]
	s_waitcnt vmcnt(0)
	v_pk_fma_f32 v[10:11], v[24:25], v[22:23], v[10:11] op_sel_hi:[1,0,1]
	v_pk_fma_f32 v[10:11], v[24:25], v[22:23], v[10:11] op_sel:[1,1,0] op_sel_hi:[0,1,1] neg_lo:[1,0,0]
	s_andn2_b64 exec, exec, s[4:5]
	s_cbranch_execnz .LBB166_12
; %bb.13:
	s_or_b64 exec, exec, s[4:5]
.LBB166_14:
	s_or_b64 exec, exec, s[8:9]
	v_mov_b32_dpp v0, v10 row_shr:1 row_mask:0xf bank_mask:0xf
	v_mov_b32_dpp v1, v11 row_shr:1 row_mask:0xf bank_mask:0xf
	v_pk_add_f32 v[0:1], v[10:11], v[0:1]
	v_cmp_eq_u32_e32 vcc, 31, v18
	s_nop 0
	v_mov_b32_dpp v4, v0 row_shr:2 row_mask:0xf bank_mask:0xf
	v_mov_b32_dpp v5, v1 row_shr:2 row_mask:0xf bank_mask:0xf
	v_pk_add_f32 v[0:1], v[0:1], v[4:5]
	s_nop 1
	v_mov_b32_dpp v4, v0 row_shr:4 row_mask:0xf bank_mask:0xe
	v_mov_b32_dpp v5, v1 row_shr:4 row_mask:0xf bank_mask:0xe
	v_pk_add_f32 v[0:1], v[0:1], v[4:5]
	s_nop 1
	v_mov_b32_dpp v4, v0 row_shr:8 row_mask:0xf bank_mask:0xc
	v_mov_b32_dpp v5, v1 row_shr:8 row_mask:0xf bank_mask:0xc
	v_pk_add_f32 v[0:1], v[0:1], v[4:5]
	s_nop 1
	v_mov_b32_dpp v4, v0 row_bcast:15 row_mask:0xa bank_mask:0xf
	v_mov_b32_dpp v5, v1 row_bcast:15 row_mask:0xa bank_mask:0xf
	s_and_b64 exec, exec, vcc
	s_cbranch_execz .LBB166_18
; %bb.15:
	v_pk_add_f32 v[0:1], v[0:1], v[4:5]
	v_and_b32_e32 v4, 0x7fffffff, v2
	v_cmp_ne_u32_e32 vcc, 0, v4
	v_cmp_neq_f32_e64 s[0:1], 0, v3
	s_or_b64 s[2:3], vcc, s[0:1]
	s_and_saveexec_b64 s[0:1], s[2:3]
	s_cbranch_execz .LBB166_17
; %bb.16:
	s_waitcnt lgkmcnt(0)
	v_mov_b32_e32 v5, s7
	v_add_co_u32_e32 v4, vcc, s6, v6
	v_addc_co_u32_e32 v5, vcc, v5, v7, vcc
	global_load_dwordx2 v[4:5], v[4:5], off
	v_xor_b32_e32 v8, 0x80000000, v3
	v_mov_b32_e32 v9, v2
	s_waitcnt vmcnt(0)
	v_pk_fma_f32 v[0:1], v[2:3], v[4:5], v[0:1] op_sel_hi:[1,0,1]
	v_pk_fma_f32 v[0:1], v[8:9], v[4:5], v[0:1] op_sel:[0,1,0]
.LBB166_17:
	s_or_b64 exec, exec, s[0:1]
	s_waitcnt lgkmcnt(0)
	v_mov_b32_e32 v3, s7
	v_add_co_u32_e32 v2, vcc, s6, v6
	v_addc_co_u32_e32 v3, vcc, v3, v7, vcc
	global_store_dwordx2 v[2:3], v[0:1], off
.LBB166_18:
	s_endpgm
.LBB166_19:
	v_pk_mov_b32 v[2:3], s[10:11], s[10:11] op_sel:[0,1]
	flat_load_dword v5, v[2:3] offset:4
	s_and_b64 vcc, exec, s[0:1]
	v_mov_b32_e32 v2, s8
	s_cbranch_vccnz .LBB166_4
.LBB166_20:
	v_pk_mov_b32 v[2:3], s[8:9], s[8:9] op_sel:[0,1]
	flat_load_dword v2, v[2:3]
	s_and_b64 vcc, exec, s[0:1]
	v_mov_b32_e32 v3, s9
	s_cbranch_vccz .LBB166_5
	s_branch .LBB166_6
	.section	.rodata,"a",@progbits
	.p2align	6, 0x0
	.amdhsa_kernel _ZN9rocsparseL41csrmvn_lrb_medium_rows_warp_reduce_kernelILj256ELj32Ellf21rocsparse_complex_numIfES2_S2_EEvbT1_lPT2_S5_jNS_24const_host_device_scalarIT6_EEPKS3_PKS4_PKT3_PKT4_S8_PT5_21rocsparse_index_base_b
		.amdhsa_group_segment_fixed_size 0
		.amdhsa_private_segment_fixed_size 0
		.amdhsa_kernarg_size 112
		.amdhsa_user_sgpr_count 6
		.amdhsa_user_sgpr_private_segment_buffer 1
		.amdhsa_user_sgpr_dispatch_ptr 0
		.amdhsa_user_sgpr_queue_ptr 0
		.amdhsa_user_sgpr_kernarg_segment_ptr 1
		.amdhsa_user_sgpr_dispatch_id 0
		.amdhsa_user_sgpr_flat_scratch_init 0
		.amdhsa_user_sgpr_kernarg_preload_length 0
		.amdhsa_user_sgpr_kernarg_preload_offset 0
		.amdhsa_user_sgpr_private_segment_size 0
		.amdhsa_uses_dynamic_stack 0
		.amdhsa_system_sgpr_private_segment_wavefront_offset 0
		.amdhsa_system_sgpr_workgroup_id_x 1
		.amdhsa_system_sgpr_workgroup_id_y 0
		.amdhsa_system_sgpr_workgroup_id_z 0
		.amdhsa_system_sgpr_workgroup_info 0
		.amdhsa_system_vgpr_workitem_id 0
		.amdhsa_next_free_vgpr 26
		.amdhsa_next_free_sgpr 16
		.amdhsa_accum_offset 28
		.amdhsa_reserve_vcc 1
		.amdhsa_reserve_flat_scratch 0
		.amdhsa_float_round_mode_32 0
		.amdhsa_float_round_mode_16_64 0
		.amdhsa_float_denorm_mode_32 3
		.amdhsa_float_denorm_mode_16_64 3
		.amdhsa_dx10_clamp 1
		.amdhsa_ieee_mode 1
		.amdhsa_fp16_overflow 0
		.amdhsa_tg_split 0
		.amdhsa_exception_fp_ieee_invalid_op 0
		.amdhsa_exception_fp_denorm_src 0
		.amdhsa_exception_fp_ieee_div_zero 0
		.amdhsa_exception_fp_ieee_overflow 0
		.amdhsa_exception_fp_ieee_underflow 0
		.amdhsa_exception_fp_ieee_inexact 0
		.amdhsa_exception_int_div_zero 0
	.end_amdhsa_kernel
	.section	.text._ZN9rocsparseL41csrmvn_lrb_medium_rows_warp_reduce_kernelILj256ELj32Ellf21rocsparse_complex_numIfES2_S2_EEvbT1_lPT2_S5_jNS_24const_host_device_scalarIT6_EEPKS3_PKS4_PKT3_PKT4_S8_PT5_21rocsparse_index_base_b,"axG",@progbits,_ZN9rocsparseL41csrmvn_lrb_medium_rows_warp_reduce_kernelILj256ELj32Ellf21rocsparse_complex_numIfES2_S2_EEvbT1_lPT2_S5_jNS_24const_host_device_scalarIT6_EEPKS3_PKS4_PKT3_PKT4_S8_PT5_21rocsparse_index_base_b,comdat
.Lfunc_end166:
	.size	_ZN9rocsparseL41csrmvn_lrb_medium_rows_warp_reduce_kernelILj256ELj32Ellf21rocsparse_complex_numIfES2_S2_EEvbT1_lPT2_S5_jNS_24const_host_device_scalarIT6_EEPKS3_PKS4_PKT3_PKT4_S8_PT5_21rocsparse_index_base_b, .Lfunc_end166-_ZN9rocsparseL41csrmvn_lrb_medium_rows_warp_reduce_kernelILj256ELj32Ellf21rocsparse_complex_numIfES2_S2_EEvbT1_lPT2_S5_jNS_24const_host_device_scalarIT6_EEPKS3_PKS4_PKT3_PKT4_S8_PT5_21rocsparse_index_base_b
                                        ; -- End function
	.section	.AMDGPU.csdata,"",@progbits
; Kernel info:
; codeLenInByte = 1020
; NumSgprs: 20
; NumVgprs: 26
; NumAgprs: 0
; TotalNumVgprs: 26
; ScratchSize: 0
; MemoryBound: 0
; FloatMode: 240
; IeeeMode: 1
; LDSByteSize: 0 bytes/workgroup (compile time only)
; SGPRBlocks: 2
; VGPRBlocks: 3
; NumSGPRsForWavesPerEU: 20
; NumVGPRsForWavesPerEU: 26
; AccumOffset: 28
; Occupancy: 8
; WaveLimiterHint : 1
; COMPUTE_PGM_RSRC2:SCRATCH_EN: 0
; COMPUTE_PGM_RSRC2:USER_SGPR: 6
; COMPUTE_PGM_RSRC2:TRAP_HANDLER: 0
; COMPUTE_PGM_RSRC2:TGID_X_EN: 1
; COMPUTE_PGM_RSRC2:TGID_Y_EN: 0
; COMPUTE_PGM_RSRC2:TGID_Z_EN: 0
; COMPUTE_PGM_RSRC2:TIDIG_COMP_CNT: 0
; COMPUTE_PGM_RSRC3_GFX90A:ACCUM_OFFSET: 6
; COMPUTE_PGM_RSRC3_GFX90A:TG_SPLIT: 0
	.section	.text._ZN9rocsparseL41csrmvn_lrb_medium_rows_warp_reduce_kernelILj256ELj64Ellf21rocsparse_complex_numIfES2_S2_EEvbT1_lPT2_S5_jNS_24const_host_device_scalarIT6_EEPKS3_PKS4_PKT3_PKT4_S8_PT5_21rocsparse_index_base_b,"axG",@progbits,_ZN9rocsparseL41csrmvn_lrb_medium_rows_warp_reduce_kernelILj256ELj64Ellf21rocsparse_complex_numIfES2_S2_EEvbT1_lPT2_S5_jNS_24const_host_device_scalarIT6_EEPKS3_PKS4_PKT3_PKT4_S8_PT5_21rocsparse_index_base_b,comdat
	.globl	_ZN9rocsparseL41csrmvn_lrb_medium_rows_warp_reduce_kernelILj256ELj64Ellf21rocsparse_complex_numIfES2_S2_EEvbT1_lPT2_S5_jNS_24const_host_device_scalarIT6_EEPKS3_PKS4_PKT3_PKT4_S8_PT5_21rocsparse_index_base_b ; -- Begin function _ZN9rocsparseL41csrmvn_lrb_medium_rows_warp_reduce_kernelILj256ELj64Ellf21rocsparse_complex_numIfES2_S2_EEvbT1_lPT2_S5_jNS_24const_host_device_scalarIT6_EEPKS3_PKS4_PKT3_PKT4_S8_PT5_21rocsparse_index_base_b
	.p2align	8
	.type	_ZN9rocsparseL41csrmvn_lrb_medium_rows_warp_reduce_kernelILj256ELj64Ellf21rocsparse_complex_numIfES2_S2_EEvbT1_lPT2_S5_jNS_24const_host_device_scalarIT6_EEPKS3_PKS4_PKT3_PKT4_S8_PT5_21rocsparse_index_base_b,@function
_ZN9rocsparseL41csrmvn_lrb_medium_rows_warp_reduce_kernelILj256ELj64Ellf21rocsparse_complex_numIfES2_S2_EEvbT1_lPT2_S5_jNS_24const_host_device_scalarIT6_EEPKS3_PKS4_PKT3_PKT4_S8_PT5_21rocsparse_index_base_b: ; @_ZN9rocsparseL41csrmvn_lrb_medium_rows_warp_reduce_kernelILj256ELj64Ellf21rocsparse_complex_numIfES2_S2_EEvbT1_lPT2_S5_jNS_24const_host_device_scalarIT6_EEPKS3_PKS4_PKT3_PKT4_S8_PT5_21rocsparse_index_base_b
; %bb.0:
	s_load_dwordx2 s[2:3], s[4:5], 0x68
	s_load_dwordx2 s[10:11], s[4:5], 0x30
	;; [unrolled: 1-line block ×3, first 2 shown]
	s_waitcnt lgkmcnt(0)
	s_bitcmp1_b32 s3, 0
	s_cselect_b64 s[0:1], -1, 0
	s_xor_b64 s[12:13], s[0:1], -1
	s_and_b64 vcc, exec, s[0:1]
	v_mov_b32_e32 v4, s10
	s_cbranch_vccnz .LBB167_2
; %bb.1:
	v_pk_mov_b32 v[2:3], s[10:11], s[10:11] op_sel:[0,1]
	flat_load_dword v4, v[2:3]
.LBB167_2:
	v_cndmask_b32_e64 v1, 0, 1, s[12:13]
	v_cmp_ne_u32_e64 s[0:1], 1, v1
	s_andn2_b64 vcc, exec, s[12:13]
	v_mov_b32_e32 v5, s11
	s_cbranch_vccz .LBB167_19
; %bb.3:
	s_and_b64 vcc, exec, s[0:1]
	v_mov_b32_e32 v2, s8
	s_cbranch_vccz .LBB167_20
.LBB167_4:
	s_and_b64 vcc, exec, s[0:1]
	v_mov_b32_e32 v3, s9
	s_cbranch_vccnz .LBB167_6
.LBB167_5:
	v_pk_mov_b32 v[6:7], s[8:9], s[8:9] op_sel:[0,1]
	flat_load_dword v3, v[6:7] offset:4
.LBB167_6:
	s_waitcnt vmcnt(0) lgkmcnt(0)
	v_or_b32_e32 v1, v4, v5
	v_and_b32_e32 v1, 0x7fffffff, v1
	v_cmp_eq_u32_e32 vcc, 0, v1
	s_mov_b64 s[0:1], -1
	s_and_saveexec_b64 s[8:9], vcc
; %bb.7:
	v_and_b32_e32 v1, 0x7fffffff, v3
	v_cmp_neq_f32_e32 vcc, 1.0, v2
	v_cmp_ne_u32_e64 s[0:1], 0, v1
	s_or_b64 s[0:1], vcc, s[0:1]
	s_orn2_b64 s[0:1], s[0:1], exec
; %bb.8:
	s_or_b64 exec, exec, s[8:9]
	s_and_saveexec_b64 s[8:9], s[0:1]
	s_cbranch_execz .LBB167_18
; %bb.9:
	s_load_dwordx2 s[0:1], s[4:5], 0x10
	v_lshrrev_b32_e32 v1, 6, v0
	v_lshl_or_b32 v6, s6, 2, v1
	v_ashrrev_i32_e32 v7, 31, v6
	s_waitcnt lgkmcnt(0)
	v_cmp_gt_i64_e32 vcc, s[0:1], v[6:7]
	s_and_b64 exec, exec, vcc
	s_cbranch_execz .LBB167_18
; %bb.10:
	s_load_dword s6, s[4:5], 0x28
	s_load_dwordx4 s[8:11], s[4:5], 0x18
	s_mov_b32 s0, 0
	s_mov_b32 s7, s0
	v_lshlrev_b64 v[6:7], 3, v[6:7]
	s_waitcnt lgkmcnt(0)
	s_lshl_b64 s[6:7], s[6:7], 3
	s_add_u32 s6, s10, s6
	s_addc_u32 s7, s11, s7
	s_load_dwordx2 s[6:7], s[6:7], 0x0
	v_and_b32_e32 v18, 63, v0
	v_mov_b32_e32 v11, 0
	v_mov_b32_e32 v10, v11
	s_waitcnt lgkmcnt(0)
	s_lshl_b64 s[6:7], s[6:7], 3
	s_add_u32 s1, s8, s6
	s_addc_u32 s3, s9, s7
	v_mov_b32_e32 v1, s3
	v_add_co_u32_e32 v6, vcc, s1, v6
	v_addc_co_u32_e32 v7, vcc, v1, v7, vcc
	global_load_dwordx2 v[6:7], v[6:7], off
	s_load_dwordx2 s[6:7], s[4:5], 0x38
	s_waitcnt lgkmcnt(0)
	v_mov_b32_e32 v1, s7
	s_waitcnt vmcnt(0)
	v_lshlrev_b64 v[6:7], 3, v[6:7]
	v_add_co_u32_e32 v8, vcc, s6, v6
	v_addc_co_u32_e32 v9, vcc, v1, v7, vcc
	global_load_dwordx4 v[12:15], v[8:9], off
	v_subrev_co_u32_e32 v8, vcc, s2, v18
	s_load_dwordx2 s[6:7], s[4:5], 0x60
	v_subb_co_u32_e64 v9, s[8:9], 0, 0, vcc
	s_waitcnt vmcnt(0)
	v_subrev_co_u32_e32 v0, vcc, s2, v14
	v_subbrev_co_u32_e32 v1, vcc, 0, v15, vcc
	v_add_co_u32_e32 v8, vcc, v12, v8
	v_addc_co_u32_e32 v9, vcc, v13, v9, vcc
	v_cmp_lt_i64_e32 vcc, v[8:9], v[0:1]
	s_and_saveexec_b64 s[8:9], vcc
	s_cbranch_execz .LBB167_14
; %bb.11:
	s_load_dwordx4 s[12:15], s[4:5], 0x40
	s_load_dwordx2 s[10:11], s[4:5], 0x50
	s_brev_b32 s5, 1
	s_mov_b32 s4, s0
	v_pk_mul_f32 v[10:11], v[4:5], s[4:5]
	v_mov_b32_e32 v12, v11
	v_mov_b32_e32 v13, v10
	v_lshlrev_b64 v[10:11], 2, v[8:9]
	s_waitcnt lgkmcnt(0)
	v_mov_b32_e32 v15, s15
	v_add_co_u32_e32 v14, vcc, s14, v10
	v_addc_co_u32_e32 v15, vcc, v15, v11, vcc
	v_lshlrev_b64 v[10:11], 3, v[8:9]
	v_mov_b32_e32 v17, s13
	v_add_co_u32_e32 v16, vcc, s12, v10
	v_mov_b32_e32 v10, 0
	v_addc_co_u32_e32 v17, vcc, v17, v11, vcc
	s_mov_b64 s[4:5], 0
	v_mov_b32_e32 v19, s0
	v_mov_b32_e32 v20, s11
	;; [unrolled: 1-line block ×3, first 2 shown]
.LBB167_12:                             ; =>This Inner Loop Header: Depth=1
	global_load_dwordx2 v[22:23], v[16:17], off
	global_load_dword v24, v[14:15], off
	s_waitcnt vmcnt(1)
	v_subrev_co_u32_e32 v22, vcc, s2, v22
	v_subb_co_u32_e32 v23, vcc, v23, v19, vcc
	v_lshlrev_b64 v[22:23], 3, v[22:23]
	v_add_co_u32_e32 v22, vcc, s10, v22
	v_addc_co_u32_e32 v23, vcc, v20, v23, vcc
	global_load_dwordx2 v[22:23], v[22:23], off
	v_add_co_u32_e32 v8, vcc, 64, v8
	v_addc_co_u32_e32 v9, vcc, 0, v9, vcc
	v_add_co_u32_e32 v14, vcc, 0x100, v14
	v_addc_co_u32_e32 v15, vcc, 0, v15, vcc
	s_waitcnt vmcnt(1)
	v_pk_fma_f32 v[24:25], v[4:5], v[24:25], v[12:13] op_sel_hi:[1,0,1]
	v_add_co_u32_e32 v16, vcc, 0x200, v16
	v_cmp_ge_i64_e64 s[0:1], v[8:9], v[0:1]
	v_addc_co_u32_e32 v17, vcc, 0, v17, vcc
	s_or_b64 s[4:5], s[0:1], s[4:5]
	s_waitcnt vmcnt(0)
	v_pk_fma_f32 v[10:11], v[24:25], v[22:23], v[10:11] op_sel_hi:[1,0,1]
	v_pk_fma_f32 v[10:11], v[24:25], v[22:23], v[10:11] op_sel:[1,1,0] op_sel_hi:[0,1,1] neg_lo:[1,0,0]
	s_andn2_b64 exec, exec, s[4:5]
	s_cbranch_execnz .LBB167_12
; %bb.13:
	s_or_b64 exec, exec, s[4:5]
.LBB167_14:
	s_or_b64 exec, exec, s[8:9]
	v_mov_b32_dpp v0, v10 row_shr:1 row_mask:0xf bank_mask:0xf
	v_mov_b32_dpp v1, v11 row_shr:1 row_mask:0xf bank_mask:0xf
	v_pk_add_f32 v[0:1], v[10:11], v[0:1]
	v_cmp_eq_u32_e32 vcc, 63, v18
	s_nop 0
	v_mov_b32_dpp v4, v0 row_shr:2 row_mask:0xf bank_mask:0xf
	v_mov_b32_dpp v5, v1 row_shr:2 row_mask:0xf bank_mask:0xf
	v_pk_add_f32 v[0:1], v[0:1], v[4:5]
	s_nop 1
	v_mov_b32_dpp v4, v0 row_shr:4 row_mask:0xf bank_mask:0xe
	v_mov_b32_dpp v5, v1 row_shr:4 row_mask:0xf bank_mask:0xe
	v_pk_add_f32 v[0:1], v[0:1], v[4:5]
	;; [unrolled: 4-line block ×3, first 2 shown]
	s_nop 1
	v_mov_b32_dpp v4, v0 row_bcast:15 row_mask:0xa bank_mask:0xf
	v_mov_b32_dpp v5, v1 row_bcast:15 row_mask:0xa bank_mask:0xf
	v_pk_add_f32 v[0:1], v[0:1], v[4:5]
	s_nop 1
	v_mov_b32_dpp v4, v0 row_bcast:31 row_mask:0xc bank_mask:0xf
	v_mov_b32_dpp v5, v1 row_bcast:31 row_mask:0xc bank_mask:0xf
	s_and_b64 exec, exec, vcc
	s_cbranch_execz .LBB167_18
; %bb.15:
	v_pk_add_f32 v[0:1], v[0:1], v[4:5]
	v_and_b32_e32 v4, 0x7fffffff, v2
	v_cmp_ne_u32_e32 vcc, 0, v4
	v_cmp_neq_f32_e64 s[0:1], 0, v3
	s_or_b64 s[2:3], vcc, s[0:1]
	s_and_saveexec_b64 s[0:1], s[2:3]
	s_cbranch_execz .LBB167_17
; %bb.16:
	s_waitcnt lgkmcnt(0)
	v_mov_b32_e32 v5, s7
	v_add_co_u32_e32 v4, vcc, s6, v6
	v_addc_co_u32_e32 v5, vcc, v5, v7, vcc
	global_load_dwordx2 v[4:5], v[4:5], off
	v_xor_b32_e32 v8, 0x80000000, v3
	v_mov_b32_e32 v9, v2
	s_waitcnt vmcnt(0)
	v_pk_fma_f32 v[0:1], v[2:3], v[4:5], v[0:1] op_sel_hi:[1,0,1]
	v_pk_fma_f32 v[0:1], v[8:9], v[4:5], v[0:1] op_sel:[0,1,0]
.LBB167_17:
	s_or_b64 exec, exec, s[0:1]
	s_waitcnt lgkmcnt(0)
	v_mov_b32_e32 v3, s7
	v_add_co_u32_e32 v2, vcc, s6, v6
	v_addc_co_u32_e32 v3, vcc, v3, v7, vcc
	global_store_dwordx2 v[2:3], v[0:1], off
.LBB167_18:
	s_endpgm
.LBB167_19:
	v_pk_mov_b32 v[2:3], s[10:11], s[10:11] op_sel:[0,1]
	flat_load_dword v5, v[2:3] offset:4
	s_and_b64 vcc, exec, s[0:1]
	v_mov_b32_e32 v2, s8
	s_cbranch_vccnz .LBB167_4
.LBB167_20:
	v_pk_mov_b32 v[2:3], s[8:9], s[8:9] op_sel:[0,1]
	flat_load_dword v2, v[2:3]
	s_and_b64 vcc, exec, s[0:1]
	v_mov_b32_e32 v3, s9
	s_cbranch_vccz .LBB167_5
	s_branch .LBB167_6
	.section	.rodata,"a",@progbits
	.p2align	6, 0x0
	.amdhsa_kernel _ZN9rocsparseL41csrmvn_lrb_medium_rows_warp_reduce_kernelILj256ELj64Ellf21rocsparse_complex_numIfES2_S2_EEvbT1_lPT2_S5_jNS_24const_host_device_scalarIT6_EEPKS3_PKS4_PKT3_PKT4_S8_PT5_21rocsparse_index_base_b
		.amdhsa_group_segment_fixed_size 0
		.amdhsa_private_segment_fixed_size 0
		.amdhsa_kernarg_size 112
		.amdhsa_user_sgpr_count 6
		.amdhsa_user_sgpr_private_segment_buffer 1
		.amdhsa_user_sgpr_dispatch_ptr 0
		.amdhsa_user_sgpr_queue_ptr 0
		.amdhsa_user_sgpr_kernarg_segment_ptr 1
		.amdhsa_user_sgpr_dispatch_id 0
		.amdhsa_user_sgpr_flat_scratch_init 0
		.amdhsa_user_sgpr_kernarg_preload_length 0
		.amdhsa_user_sgpr_kernarg_preload_offset 0
		.amdhsa_user_sgpr_private_segment_size 0
		.amdhsa_uses_dynamic_stack 0
		.amdhsa_system_sgpr_private_segment_wavefront_offset 0
		.amdhsa_system_sgpr_workgroup_id_x 1
		.amdhsa_system_sgpr_workgroup_id_y 0
		.amdhsa_system_sgpr_workgroup_id_z 0
		.amdhsa_system_sgpr_workgroup_info 0
		.amdhsa_system_vgpr_workitem_id 0
		.amdhsa_next_free_vgpr 26
		.amdhsa_next_free_sgpr 16
		.amdhsa_accum_offset 28
		.amdhsa_reserve_vcc 1
		.amdhsa_reserve_flat_scratch 0
		.amdhsa_float_round_mode_32 0
		.amdhsa_float_round_mode_16_64 0
		.amdhsa_float_denorm_mode_32 3
		.amdhsa_float_denorm_mode_16_64 3
		.amdhsa_dx10_clamp 1
		.amdhsa_ieee_mode 1
		.amdhsa_fp16_overflow 0
		.amdhsa_tg_split 0
		.amdhsa_exception_fp_ieee_invalid_op 0
		.amdhsa_exception_fp_denorm_src 0
		.amdhsa_exception_fp_ieee_div_zero 0
		.amdhsa_exception_fp_ieee_overflow 0
		.amdhsa_exception_fp_ieee_underflow 0
		.amdhsa_exception_fp_ieee_inexact 0
		.amdhsa_exception_int_div_zero 0
	.end_amdhsa_kernel
	.section	.text._ZN9rocsparseL41csrmvn_lrb_medium_rows_warp_reduce_kernelILj256ELj64Ellf21rocsparse_complex_numIfES2_S2_EEvbT1_lPT2_S5_jNS_24const_host_device_scalarIT6_EEPKS3_PKS4_PKT3_PKT4_S8_PT5_21rocsparse_index_base_b,"axG",@progbits,_ZN9rocsparseL41csrmvn_lrb_medium_rows_warp_reduce_kernelILj256ELj64Ellf21rocsparse_complex_numIfES2_S2_EEvbT1_lPT2_S5_jNS_24const_host_device_scalarIT6_EEPKS3_PKS4_PKT3_PKT4_S8_PT5_21rocsparse_index_base_b,comdat
.Lfunc_end167:
	.size	_ZN9rocsparseL41csrmvn_lrb_medium_rows_warp_reduce_kernelILj256ELj64Ellf21rocsparse_complex_numIfES2_S2_EEvbT1_lPT2_S5_jNS_24const_host_device_scalarIT6_EEPKS3_PKS4_PKT3_PKT4_S8_PT5_21rocsparse_index_base_b, .Lfunc_end167-_ZN9rocsparseL41csrmvn_lrb_medium_rows_warp_reduce_kernelILj256ELj64Ellf21rocsparse_complex_numIfES2_S2_EEvbT1_lPT2_S5_jNS_24const_host_device_scalarIT6_EEPKS3_PKS4_PKT3_PKT4_S8_PT5_21rocsparse_index_base_b
                                        ; -- End function
	.section	.AMDGPU.csdata,"",@progbits
; Kernel info:
; codeLenInByte = 1048
; NumSgprs: 20
; NumVgprs: 26
; NumAgprs: 0
; TotalNumVgprs: 26
; ScratchSize: 0
; MemoryBound: 0
; FloatMode: 240
; IeeeMode: 1
; LDSByteSize: 0 bytes/workgroup (compile time only)
; SGPRBlocks: 2
; VGPRBlocks: 3
; NumSGPRsForWavesPerEU: 20
; NumVGPRsForWavesPerEU: 26
; AccumOffset: 28
; Occupancy: 8
; WaveLimiterHint : 1
; COMPUTE_PGM_RSRC2:SCRATCH_EN: 0
; COMPUTE_PGM_RSRC2:USER_SGPR: 6
; COMPUTE_PGM_RSRC2:TRAP_HANDLER: 0
; COMPUTE_PGM_RSRC2:TGID_X_EN: 1
; COMPUTE_PGM_RSRC2:TGID_Y_EN: 0
; COMPUTE_PGM_RSRC2:TGID_Z_EN: 0
; COMPUTE_PGM_RSRC2:TIDIG_COMP_CNT: 0
; COMPUTE_PGM_RSRC3_GFX90A:ACCUM_OFFSET: 6
; COMPUTE_PGM_RSRC3_GFX90A:TG_SPLIT: 0
	.section	.text._ZN9rocsparseL29csrmvn_lrb_medium_rows_kernelILj256Ellf21rocsparse_complex_numIfES2_S2_EEvbT0_PT1_S5_jNS_24const_host_device_scalarIT5_EEPKS3_PKS4_PKT2_PKT3_S8_PT4_21rocsparse_index_base_b,"axG",@progbits,_ZN9rocsparseL29csrmvn_lrb_medium_rows_kernelILj256Ellf21rocsparse_complex_numIfES2_S2_EEvbT0_PT1_S5_jNS_24const_host_device_scalarIT5_EEPKS3_PKS4_PKT2_PKT3_S8_PT4_21rocsparse_index_base_b,comdat
	.globl	_ZN9rocsparseL29csrmvn_lrb_medium_rows_kernelILj256Ellf21rocsparse_complex_numIfES2_S2_EEvbT0_PT1_S5_jNS_24const_host_device_scalarIT5_EEPKS3_PKS4_PKT2_PKT3_S8_PT4_21rocsparse_index_base_b ; -- Begin function _ZN9rocsparseL29csrmvn_lrb_medium_rows_kernelILj256Ellf21rocsparse_complex_numIfES2_S2_EEvbT0_PT1_S5_jNS_24const_host_device_scalarIT5_EEPKS3_PKS4_PKT2_PKT3_S8_PT4_21rocsparse_index_base_b
	.p2align	8
	.type	_ZN9rocsparseL29csrmvn_lrb_medium_rows_kernelILj256Ellf21rocsparse_complex_numIfES2_S2_EEvbT0_PT1_S5_jNS_24const_host_device_scalarIT5_EEPKS3_PKS4_PKT2_PKT3_S8_PT4_21rocsparse_index_base_b,@function
_ZN9rocsparseL29csrmvn_lrb_medium_rows_kernelILj256Ellf21rocsparse_complex_numIfES2_S2_EEvbT0_PT1_S5_jNS_24const_host_device_scalarIT5_EEPKS3_PKS4_PKT2_PKT3_S8_PT4_21rocsparse_index_base_b: ; @_ZN9rocsparseL29csrmvn_lrb_medium_rows_kernelILj256Ellf21rocsparse_complex_numIfES2_S2_EEvbT0_PT1_S5_jNS_24const_host_device_scalarIT5_EEPKS3_PKS4_PKT2_PKT3_S8_PT4_21rocsparse_index_base_b
; %bb.0:
	s_load_dwordx2 s[8:9], s[4:5], 0x60
	s_load_dwordx2 s[10:11], s[4:5], 0x28
	;; [unrolled: 1-line block ×3, first 2 shown]
	s_waitcnt lgkmcnt(0)
	s_bitcmp1_b32 s9, 0
	s_cselect_b64 s[0:1], -1, 0
	s_xor_b64 s[12:13], s[0:1], -1
	s_and_b64 vcc, exec, s[0:1]
	v_mov_b32_e32 v4, s10
	s_cbranch_vccnz .LBB168_2
; %bb.1:
	v_pk_mov_b32 v[2:3], s[10:11], s[10:11] op_sel:[0,1]
	flat_load_dword v4, v[2:3]
.LBB168_2:
	v_cndmask_b32_e64 v1, 0, 1, s[12:13]
	v_cmp_ne_u32_e64 s[0:1], 1, v1
	s_andn2_b64 vcc, exec, s[12:13]
	v_mov_b32_e32 v5, s11
	s_cbranch_vccz .LBB168_34
; %bb.3:
	s_and_b64 vcc, exec, s[0:1]
	v_mov_b32_e32 v2, s2
	s_cbranch_vccz .LBB168_35
.LBB168_4:
	s_and_b64 vcc, exec, s[0:1]
	v_mov_b32_e32 v3, s3
	s_cbranch_vccnz .LBB168_6
.LBB168_5:
	v_pk_mov_b32 v[6:7], s[2:3], s[2:3] op_sel:[0,1]
	flat_load_dword v3, v[6:7] offset:4
.LBB168_6:
	s_waitcnt vmcnt(0) lgkmcnt(0)
	v_or_b32_e32 v1, v4, v5
	v_and_b32_e32 v1, 0x7fffffff, v1
	v_cmp_eq_u32_e32 vcc, 0, v1
	s_mov_b64 s[0:1], -1
	s_and_saveexec_b64 s[2:3], vcc
; %bb.7:
	v_and_b32_e32 v1, 0x7fffffff, v3
	v_cmp_neq_f32_e32 vcc, 1.0, v2
	v_cmp_ne_u32_e64 s[0:1], 0, v1
	s_or_b64 s[0:1], vcc, s[0:1]
	s_orn2_b64 s[0:1], s[0:1], exec
; %bb.8:
	s_or_b64 exec, exec, s[2:3]
	s_and_saveexec_b64 s[2:3], s[0:1]
	s_cbranch_execz .LBB168_33
; %bb.9:
	s_load_dword s2, s[4:5], 0x20
	s_load_dwordx4 s[12:15], s[4:5], 0x10
	s_mov_b32 s0, 0
	s_mov_b32 s3, s0
	v_subrev_co_u32_e32 v1, vcc, s8, v0
	s_waitcnt lgkmcnt(0)
	s_lshl_b64 s[2:3], s[2:3], 3
	s_add_u32 s2, s14, s2
	s_addc_u32 s3, s15, s3
	s_load_dwordx2 s[2:3], s[2:3], 0x0
	s_ashr_i32 s7, s6, 31
	v_mov_b32_e32 v9, 0
	s_waitcnt lgkmcnt(0)
	s_lshl_b64 s[2:3], s[2:3], 3
	s_add_u32 s1, s12, s2
	s_addc_u32 s9, s13, s3
	s_lshl_b64 s[2:3], s[6:7], 3
	s_add_u32 s6, s1, s2
	s_addc_u32 s7, s9, s3
	s_load_dwordx2 s[10:11], s[6:7], 0x0
	s_load_dwordx2 s[12:13], s[4:5], 0x30
	;; [unrolled: 1-line block ×3, first 2 shown]
	s_waitcnt lgkmcnt(0)
	s_lshl_b64 s[6:7], s[10:11], 3
	s_add_u32 s10, s12, s6
	s_addc_u32 s11, s13, s7
	s_load_dwordx4 s[12:15], s[10:11], 0x0
	v_subb_co_u32_e64 v7, s[10:11], 0, 0, vcc
	s_waitcnt lgkmcnt(0)
	s_sub_u32 s10, s14, s8
	v_mov_b32_e32 v8, s13
	v_add_co_u32_e32 v6, vcc, s12, v1
	s_subb_u32 s11, s15, 0
	v_addc_co_u32_e32 v7, vcc, v8, v7, vcc
	v_cmp_gt_i64_e32 vcc, s[10:11], v[6:7]
	v_mov_b32_e32 v8, v9
	s_and_saveexec_b64 s[12:13], vcc
	s_cbranch_execz .LBB168_13
; %bb.10:
	s_load_dwordx4 s[16:19], s[4:5], 0x38
	s_load_dwordx2 s[14:15], s[4:5], 0x48
	s_brev_b32 s5, 1
	s_mov_b32 s4, s0
	v_pk_mul_f32 v[8:9], v[4:5], s[4:5]
	v_mov_b32_e32 v10, v9
	v_mov_b32_e32 v11, v8
	v_lshlrev_b64 v[8:9], 2, v[6:7]
	s_waitcnt lgkmcnt(0)
	v_mov_b32_e32 v1, s19
	v_add_co_u32_e32 v12, vcc, s18, v8
	v_addc_co_u32_e32 v13, vcc, v1, v9, vcc
	v_lshlrev_b64 v[8:9], 3, v[6:7]
	v_mov_b32_e32 v1, s17
	v_add_co_u32_e32 v14, vcc, s16, v8
	v_mov_b32_e32 v8, 0
	v_addc_co_u32_e32 v15, vcc, v1, v9, vcc
	s_mov_b64 s[4:5], 0
	v_mov_b32_e32 v1, s0
	v_mov_b32_e32 v16, s15
	s_movk_i32 s9, 0x100
	v_mov_b32_e32 v9, v8
.LBB168_11:                             ; =>This Inner Loop Header: Depth=1
	global_load_dwordx2 v[18:19], v[14:15], off
	global_load_dword v20, v[12:13], off
	s_waitcnt vmcnt(1)
	v_subrev_co_u32_e32 v18, vcc, s8, v18
	v_subb_co_u32_e32 v19, vcc, v19, v1, vcc
	v_lshlrev_b64 v[18:19], 3, v[18:19]
	v_add_co_u32_e32 v18, vcc, s14, v18
	v_addc_co_u32_e32 v19, vcc, v16, v19, vcc
	global_load_dwordx2 v[18:19], v[18:19], off
	v_add_co_u32_e32 v6, vcc, s9, v6
	v_addc_co_u32_e32 v7, vcc, 0, v7, vcc
	v_add_co_u32_e32 v12, vcc, 0x400, v12
	v_addc_co_u32_e32 v13, vcc, 0, v13, vcc
	s_waitcnt vmcnt(1)
	v_pk_fma_f32 v[20:21], v[4:5], v[20:21], v[10:11] op_sel_hi:[1,0,1]
	v_add_co_u32_e32 v14, vcc, 0x800, v14
	v_cmp_le_i64_e64 s[0:1], s[10:11], v[6:7]
	v_addc_co_u32_e32 v15, vcc, 0, v15, vcc
	s_or_b64 s[4:5], s[0:1], s[4:5]
	s_waitcnt vmcnt(0)
	v_pk_fma_f32 v[8:9], v[20:21], v[18:19], v[8:9] op_sel_hi:[1,0,1]
	v_pk_fma_f32 v[8:9], v[20:21], v[18:19], v[8:9] op_sel:[1,1,0] op_sel_hi:[0,1,1] neg_lo:[1,0,0]
	s_andn2_b64 exec, exec, s[4:5]
	s_cbranch_execnz .LBB168_11
; %bb.12:
	s_or_b64 exec, exec, s[4:5]
.LBB168_13:
	s_or_b64 exec, exec, s[12:13]
	s_movk_i32 s0, 0x80
	v_lshlrev_b32_e32 v1, 3, v0
	v_cmp_gt_u32_e32 vcc, s0, v0
	ds_write_b64 v1, v[8:9]
	s_waitcnt lgkmcnt(0)
	s_barrier
	s_and_saveexec_b64 s[0:1], vcc
	s_cbranch_execz .LBB168_15
; %bb.14:
	ds_read2st64_b64 v[4:7], v1 offset1:2
	s_waitcnt lgkmcnt(0)
	v_pk_add_f32 v[4:5], v[6:7], v[4:5]
	ds_write_b64 v1, v[4:5]
.LBB168_15:
	s_or_b64 exec, exec, s[0:1]
	v_cmp_gt_u32_e32 vcc, 64, v0
	s_waitcnt lgkmcnt(0)
	s_barrier
	s_and_saveexec_b64 s[0:1], vcc
	s_cbranch_execz .LBB168_17
; %bb.16:
	ds_read2st64_b64 v[4:7], v1 offset1:1
	s_waitcnt lgkmcnt(0)
	v_pk_add_f32 v[4:5], v[6:7], v[4:5]
	ds_write_b64 v1, v[4:5]
.LBB168_17:
	s_or_b64 exec, exec, s[0:1]
	v_cmp_gt_u32_e32 vcc, 32, v0
	s_waitcnt lgkmcnt(0)
	s_barrier
	s_and_saveexec_b64 s[0:1], vcc
	s_cbranch_execz .LBB168_19
; %bb.18:
	ds_read2_b64 v[4:7], v1 offset1:32
	s_waitcnt lgkmcnt(0)
	v_pk_add_f32 v[4:5], v[6:7], v[4:5]
	ds_write_b64 v1, v[4:5]
.LBB168_19:
	s_or_b64 exec, exec, s[0:1]
	v_cmp_gt_u32_e32 vcc, 16, v0
	s_waitcnt lgkmcnt(0)
	s_barrier
	s_and_saveexec_b64 s[0:1], vcc
	s_cbranch_execz .LBB168_21
; %bb.20:
	ds_read2_b64 v[4:7], v1 offset1:16
	s_waitcnt lgkmcnt(0)
	v_pk_add_f32 v[4:5], v[6:7], v[4:5]
	ds_write_b64 v1, v[4:5]
.LBB168_21:
	;; [unrolled: 12-line block ×5, first 2 shown]
	s_or_b64 exec, exec, s[0:1]
	v_cmp_eq_u32_e32 vcc, 0, v0
	s_waitcnt lgkmcnt(0)
	s_barrier
	s_and_saveexec_b64 s[0:1], vcc
	s_cbranch_execz .LBB168_29
; %bb.28:
	v_mov_b32_e32 v8, 0
	ds_read2_b64 v[4:7], v8 offset1:1
	s_waitcnt lgkmcnt(0)
	v_pk_add_f32 v[0:1], v[6:7], v[4:5]
	ds_write_b64 v8, v[0:1]
.LBB168_29:
	s_or_b64 exec, exec, s[0:1]
	s_waitcnt lgkmcnt(0)
	s_barrier
	s_and_b64 exec, exec, vcc
	s_cbranch_execz .LBB168_33
; %bb.30:
	v_mov_b32_e32 v4, 0
	ds_read_b64 v[0:1], v4
	v_and_b32_e32 v5, 0x7fffffff, v2
	v_cmp_ne_u32_e32 vcc, 0, v5
	v_cmp_neq_f32_e64 s[0:1], 0, v3
	s_or_b64 s[4:5], vcc, s[0:1]
	s_and_saveexec_b64 s[0:1], s[4:5]
	s_cbranch_execz .LBB168_32
; %bb.31:
	s_add_u32 s4, s2, s6
	s_addc_u32 s5, s3, s7
	s_load_dwordx2 s[4:5], s[4:5], 0x0
	v_xor_b32_e32 v6, 0x80000000, v3
	v_mov_b32_e32 v7, v2
	s_waitcnt lgkmcnt(0)
	v_pk_fma_f32 v[0:1], v[2:3], s[4:5], v[0:1] op_sel_hi:[1,0,1]
	v_pk_fma_f32 v[0:1], v[6:7], s[4:5], v[0:1] op_sel:[0,1,0]
.LBB168_32:
	s_or_b64 exec, exec, s[0:1]
	s_add_u32 s0, s2, s6
	s_addc_u32 s1, s3, s7
	s_waitcnt lgkmcnt(0)
	global_store_dwordx2 v4, v[0:1], s[0:1]
.LBB168_33:
	s_endpgm
.LBB168_34:
	v_pk_mov_b32 v[2:3], s[10:11], s[10:11] op_sel:[0,1]
	flat_load_dword v5, v[2:3] offset:4
	s_and_b64 vcc, exec, s[0:1]
	v_mov_b32_e32 v2, s2
	s_cbranch_vccnz .LBB168_4
.LBB168_35:
	v_pk_mov_b32 v[2:3], s[2:3], s[2:3] op_sel:[0,1]
	flat_load_dword v2, v[2:3]
	s_and_b64 vcc, exec, s[0:1]
	v_mov_b32_e32 v3, s3
	s_cbranch_vccz .LBB168_5
	s_branch .LBB168_6
	.section	.rodata,"a",@progbits
	.p2align	6, 0x0
	.amdhsa_kernel _ZN9rocsparseL29csrmvn_lrb_medium_rows_kernelILj256Ellf21rocsparse_complex_numIfES2_S2_EEvbT0_PT1_S5_jNS_24const_host_device_scalarIT5_EEPKS3_PKS4_PKT2_PKT3_S8_PT4_21rocsparse_index_base_b
		.amdhsa_group_segment_fixed_size 2048
		.amdhsa_private_segment_fixed_size 0
		.amdhsa_kernarg_size 104
		.amdhsa_user_sgpr_count 6
		.amdhsa_user_sgpr_private_segment_buffer 1
		.amdhsa_user_sgpr_dispatch_ptr 0
		.amdhsa_user_sgpr_queue_ptr 0
		.amdhsa_user_sgpr_kernarg_segment_ptr 1
		.amdhsa_user_sgpr_dispatch_id 0
		.amdhsa_user_sgpr_flat_scratch_init 0
		.amdhsa_user_sgpr_kernarg_preload_length 0
		.amdhsa_user_sgpr_kernarg_preload_offset 0
		.amdhsa_user_sgpr_private_segment_size 0
		.amdhsa_uses_dynamic_stack 0
		.amdhsa_system_sgpr_private_segment_wavefront_offset 0
		.amdhsa_system_sgpr_workgroup_id_x 1
		.amdhsa_system_sgpr_workgroup_id_y 0
		.amdhsa_system_sgpr_workgroup_id_z 0
		.amdhsa_system_sgpr_workgroup_info 0
		.amdhsa_system_vgpr_workitem_id 0
		.amdhsa_next_free_vgpr 22
		.amdhsa_next_free_sgpr 20
		.amdhsa_accum_offset 24
		.amdhsa_reserve_vcc 1
		.amdhsa_reserve_flat_scratch 0
		.amdhsa_float_round_mode_32 0
		.amdhsa_float_round_mode_16_64 0
		.amdhsa_float_denorm_mode_32 3
		.amdhsa_float_denorm_mode_16_64 3
		.amdhsa_dx10_clamp 1
		.amdhsa_ieee_mode 1
		.amdhsa_fp16_overflow 0
		.amdhsa_tg_split 0
		.amdhsa_exception_fp_ieee_invalid_op 0
		.amdhsa_exception_fp_denorm_src 0
		.amdhsa_exception_fp_ieee_div_zero 0
		.amdhsa_exception_fp_ieee_overflow 0
		.amdhsa_exception_fp_ieee_underflow 0
		.amdhsa_exception_fp_ieee_inexact 0
		.amdhsa_exception_int_div_zero 0
	.end_amdhsa_kernel
	.section	.text._ZN9rocsparseL29csrmvn_lrb_medium_rows_kernelILj256Ellf21rocsparse_complex_numIfES2_S2_EEvbT0_PT1_S5_jNS_24const_host_device_scalarIT5_EEPKS3_PKS4_PKT2_PKT3_S8_PT4_21rocsparse_index_base_b,"axG",@progbits,_ZN9rocsparseL29csrmvn_lrb_medium_rows_kernelILj256Ellf21rocsparse_complex_numIfES2_S2_EEvbT0_PT1_S5_jNS_24const_host_device_scalarIT5_EEPKS3_PKS4_PKT2_PKT3_S8_PT4_21rocsparse_index_base_b,comdat
.Lfunc_end168:
	.size	_ZN9rocsparseL29csrmvn_lrb_medium_rows_kernelILj256Ellf21rocsparse_complex_numIfES2_S2_EEvbT0_PT1_S5_jNS_24const_host_device_scalarIT5_EEPKS3_PKS4_PKT2_PKT3_S8_PT4_21rocsparse_index_base_b, .Lfunc_end168-_ZN9rocsparseL29csrmvn_lrb_medium_rows_kernelILj256Ellf21rocsparse_complex_numIfES2_S2_EEvbT0_PT1_S5_jNS_24const_host_device_scalarIT5_EEPKS3_PKS4_PKT2_PKT3_S8_PT4_21rocsparse_index_base_b
                                        ; -- End function
	.section	.AMDGPU.csdata,"",@progbits
; Kernel info:
; codeLenInByte = 1272
; NumSgprs: 24
; NumVgprs: 22
; NumAgprs: 0
; TotalNumVgprs: 22
; ScratchSize: 0
; MemoryBound: 0
; FloatMode: 240
; IeeeMode: 1
; LDSByteSize: 2048 bytes/workgroup (compile time only)
; SGPRBlocks: 2
; VGPRBlocks: 2
; NumSGPRsForWavesPerEU: 24
; NumVGPRsForWavesPerEU: 22
; AccumOffset: 24
; Occupancy: 8
; WaveLimiterHint : 1
; COMPUTE_PGM_RSRC2:SCRATCH_EN: 0
; COMPUTE_PGM_RSRC2:USER_SGPR: 6
; COMPUTE_PGM_RSRC2:TRAP_HANDLER: 0
; COMPUTE_PGM_RSRC2:TGID_X_EN: 1
; COMPUTE_PGM_RSRC2:TGID_Y_EN: 0
; COMPUTE_PGM_RSRC2:TGID_Z_EN: 0
; COMPUTE_PGM_RSRC2:TIDIG_COMP_CNT: 0
; COMPUTE_PGM_RSRC3_GFX90A:ACCUM_OFFSET: 5
; COMPUTE_PGM_RSRC3_GFX90A:TG_SPLIT: 0
	.section	.text._ZN9rocsparseL27csrmvn_lrb_long_rows_kernelIllf21rocsparse_complex_numIfES2_S2_EEvbT_PjPT0_S6_jNS_24const_host_device_scalarIT4_EEPKS3_PKS5_PKT1_PKT2_S9_PT3_21rocsparse_index_base_b,"axG",@progbits,_ZN9rocsparseL27csrmvn_lrb_long_rows_kernelIllf21rocsparse_complex_numIfES2_S2_EEvbT_PjPT0_S6_jNS_24const_host_device_scalarIT4_EEPKS3_PKS5_PKT1_PKT2_S9_PT3_21rocsparse_index_base_b,comdat
	.globl	_ZN9rocsparseL27csrmvn_lrb_long_rows_kernelIllf21rocsparse_complex_numIfES2_S2_EEvbT_PjPT0_S6_jNS_24const_host_device_scalarIT4_EEPKS3_PKS5_PKT1_PKT2_S9_PT3_21rocsparse_index_base_b ; -- Begin function _ZN9rocsparseL27csrmvn_lrb_long_rows_kernelIllf21rocsparse_complex_numIfES2_S2_EEvbT_PjPT0_S6_jNS_24const_host_device_scalarIT4_EEPKS3_PKS5_PKT1_PKT2_S9_PT3_21rocsparse_index_base_b
	.p2align	8
	.type	_ZN9rocsparseL27csrmvn_lrb_long_rows_kernelIllf21rocsparse_complex_numIfES2_S2_EEvbT_PjPT0_S6_jNS_24const_host_device_scalarIT4_EEPKS3_PKS5_PKT1_PKT2_S9_PT3_21rocsparse_index_base_b,@function
_ZN9rocsparseL27csrmvn_lrb_long_rows_kernelIllf21rocsparse_complex_numIfES2_S2_EEvbT_PjPT0_S6_jNS_24const_host_device_scalarIT4_EEPKS3_PKS5_PKT1_PKT2_S9_PT3_21rocsparse_index_base_b: ; @_ZN9rocsparseL27csrmvn_lrb_long_rows_kernelIllf21rocsparse_complex_numIfES2_S2_EEvbT_PjPT0_S6_jNS_24const_host_device_scalarIT4_EEPKS3_PKS5_PKT1_PKT2_S9_PT3_21rocsparse_index_base_b
; %bb.0:
	s_load_dwordx2 s[14:15], s[4:5], 0x68
	s_load_dwordx2 s[8:9], s[4:5], 0x30
	;; [unrolled: 1-line block ×3, first 2 shown]
	s_waitcnt lgkmcnt(0)
	s_bitcmp1_b32 s15, 0
	s_cselect_b64 s[0:1], -1, 0
	s_xor_b64 s[10:11], s[0:1], -1
	s_and_b64 vcc, exec, s[0:1]
	v_mov_b32_e32 v2, s8
	s_cbranch_vccnz .LBB169_2
; %bb.1:
	v_pk_mov_b32 v[2:3], s[8:9], s[8:9] op_sel:[0,1]
	flat_load_dword v2, v[2:3]
.LBB169_2:
	v_cndmask_b32_e64 v1, 0, 1, s[10:11]
	v_cmp_ne_u32_e64 s[0:1], 1, v1
	s_andn2_b64 vcc, exec, s[10:11]
	v_mov_b32_e32 v3, s9
	s_cbranch_vccz .LBB169_39
; %bb.3:
	s_and_b64 vcc, exec, s[0:1]
	v_mov_b32_e32 v1, s2
	s_cbranch_vccz .LBB169_40
.LBB169_4:
	s_and_b64 vcc, exec, s[0:1]
	v_mov_b32_e32 v5, s3
	s_cbranch_vccnz .LBB169_6
.LBB169_5:
	v_pk_mov_b32 v[4:5], s[2:3], s[2:3] op_sel:[0,1]
	flat_load_dword v5, v[4:5] offset:4
.LBB169_6:
	s_waitcnt vmcnt(0) lgkmcnt(0)
	v_or_b32_e32 v4, v2, v3
	v_and_b32_e32 v4, 0x7fffffff, v4
	v_cmp_eq_u32_e32 vcc, 0, v4
	s_mov_b64 s[0:1], -1
	s_and_saveexec_b64 s[2:3], vcc
; %bb.7:
	v_cmp_neq_f32_e32 vcc, 1.0, v1
	v_cmp_neq_f32_e64 s[0:1], 0, v5
	s_or_b64 s[0:1], vcc, s[0:1]
	s_orn2_b64 s[0:1], s[0:1], exec
; %bb.8:
	s_or_b64 exec, exec, s[2:3]
	s_and_saveexec_b64 s[2:3], s[0:1]
	s_cbranch_execz .LBB169_48
; %bb.9:
	s_load_dword s0, s[4:5], 0x28
	s_load_dwordx2 s[2:3], s[4:5], 0x20
	s_mov_b32 s27, 0
	s_mov_b32 s1, s27
	;; [unrolled: 1-line block ×3, first 2 shown]
	s_waitcnt lgkmcnt(0)
	s_lshl_b64 s[8:9], s[0:1], 3
	s_add_u32 s2, s2, s8
	s_addc_u32 s3, s3, s9
	s_lshl_b32 s0, -1, s0
	s_not_b32 s0, s0
	s_mul_hi_u32 s0, s0, 0x2aaaaaab
	s_lshr_b32 s0, s0, 7
	s_add_i32 s7, s0, 1
	v_cvt_f32_u32_e32 v4, s7
	s_not_b32 s0, s0
	s_load_dwordx2 s[2:3], s[2:3], 0x0
	s_mov_b32 s19, s27
	v_rcp_iflag_f32_e32 v4, v4
	s_load_dwordx4 s[8:11], s[4:5], 0x10
	v_pk_mov_b32 v[6:7], s[18:19], s[18:19] op_sel:[0,1]
	v_mul_f32_e32 v4, 0x4f7ffffe, v4
	v_cvt_u32_f32_e32 v4, v4
	v_readfirstlane_b32 s12, v4
	s_mul_i32 s0, s0, s12
	s_mul_hi_u32 s0, s12, s0
	s_add_i32 s12, s12, s0
	s_mul_hi_u32 s0, s6, s12
	s_mul_i32 s12, s0, s7
	s_sub_i32 s12, s6, s12
	s_add_i32 s13, s0, 1
	s_sub_i32 s15, s12, s7
	s_cmp_ge_u32 s12, s7
	s_cselect_b32 s0, s13, s0
	s_cselect_b32 s12, s15, s12
	s_add_i32 s13, s0, 1
	s_cmp_ge_u32 s12, s7
	s_cselect_b32 s0, s13, s0
	s_mul_i32 s7, s0, s7
	s_waitcnt lgkmcnt(0)
	s_lshl_b64 s[2:3], s[2:3], 3
	s_sub_i32 s15, s6, s7
	s_add_u32 s2, s10, s2
	s_addc_u32 s3, s11, s3
	s_lshl_b64 s[0:1], s[0:1], 3
	s_add_u32 s0, s2, s0
	s_addc_u32 s1, s3, s1
	s_load_dwordx2 s[2:3], s[0:1], 0x0
	s_load_dwordx2 s[16:17], s[4:5], 0x38
	;; [unrolled: 1-line block ×3, first 2 shown]
	v_or_b32_e32 v4, s15, v0
	v_cmp_eq_u32_e32 vcc, 0, v4
	s_waitcnt lgkmcnt(0)
	s_lshl_b64 s[12:13], s[2:3], 3
	s_add_u32 s0, s16, s12
	s_addc_u32 s1, s17, s13
	s_ashr_i32 s7, s6, 31
	s_sub_u32 s16, s6, s15
	s_subb_u32 s17, s7, 0
	s_lshl_b64 s[6:7], s[6:7], 2
	s_add_u32 s6, s8, s6
	s_addc_u32 s7, s9, s7
	s_load_dwordx4 s[0:3], s[0:1], 0x0
	s_nop 0
	s_load_dword s26, s[6:7], 0x0
	s_and_saveexec_b64 s[18:19], vcc
	s_cbranch_execz .LBB169_13
; %bb.10:
	s_add_u32 s20, s10, s12
	s_addc_u32 s21, s11, s13
	s_load_dwordx2 s[20:21], s[20:21], 0x0
	s_mov_b64 s[22:23], exec
	v_add_f32_e32 v7, -1.0, v1
	v_mbcnt_lo_u32_b32 v1, s22, 0
	v_xor_b32_e32 v6, 0x80000000, v5
	v_mbcnt_hi_u32_b32 v1, s23, v1
	v_mov_b32_e32 v4, v7
	s_waitcnt lgkmcnt(0)
	v_pk_mul_f32 v[6:7], s[20:21], v[6:7] op_sel:[1,0]
	v_cmp_eq_u32_e32 vcc, 0, v1
	s_waitcnt vmcnt(0) expcnt(0) lgkmcnt(0)
	s_and_saveexec_b64 s[24:25], vcc
	s_cbranch_execz .LBB169_12
; %bb.11:
	s_lshl_b64 s[28:29], s[16:17], 2
	s_add_u32 s28, s8, s28
	s_addc_u32 s29, s9, s29
	s_bcnt1_i32_b64 s22, s[22:23]
	s_and_b32 s22, s22, 1
	v_mov_b32_e32 v1, 0
	v_mov_b32_e32 v8, s22
	global_atomic_xor v1, v8, s[28:29]
.LBB169_12:
	s_or_b64 exec, exec, s[24:25]
	v_pk_fma_f32 v[6:7], v[4:5], s[20:21], v[6:7] op_sel_hi:[1,0,1]
.LBB169_13:
	s_or_b64 exec, exec, s[18:19]
	s_waitcnt lgkmcnt(0)
	s_sub_u32 s0, s0, s14
	s_mul_i32 s19, s15, 0x300
	s_subb_u32 s1, s1, 0
	s_mul_hi_u32 s18, s15, 0x300
	s_add_u32 s20, s0, s19
	s_addc_u32 s21, s1, s18
	s_sub_u32 s0, s2, s14
	s_subb_u32 s1, s3, 0
	s_add_u32 s2, s20, 0x300
	s_addc_u32 s3, s21, 0
	v_pk_mov_b32 v[4:5], s[0:1], s[0:1] op_sel:[0,1]
	v_cmp_lt_i64_e32 vcc, s[2:3], v[4:5]
	s_and_b64 s[18:19], vcc, exec
	v_mov_b32_e32 v1, s21
	v_add_co_u32_e32 v4, vcc, s20, v0
	s_cselect_b32 s3, s3, s1
	s_cselect_b32 s2, s2, s0
	v_addc_co_u32_e32 v5, vcc, 0, v1, vcc
	v_cmp_gt_i64_e32 vcc, s[2:3], v[4:5]
	s_and_saveexec_b64 s[18:19], vcc
	s_cbranch_execz .LBB169_17
; %bb.14:
	s_load_dwordx2 s[20:21], s[4:5], 0x50
	s_load_dwordx4 s[28:31], s[4:5], 0x40
	s_mov_b32 s0, 0
	s_brev_b32 s1, 1
	v_pk_mul_f32 v[10:11], v[2:3], s[0:1]
	v_mov_b32_e32 v8, v11
	v_mov_b32_e32 v9, v10
	v_lshlrev_b64 v[10:11], 2, v[4:5]
	s_waitcnt lgkmcnt(0)
	v_mov_b32_e32 v1, s31
	v_add_co_u32_e32 v10, vcc, s30, v10
	v_addc_co_u32_e32 v11, vcc, v1, v11, vcc
	v_lshlrev_b64 v[12:13], 3, v[4:5]
	v_mov_b32_e32 v1, s29
	v_add_co_u32_e32 v12, vcc, s28, v12
	v_addc_co_u32_e32 v13, vcc, v1, v13, vcc
	s_mov_b64 s[4:5], 0
	v_mov_b32_e32 v1, s27
	v_mov_b32_e32 v14, s21
	s_movk_i32 s21, 0x100
.LBB169_15:                             ; =>This Inner Loop Header: Depth=1
	global_load_dwordx2 v[16:17], v[12:13], off
	global_load_dword v18, v[10:11], off
	s_waitcnt vmcnt(1)
	v_subrev_co_u32_e32 v16, vcc, s14, v16
	v_subb_co_u32_e32 v17, vcc, v17, v1, vcc
	v_lshlrev_b64 v[16:17], 3, v[16:17]
	v_add_co_u32_e32 v16, vcc, s20, v16
	v_addc_co_u32_e32 v17, vcc, v14, v17, vcc
	global_load_dwordx2 v[16:17], v[16:17], off
	v_add_co_u32_e32 v4, vcc, s21, v4
	v_addc_co_u32_e32 v5, vcc, 0, v5, vcc
	v_add_co_u32_e32 v10, vcc, 0x400, v10
	v_addc_co_u32_e32 v11, vcc, 0, v11, vcc
	s_waitcnt vmcnt(1)
	v_pk_fma_f32 v[18:19], v[2:3], v[18:19], v[8:9] op_sel_hi:[1,0,1]
	v_add_co_u32_e32 v12, vcc, 0x800, v12
	v_cmp_le_i64_e64 s[0:1], s[2:3], v[4:5]
	v_addc_co_u32_e32 v13, vcc, 0, v13, vcc
	s_or_b64 s[4:5], s[0:1], s[4:5]
	s_waitcnt vmcnt(0)
	v_pk_fma_f32 v[6:7], v[18:19], v[16:17], v[6:7] op_sel_hi:[1,0,1]
	v_pk_fma_f32 v[6:7], v[18:19], v[16:17], v[6:7] op_sel:[1,1,0] op_sel_hi:[0,1,1] neg_lo:[1,0,0]
	s_andn2_b64 exec, exec, s[4:5]
	s_cbranch_execnz .LBB169_15
; %bb.16:
	s_or_b64 exec, exec, s[4:5]
.LBB169_17:
	s_or_b64 exec, exec, s[18:19]
	s_movk_i32 s0, 0x80
	v_lshlrev_b32_e32 v1, 3, v0
	v_cmp_gt_u32_e32 vcc, s0, v0
	ds_write_b64 v1, v[6:7]
	s_waitcnt lgkmcnt(0)
	s_barrier
	s_and_saveexec_b64 s[0:1], vcc
	s_cbranch_execz .LBB169_19
; %bb.18:
	ds_read2st64_b64 v[2:5], v1 offset1:2
	s_waitcnt lgkmcnt(0)
	v_pk_add_f32 v[2:3], v[4:5], v[2:3]
	ds_write_b64 v1, v[2:3]
.LBB169_19:
	s_or_b64 exec, exec, s[0:1]
	v_cmp_gt_u32_e32 vcc, 64, v0
	s_waitcnt lgkmcnt(0)
	s_barrier
	s_and_saveexec_b64 s[0:1], vcc
	s_cbranch_execz .LBB169_21
; %bb.20:
	ds_read2st64_b64 v[2:5], v1 offset1:1
	s_waitcnt lgkmcnt(0)
	v_pk_add_f32 v[2:3], v[4:5], v[2:3]
	ds_write_b64 v1, v[2:3]
.LBB169_21:
	s_or_b64 exec, exec, s[0:1]
	v_cmp_gt_u32_e32 vcc, 32, v0
	s_waitcnt lgkmcnt(0)
	s_barrier
	s_and_saveexec_b64 s[0:1], vcc
	s_cbranch_execz .LBB169_23
; %bb.22:
	ds_read2_b64 v[2:5], v1 offset1:32
	s_waitcnt lgkmcnt(0)
	v_pk_add_f32 v[2:3], v[4:5], v[2:3]
	ds_write_b64 v1, v[2:3]
.LBB169_23:
	s_or_b64 exec, exec, s[0:1]
	v_cmp_gt_u32_e32 vcc, 16, v0
	s_waitcnt lgkmcnt(0)
	s_barrier
	s_and_saveexec_b64 s[0:1], vcc
	s_cbranch_execz .LBB169_25
; %bb.24:
	ds_read2_b64 v[2:5], v1 offset1:16
	s_waitcnt lgkmcnt(0)
	v_pk_add_f32 v[2:3], v[4:5], v[2:3]
	ds_write_b64 v1, v[2:3]
.LBB169_25:
	;; [unrolled: 12-line block ×5, first 2 shown]
	s_or_b64 exec, exec, s[0:1]
	v_cmp_eq_u32_e32 vcc, 0, v0
	s_waitcnt lgkmcnt(0)
	s_barrier
	s_and_saveexec_b64 s[0:1], vcc
	s_cbranch_execz .LBB169_33
; %bb.32:
	v_mov_b32_e32 v4, 0
	ds_read2_b64 v[0:3], v4 offset1:1
	s_waitcnt lgkmcnt(0)
	v_pk_add_f32 v[0:1], v[2:3], v[0:1]
	ds_write_b64 v4, v[0:1]
.LBB169_33:
	s_or_b64 exec, exec, s[0:1]
	s_waitcnt lgkmcnt(0)
	s_barrier
	s_and_b64 exec, exec, vcc
	s_cbranch_execz .LBB169_48
; %bb.34:
	s_cmp_eq_u32 s15, 0
	s_cbranch_scc1 .LBB169_42
; %bb.35:
	s_lshl_b64 s[0:1], s[16:17], 2
	s_add_u32 s0, s8, s0
	s_addc_u32 s1, s9, s1
	v_mov_b32_e32 v0, 0
	s_branch .LBB169_37
.LBB169_36:                             ;   in Loop: Header=BB169_37 Depth=1
	s_or_b64 exec, exec, s[2:3]
	s_waitcnt vmcnt(0)
	v_readfirstlane_b32 s2, v1
	s_cmp_eq_u32 s2, s26
	s_cbranch_scc0 .LBB169_41
.LBB169_37:                             ; =>This Inner Loop Header: Depth=1
	v_mbcnt_lo_u32_b32 v1, exec_lo, 0
	v_mbcnt_hi_u32_b32 v1, exec_hi, v1
	v_cmp_eq_u32_e32 vcc, 0, v1
                                        ; implicit-def: $vgpr1
	s_and_saveexec_b64 s[2:3], vcc
	s_cbranch_execz .LBB169_36
; %bb.38:                               ;   in Loop: Header=BB169_37 Depth=1
	global_load_dword v1, v0, s[0:1] glc
	s_branch .LBB169_36
.LBB169_39:
	v_pk_mov_b32 v[4:5], s[8:9], s[8:9] op_sel:[0,1]
	flat_load_dword v3, v[4:5] offset:4
	s_and_b64 vcc, exec, s[0:1]
	v_mov_b32_e32 v1, s2
	s_cbranch_vccnz .LBB169_4
.LBB169_40:
	v_pk_mov_b32 v[4:5], s[2:3], s[2:3] op_sel:[0,1]
	flat_load_dword v1, v[4:5]
	s_and_b64 vcc, exec, s[0:1]
	v_mov_b32_e32 v5, s3
	s_cbranch_vccz .LBB169_5
	s_branch .LBB169_6
.LBB169_41:
	v_mov_b32_e32 v0, 0
	global_load_dword v1, v0, s[6:7]
	s_waitcnt vmcnt(0)
	v_xor_b32_e32 v1, 1, v1
	global_store_dword v0, v1, s[6:7]
.LBB169_42:
	v_mov_b32_e32 v4, 0
	ds_read_b64 v[0:1], v4
	s_mov_b64 s[4:5], exec
	v_mbcnt_lo_u32_b32 v2, s4, 0
	s_add_u32 s0, s10, s12
	v_mbcnt_hi_u32_b32 v2, s5, v2
	s_addc_u32 s1, s11, s13
	v_cmp_eq_u32_e32 vcc, 0, v2
	s_and_saveexec_b64 s[2:3], vcc
	s_cbranch_execz .LBB169_45
; %bb.43:
	global_load_dword v3, v4, s[0:1]
	s_bcnt1_i32_b64 s4, s[4:5]
	v_cvt_f32_ubyte0_e32 v2, s4
	s_waitcnt lgkmcnt(0)
	v_mul_f32_e32 v0, v0, v2
	s_mov_b64 s[4:5], 0
.LBB169_44:                             ; =>This Inner Loop Header: Depth=1
	s_waitcnt vmcnt(0)
	v_add_f32_e32 v2, v3, v0
	global_atomic_cmpswap v2, v4, v[2:3], s[0:1] glc
	s_waitcnt vmcnt(0)
	v_cmp_eq_u32_e32 vcc, v2, v3
	s_or_b64 s[4:5], vcc, s[4:5]
	v_mov_b32_e32 v3, v2
	s_andn2_b64 exec, exec, s[4:5]
	s_cbranch_execnz .LBB169_44
.LBB169_45:
	s_or_b64 exec, exec, s[2:3]
	s_mov_b64 s[2:3], exec
	s_waitcnt lgkmcnt(0)
	v_mbcnt_lo_u32_b32 v0, s2, 0
	v_mbcnt_hi_u32_b32 v0, s3, v0
	v_cmp_eq_u32_e32 vcc, 0, v0
	s_and_b64 s[4:5], exec, vcc
	s_mov_b64 exec, s[4:5]
	s_cbranch_execz .LBB169_48
; %bb.46:
	v_mov_b32_e32 v0, 0
	global_load_dword v3, v0, s[0:1] offset:4
	s_bcnt1_i32_b64 s2, s[2:3]
	v_cvt_f32_ubyte0_e32 v2, s2
	v_mul_f32_e32 v1, v1, v2
	s_mov_b64 s[2:3], 0
.LBB169_47:                             ; =>This Inner Loop Header: Depth=1
	s_waitcnt vmcnt(0)
	v_add_f32_e32 v2, v3, v1
	global_atomic_cmpswap v2, v0, v[2:3], s[0:1] offset:4 glc
	s_waitcnt vmcnt(0)
	v_cmp_eq_u32_e32 vcc, v2, v3
	s_or_b64 s[2:3], vcc, s[2:3]
	v_mov_b32_e32 v3, v2
	s_andn2_b64 exec, exec, s[2:3]
	s_cbranch_execnz .LBB169_47
.LBB169_48:
	s_endpgm
	.section	.rodata,"a",@progbits
	.p2align	6, 0x0
	.amdhsa_kernel _ZN9rocsparseL27csrmvn_lrb_long_rows_kernelIllf21rocsparse_complex_numIfES2_S2_EEvbT_PjPT0_S6_jNS_24const_host_device_scalarIT4_EEPKS3_PKS5_PKT1_PKT2_S9_PT3_21rocsparse_index_base_b
		.amdhsa_group_segment_fixed_size 2048
		.amdhsa_private_segment_fixed_size 0
		.amdhsa_kernarg_size 112
		.amdhsa_user_sgpr_count 6
		.amdhsa_user_sgpr_private_segment_buffer 1
		.amdhsa_user_sgpr_dispatch_ptr 0
		.amdhsa_user_sgpr_queue_ptr 0
		.amdhsa_user_sgpr_kernarg_segment_ptr 1
		.amdhsa_user_sgpr_dispatch_id 0
		.amdhsa_user_sgpr_flat_scratch_init 0
		.amdhsa_user_sgpr_kernarg_preload_length 0
		.amdhsa_user_sgpr_kernarg_preload_offset 0
		.amdhsa_user_sgpr_private_segment_size 0
		.amdhsa_uses_dynamic_stack 0
		.amdhsa_system_sgpr_private_segment_wavefront_offset 0
		.amdhsa_system_sgpr_workgroup_id_x 1
		.amdhsa_system_sgpr_workgroup_id_y 0
		.amdhsa_system_sgpr_workgroup_id_z 0
		.amdhsa_system_sgpr_workgroup_info 0
		.amdhsa_system_vgpr_workitem_id 0
		.amdhsa_next_free_vgpr 20
		.amdhsa_next_free_sgpr 32
		.amdhsa_accum_offset 20
		.amdhsa_reserve_vcc 1
		.amdhsa_reserve_flat_scratch 0
		.amdhsa_float_round_mode_32 0
		.amdhsa_float_round_mode_16_64 0
		.amdhsa_float_denorm_mode_32 3
		.amdhsa_float_denorm_mode_16_64 3
		.amdhsa_dx10_clamp 1
		.amdhsa_ieee_mode 1
		.amdhsa_fp16_overflow 0
		.amdhsa_tg_split 0
		.amdhsa_exception_fp_ieee_invalid_op 0
		.amdhsa_exception_fp_denorm_src 0
		.amdhsa_exception_fp_ieee_div_zero 0
		.amdhsa_exception_fp_ieee_overflow 0
		.amdhsa_exception_fp_ieee_underflow 0
		.amdhsa_exception_fp_ieee_inexact 0
		.amdhsa_exception_int_div_zero 0
	.end_amdhsa_kernel
	.section	.text._ZN9rocsparseL27csrmvn_lrb_long_rows_kernelIllf21rocsparse_complex_numIfES2_S2_EEvbT_PjPT0_S6_jNS_24const_host_device_scalarIT4_EEPKS3_PKS5_PKT1_PKT2_S9_PT3_21rocsparse_index_base_b,"axG",@progbits,_ZN9rocsparseL27csrmvn_lrb_long_rows_kernelIllf21rocsparse_complex_numIfES2_S2_EEvbT_PjPT0_S6_jNS_24const_host_device_scalarIT4_EEPKS3_PKS5_PKT1_PKT2_S9_PT3_21rocsparse_index_base_b,comdat
.Lfunc_end169:
	.size	_ZN9rocsparseL27csrmvn_lrb_long_rows_kernelIllf21rocsparse_complex_numIfES2_S2_EEvbT_PjPT0_S6_jNS_24const_host_device_scalarIT4_EEPKS3_PKS5_PKT1_PKT2_S9_PT3_21rocsparse_index_base_b, .Lfunc_end169-_ZN9rocsparseL27csrmvn_lrb_long_rows_kernelIllf21rocsparse_complex_numIfES2_S2_EEvbT_PjPT0_S6_jNS_24const_host_device_scalarIT4_EEPKS3_PKS5_PKT1_PKT2_S9_PT3_21rocsparse_index_base_b
                                        ; -- End function
	.section	.AMDGPU.csdata,"",@progbits
; Kernel info:
; codeLenInByte = 1856
; NumSgprs: 36
; NumVgprs: 20
; NumAgprs: 0
; TotalNumVgprs: 20
; ScratchSize: 0
; MemoryBound: 0
; FloatMode: 240
; IeeeMode: 1
; LDSByteSize: 2048 bytes/workgroup (compile time only)
; SGPRBlocks: 4
; VGPRBlocks: 2
; NumSGPRsForWavesPerEU: 36
; NumVGPRsForWavesPerEU: 20
; AccumOffset: 20
; Occupancy: 8
; WaveLimiterHint : 1
; COMPUTE_PGM_RSRC2:SCRATCH_EN: 0
; COMPUTE_PGM_RSRC2:USER_SGPR: 6
; COMPUTE_PGM_RSRC2:TRAP_HANDLER: 0
; COMPUTE_PGM_RSRC2:TGID_X_EN: 1
; COMPUTE_PGM_RSRC2:TGID_Y_EN: 0
; COMPUTE_PGM_RSRC2:TGID_Z_EN: 0
; COMPUTE_PGM_RSRC2:TIDIG_COMP_CNT: 0
; COMPUTE_PGM_RSRC3_GFX90A:ACCUM_OFFSET: 4
; COMPUTE_PGM_RSRC3_GFX90A:TG_SPLIT: 0
	.section	.text._ZN9rocsparseL28csrmvn_lrb_short_rows_kernelIiifdddEEvbT_PT0_S3_jNS_24const_host_device_scalarIT4_EEPKS1_PKS2_PKT1_PKT2_S6_PT3_21rocsparse_index_base_b,"axG",@progbits,_ZN9rocsparseL28csrmvn_lrb_short_rows_kernelIiifdddEEvbT_PT0_S3_jNS_24const_host_device_scalarIT4_EEPKS1_PKS2_PKT1_PKT2_S6_PT3_21rocsparse_index_base_b,comdat
	.globl	_ZN9rocsparseL28csrmvn_lrb_short_rows_kernelIiifdddEEvbT_PT0_S3_jNS_24const_host_device_scalarIT4_EEPKS1_PKS2_PKT1_PKT2_S6_PT3_21rocsparse_index_base_b ; -- Begin function _ZN9rocsparseL28csrmvn_lrb_short_rows_kernelIiifdddEEvbT_PT0_S3_jNS_24const_host_device_scalarIT4_EEPKS1_PKS2_PKT1_PKT2_S6_PT3_21rocsparse_index_base_b
	.p2align	8
	.type	_ZN9rocsparseL28csrmvn_lrb_short_rows_kernelIiifdddEEvbT_PT0_S3_jNS_24const_host_device_scalarIT4_EEPKS1_PKS2_PKT1_PKT2_S6_PT3_21rocsparse_index_base_b,@function
_ZN9rocsparseL28csrmvn_lrb_short_rows_kernelIiifdddEEvbT_PT0_S3_jNS_24const_host_device_scalarIT4_EEPKS1_PKS2_PKT1_PKT2_S6_PT3_21rocsparse_index_base_b: ; @_ZN9rocsparseL28csrmvn_lrb_short_rows_kernelIiifdddEEvbT_PT0_S3_jNS_24const_host_device_scalarIT4_EEPKS1_PKS2_PKT1_PKT2_S6_PT3_21rocsparse_index_base_b
; %bb.0:
	s_load_dwordx2 s[18:19], s[4:5], 0x58
	s_load_dwordx2 s[8:9], s[4:5], 0x20
	;; [unrolled: 1-line block ×3, first 2 shown]
	s_waitcnt lgkmcnt(0)
	s_bitcmp1_b32 s19, 0
	s_cselect_b64 s[10:11], -1, 0
	s_xor_b64 s[2:3], s[10:11], -1
	s_and_b64 vcc, exec, s[10:11]
	v_pk_mov_b32 v[4:5], s[8:9], s[8:9] op_sel:[0,1]
	s_cbranch_vccnz .LBB170_2
; %bb.1:
	v_pk_mov_b32 v[2:3], s[8:9], s[8:9] op_sel:[0,1]
	flat_load_dwordx2 v[4:5], v[2:3]
.LBB170_2:
	s_andn2_b64 vcc, exec, s[2:3]
	v_pk_mov_b32 v[2:3], s[0:1], s[0:1] op_sel:[0,1]
	s_cbranch_vccnz .LBB170_4
; %bb.3:
	v_pk_mov_b32 v[2:3], s[0:1], s[0:1] op_sel:[0,1]
	flat_load_dwordx2 v[2:3], v[2:3]
.LBB170_4:
	s_waitcnt vmcnt(0) lgkmcnt(0)
	v_cmp_neq_f64_e32 vcc, 0, v[4:5]
	v_cmp_neq_f64_e64 s[0:1], 1.0, v[2:3]
	s_or_b64 s[0:1], vcc, s[0:1]
	s_and_saveexec_b64 s[2:3], s[0:1]
	s_cbranch_execz .LBB170_18
; %bb.5:
	s_load_dword s16, s[4:5], 0x18
	s_load_dwordx4 s[0:3], s[4:5], 0x8
	s_mov_b32 s17, 0
	s_mov_b32 s9, s17
	s_waitcnt lgkmcnt(0)
	s_lshl_b64 s[10:11], s[16:17], 2
	s_add_u32 s10, s2, s10
	s_addc_u32 s11, s3, s11
	s_add_i32 s8, s16, 1
	s_lshl_b64 s[8:9], s[8:9], 2
	s_add_u32 s2, s2, s8
	s_addc_u32 s3, s3, s9
	s_load_dword s19, s[10:11], 0x0
	s_load_dword s7, s[2:3], 0x0
	s_lshl_b32 s20, s6, 8
	s_add_i32 s3, s20, 0x100
	s_waitcnt lgkmcnt(0)
	s_sub_i32 s2, s7, s19
	s_min_u32 s21, s2, s3
	s_cmp_gt_u32 s16, 23
	s_cbranch_scc1 .LBB170_12
; %bb.6:
	s_load_dwordx8 s[8:15], s[4:5], 0x28
	v_bfe_u32 v1, v0, 0, s16
	s_lshl_b32 s22, 0x100, s16
	v_subrev_u32_e32 v12, s18, v1
	v_lshl_add_u32 v13, v0, 3, 0
	v_mov_b32_e32 v7, 0
	s_branch .LBB170_9
.LBB170_7:                              ;   in Loop: Header=BB170_9 Depth=1
	s_or_b64 exec, exec, s[6:7]
	ds_write_b64 v13, v[8:9]
.LBB170_8:                              ;   in Loop: Header=BB170_9 Depth=1
	s_or_b64 exec, exec, s[2:3]
	s_addk_i32 s17, 0x100
	s_cmp_ge_u32 s17, s22
	v_add_u32_e32 v13, 0x800, v13
	s_cbranch_scc1 .LBB170_12
.LBB170_9:                              ; =>This Inner Loop Header: Depth=1
	v_add_u32_e32 v6, s17, v0
	v_lshrrev_b32_e32 v6, s16, v6
	v_add_u32_e32 v6, s20, v6
	v_cmp_gt_u32_e32 vcc, s21, v6
	s_and_saveexec_b64 s[2:3], vcc
	s_cbranch_execz .LBB170_8
; %bb.10:                               ;   in Loop: Header=BB170_9 Depth=1
	v_add_u32_e32 v6, s19, v6
	v_lshlrev_b64 v[8:9], 2, v[6:7]
	v_mov_b32_e32 v6, s1
	v_add_co_u32_e32 v8, vcc, s0, v8
	v_addc_co_u32_e32 v9, vcc, v6, v9, vcc
	global_load_dword v8, v[8:9], off
	s_waitcnt lgkmcnt(0)
	v_mov_b32_e32 v6, s9
	s_waitcnt vmcnt(0)
	v_ashrrev_i32_e32 v9, 31, v8
	v_lshlrev_b64 v[8:9], 2, v[8:9]
	v_add_co_u32_e32 v8, vcc, s8, v8
	v_addc_co_u32_e32 v9, vcc, v6, v9, vcc
	global_load_dwordx2 v[10:11], v[8:9], off
	v_pk_mov_b32 v[8:9], 0, 0
	s_waitcnt vmcnt(0)
	v_sub_u32_e32 v6, v11, v10
	v_cmp_lt_u32_e32 vcc, v1, v6
	s_and_saveexec_b64 s[6:7], vcc
	s_cbranch_execz .LBB170_7
; %bb.11:                               ;   in Loop: Header=BB170_9 Depth=1
	v_add_u32_e32 v6, v12, v10
	v_lshlrev_b64 v[8:9], 2, v[6:7]
	v_mov_b32_e32 v6, s11
	v_add_co_u32_e32 v10, vcc, s10, v8
	v_addc_co_u32_e32 v11, vcc, v6, v9, vcc
	global_load_dword v6, v[10:11], off
	v_mov_b32_e32 v10, s13
	v_add_co_u32_e32 v8, vcc, s12, v8
	v_addc_co_u32_e32 v9, vcc, v10, v9, vcc
	global_load_dword v10, v[8:9], off
	v_mov_b32_e32 v11, s15
	s_waitcnt vmcnt(1)
	v_subrev_u32_e32 v8, s18, v6
	v_ashrrev_i32_e32 v9, 31, v8
	v_lshlrev_b64 v[8:9], 3, v[8:9]
	v_add_co_u32_e32 v8, vcc, s14, v8
	v_addc_co_u32_e32 v9, vcc, v11, v9, vcc
	global_load_dwordx2 v[8:9], v[8:9], off
	s_waitcnt vmcnt(1)
	v_cvt_f64_f32_e32 v[10:11], v10
	v_mul_f64 v[10:11], v[4:5], v[10:11]
	s_waitcnt vmcnt(0)
	v_mul_f64 v[8:9], v[10:11], v[8:9]
	s_branch .LBB170_7
.LBB170_12:
	s_sub_i32 s2, s21, s20
	v_cmp_gt_u32_e32 vcc, s2, v0
	s_waitcnt lgkmcnt(0)
	s_barrier
	s_and_b64 exec, exec, vcc
	s_cbranch_execz .LBB170_18
; %bb.13:
	s_add_i32 s19, s19, s20
	v_add_u32_e32 v4, s19, v0
	v_mov_b32_e32 v5, 0
	v_lshlrev_b64 v[4:5], 2, v[4:5]
	v_mov_b32_e32 v1, s1
	v_add_co_u32_e32 v4, vcc, s0, v4
	v_addc_co_u32_e32 v5, vcc, v1, v5, vcc
	global_load_dword v4, v[4:5], off
	s_load_dwordx2 s[0:1], s[4:5], 0x50
	v_lshlrev_b32_e32 v0, s16, v0
	v_lshl_add_u32 v5, v0, 3, 0
	s_mov_b32 s2, 1
	v_pk_mov_b32 v[0:1], 0, 0
.LBB170_14:                             ; =>This Inner Loop Header: Depth=1
	ds_read_b64 v[6:7], v5
	s_lshr_b32 s3, s2, s16
	s_add_i32 s2, s2, 1
	v_add_u32_e32 v5, 8, v5
	s_cmp_lg_u32 s3, 0
	s_waitcnt lgkmcnt(0)
	v_add_f64 v[0:1], v[0:1], v[6:7]
	s_cbranch_scc0 .LBB170_14
; %bb.15:
	s_waitcnt vmcnt(0)
	v_ashrrev_i32_e32 v5, 31, v4
	v_cmp_neq_f64_e32 vcc, 0, v[2:3]
	v_lshlrev_b64 v[4:5], 3, v[4:5]
	s_and_saveexec_b64 s[2:3], vcc
	s_cbranch_execz .LBB170_17
; %bb.16:
	v_mov_b32_e32 v7, s1
	v_add_co_u32_e32 v6, vcc, s0, v4
	v_addc_co_u32_e32 v7, vcc, v7, v5, vcc
	global_load_dwordx2 v[6:7], v[6:7], off
	s_waitcnt vmcnt(0)
	v_fmac_f64_e32 v[0:1], v[2:3], v[6:7]
.LBB170_17:
	s_or_b64 exec, exec, s[2:3]
	v_mov_b32_e32 v3, s1
	v_add_co_u32_e32 v2, vcc, s0, v4
	v_addc_co_u32_e32 v3, vcc, v3, v5, vcc
	global_store_dwordx2 v[2:3], v[0:1], off
.LBB170_18:
	s_endpgm
	.section	.rodata,"a",@progbits
	.p2align	6, 0x0
	.amdhsa_kernel _ZN9rocsparseL28csrmvn_lrb_short_rows_kernelIiifdddEEvbT_PT0_S3_jNS_24const_host_device_scalarIT4_EEPKS1_PKS2_PKT1_PKT2_S6_PT3_21rocsparse_index_base_b
		.amdhsa_group_segment_fixed_size 0
		.amdhsa_private_segment_fixed_size 0
		.amdhsa_kernarg_size 96
		.amdhsa_user_sgpr_count 6
		.amdhsa_user_sgpr_private_segment_buffer 1
		.amdhsa_user_sgpr_dispatch_ptr 0
		.amdhsa_user_sgpr_queue_ptr 0
		.amdhsa_user_sgpr_kernarg_segment_ptr 1
		.amdhsa_user_sgpr_dispatch_id 0
		.amdhsa_user_sgpr_flat_scratch_init 0
		.amdhsa_user_sgpr_kernarg_preload_length 0
		.amdhsa_user_sgpr_kernarg_preload_offset 0
		.amdhsa_user_sgpr_private_segment_size 0
		.amdhsa_uses_dynamic_stack 0
		.amdhsa_system_sgpr_private_segment_wavefront_offset 0
		.amdhsa_system_sgpr_workgroup_id_x 1
		.amdhsa_system_sgpr_workgroup_id_y 0
		.amdhsa_system_sgpr_workgroup_id_z 0
		.amdhsa_system_sgpr_workgroup_info 0
		.amdhsa_system_vgpr_workitem_id 0
		.amdhsa_next_free_vgpr 14
		.amdhsa_next_free_sgpr 23
		.amdhsa_accum_offset 16
		.amdhsa_reserve_vcc 1
		.amdhsa_reserve_flat_scratch 0
		.amdhsa_float_round_mode_32 0
		.amdhsa_float_round_mode_16_64 0
		.amdhsa_float_denorm_mode_32 3
		.amdhsa_float_denorm_mode_16_64 3
		.amdhsa_dx10_clamp 1
		.amdhsa_ieee_mode 1
		.amdhsa_fp16_overflow 0
		.amdhsa_tg_split 0
		.amdhsa_exception_fp_ieee_invalid_op 0
		.amdhsa_exception_fp_denorm_src 0
		.amdhsa_exception_fp_ieee_div_zero 0
		.amdhsa_exception_fp_ieee_overflow 0
		.amdhsa_exception_fp_ieee_underflow 0
		.amdhsa_exception_fp_ieee_inexact 0
		.amdhsa_exception_int_div_zero 0
	.end_amdhsa_kernel
	.section	.text._ZN9rocsparseL28csrmvn_lrb_short_rows_kernelIiifdddEEvbT_PT0_S3_jNS_24const_host_device_scalarIT4_EEPKS1_PKS2_PKT1_PKT2_S6_PT3_21rocsparse_index_base_b,"axG",@progbits,_ZN9rocsparseL28csrmvn_lrb_short_rows_kernelIiifdddEEvbT_PT0_S3_jNS_24const_host_device_scalarIT4_EEPKS1_PKS2_PKT1_PKT2_S6_PT3_21rocsparse_index_base_b,comdat
.Lfunc_end170:
	.size	_ZN9rocsparseL28csrmvn_lrb_short_rows_kernelIiifdddEEvbT_PT0_S3_jNS_24const_host_device_scalarIT4_EEPKS1_PKS2_PKT1_PKT2_S6_PT3_21rocsparse_index_base_b, .Lfunc_end170-_ZN9rocsparseL28csrmvn_lrb_short_rows_kernelIiifdddEEvbT_PT0_S3_jNS_24const_host_device_scalarIT4_EEPKS1_PKS2_PKT1_PKT2_S6_PT3_21rocsparse_index_base_b
                                        ; -- End function
	.section	.AMDGPU.csdata,"",@progbits
; Kernel info:
; codeLenInByte = 784
; NumSgprs: 27
; NumVgprs: 14
; NumAgprs: 0
; TotalNumVgprs: 14
; ScratchSize: 0
; MemoryBound: 0
; FloatMode: 240
; IeeeMode: 1
; LDSByteSize: 0 bytes/workgroup (compile time only)
; SGPRBlocks: 3
; VGPRBlocks: 1
; NumSGPRsForWavesPerEU: 27
; NumVGPRsForWavesPerEU: 14
; AccumOffset: 16
; Occupancy: 8
; WaveLimiterHint : 1
; COMPUTE_PGM_RSRC2:SCRATCH_EN: 0
; COMPUTE_PGM_RSRC2:USER_SGPR: 6
; COMPUTE_PGM_RSRC2:TRAP_HANDLER: 0
; COMPUTE_PGM_RSRC2:TGID_X_EN: 1
; COMPUTE_PGM_RSRC2:TGID_Y_EN: 0
; COMPUTE_PGM_RSRC2:TGID_Z_EN: 0
; COMPUTE_PGM_RSRC2:TIDIG_COMP_CNT: 0
; COMPUTE_PGM_RSRC3_GFX90A:ACCUM_OFFSET: 3
; COMPUTE_PGM_RSRC3_GFX90A:TG_SPLIT: 0
	.section	.text._ZN9rocsparseL30csrmvn_lrb_short_rows_2_kernelIiifdddEEvbT_PT0_S3_jNS_24const_host_device_scalarIT4_EEPKS1_PKS2_PKT1_PKT2_S6_PT3_21rocsparse_index_base_b,"axG",@progbits,_ZN9rocsparseL30csrmvn_lrb_short_rows_2_kernelIiifdddEEvbT_PT0_S3_jNS_24const_host_device_scalarIT4_EEPKS1_PKS2_PKT1_PKT2_S6_PT3_21rocsparse_index_base_b,comdat
	.globl	_ZN9rocsparseL30csrmvn_lrb_short_rows_2_kernelIiifdddEEvbT_PT0_S3_jNS_24const_host_device_scalarIT4_EEPKS1_PKS2_PKT1_PKT2_S6_PT3_21rocsparse_index_base_b ; -- Begin function _ZN9rocsparseL30csrmvn_lrb_short_rows_2_kernelIiifdddEEvbT_PT0_S3_jNS_24const_host_device_scalarIT4_EEPKS1_PKS2_PKT1_PKT2_S6_PT3_21rocsparse_index_base_b
	.p2align	8
	.type	_ZN9rocsparseL30csrmvn_lrb_short_rows_2_kernelIiifdddEEvbT_PT0_S3_jNS_24const_host_device_scalarIT4_EEPKS1_PKS2_PKT1_PKT2_S6_PT3_21rocsparse_index_base_b,@function
_ZN9rocsparseL30csrmvn_lrb_short_rows_2_kernelIiifdddEEvbT_PT0_S3_jNS_24const_host_device_scalarIT4_EEPKS1_PKS2_PKT1_PKT2_S6_PT3_21rocsparse_index_base_b: ; @_ZN9rocsparseL30csrmvn_lrb_short_rows_2_kernelIiifdddEEvbT_PT0_S3_jNS_24const_host_device_scalarIT4_EEPKS1_PKS2_PKT1_PKT2_S6_PT3_21rocsparse_index_base_b
; %bb.0:
	s_load_dwordx2 s[20:21], s[4:5], 0x58
	s_load_dwordx2 s[8:9], s[4:5], 0x20
	;; [unrolled: 1-line block ×3, first 2 shown]
	s_waitcnt lgkmcnt(0)
	s_bitcmp1_b32 s21, 0
	s_cselect_b64 s[10:11], -1, 0
	s_xor_b64 s[2:3], s[10:11], -1
	s_and_b64 vcc, exec, s[10:11]
	v_pk_mov_b32 v[4:5], s[8:9], s[8:9] op_sel:[0,1]
	s_cbranch_vccnz .LBB171_2
; %bb.1:
	v_pk_mov_b32 v[2:3], s[8:9], s[8:9] op_sel:[0,1]
	flat_load_dwordx2 v[4:5], v[2:3]
.LBB171_2:
	s_andn2_b64 vcc, exec, s[2:3]
	v_pk_mov_b32 v[2:3], s[0:1], s[0:1] op_sel:[0,1]
	s_cbranch_vccnz .LBB171_4
; %bb.3:
	v_pk_mov_b32 v[2:3], s[0:1], s[0:1] op_sel:[0,1]
	flat_load_dwordx2 v[2:3], v[2:3]
.LBB171_4:
	s_waitcnt vmcnt(0) lgkmcnt(0)
	v_cmp_neq_f64_e32 vcc, 0, v[4:5]
	v_cmp_neq_f64_e64 s[0:1], 1.0, v[2:3]
	s_or_b64 s[0:1], vcc, s[0:1]
	s_and_saveexec_b64 s[2:3], s[0:1]
	s_cbranch_execz .LBB171_30
; %bb.5:
	s_load_dword s2, s[4:5], 0x18
	s_load_dwordx4 s[16:19], s[4:5], 0x8
	s_mov_b32 s3, 0
	s_mov_b32 s1, s3
	s_waitcnt lgkmcnt(0)
	s_lshl_b64 s[8:9], s[2:3], 2
	s_add_u32 s22, s18, s8
	s_addc_u32 s23, s19, s9
	s_add_i32 s0, s2, 1
	s_lshl_b64 s[0:1], s[0:1], 2
	s_add_u32 s0, s18, s0
	s_addc_u32 s1, s19, s1
	s_load_dword s7, s[22:23], 0x0
	s_load_dword s21, s[0:1], 0x0
	s_load_dwordx2 s[18:19], s[4:5], 0x50
	s_load_dwordx8 s[8:15], s[4:5], 0x28
	s_lshr_b32 s3, 0x400, s2
	s_mul_i32 s6, s3, s6
	s_waitcnt lgkmcnt(0)
	s_sub_i32 s0, s21, s7
	s_add_i32 s1, s6, s3
	v_lshrrev_b32_e32 v6, s2, v0
	s_min_u32 s21, s0, s1
	v_bfe_u32 v12, v0, 0, s2
	v_add_u32_e32 v6, s6, v6
	v_subrev_u32_e32 v1, s20, v12
	v_cmp_gt_u32_e32 vcc, s21, v6
	s_and_saveexec_b64 s[0:1], vcc
	s_cbranch_execz .LBB171_9
; %bb.6:
	v_add_u32_e32 v6, s7, v6
	v_mov_b32_e32 v7, 0
	v_lshlrev_b64 v[8:9], 2, v[6:7]
	v_mov_b32_e32 v6, s17
	v_add_co_u32_e32 v8, vcc, s16, v8
	v_addc_co_u32_e32 v9, vcc, v6, v9, vcc
	global_load_dword v8, v[8:9], off
	v_mov_b32_e32 v6, s9
	s_waitcnt vmcnt(0)
	v_ashrrev_i32_e32 v9, 31, v8
	v_lshlrev_b64 v[8:9], 2, v[8:9]
	v_add_co_u32_e32 v8, vcc, s8, v8
	v_addc_co_u32_e32 v9, vcc, v6, v9, vcc
	global_load_dwordx2 v[10:11], v[8:9], off
	v_pk_mov_b32 v[8:9], 0, 0
	s_waitcnt vmcnt(0)
	v_sub_u32_e32 v6, v11, v10
	v_cmp_lt_u32_e32 vcc, v12, v6
	s_and_saveexec_b64 s[4:5], vcc
	s_cbranch_execz .LBB171_8
; %bb.7:
	v_add_u32_e32 v6, v10, v1
	v_lshlrev_b64 v[6:7], 2, v[6:7]
	v_mov_b32_e32 v9, s11
	v_add_co_u32_e32 v8, vcc, s10, v6
	v_addc_co_u32_e32 v9, vcc, v9, v7, vcc
	global_load_dword v8, v[8:9], off
	v_mov_b32_e32 v9, s13
	v_add_co_u32_e32 v6, vcc, s12, v6
	v_addc_co_u32_e32 v7, vcc, v9, v7, vcc
	global_load_dword v9, v[6:7], off
	v_mov_b32_e32 v10, s15
	s_waitcnt vmcnt(1)
	v_subrev_u32_e32 v6, s20, v8
	v_ashrrev_i32_e32 v7, 31, v6
	v_lshlrev_b64 v[6:7], 3, v[6:7]
	v_add_co_u32_e32 v6, vcc, s14, v6
	v_addc_co_u32_e32 v7, vcc, v10, v7, vcc
	global_load_dwordx2 v[6:7], v[6:7], off
	s_waitcnt vmcnt(1)
	v_cvt_f64_f32_e32 v[8:9], v9
	v_mul_f64 v[8:9], v[4:5], v[8:9]
	s_waitcnt vmcnt(0)
	v_mul_f64 v[8:9], v[8:9], v[6:7]
.LBB171_8:
	s_or_b64 exec, exec, s[4:5]
	v_lshlrev_b32_e32 v6, 3, v0
	ds_write_b64 v6, v[8:9]
.LBB171_9:
	s_or_b64 exec, exec, s[0:1]
	v_or_b32_e32 v6, 0x100, v0
	v_lshrrev_b32_e32 v6, s2, v6
	v_add_u32_e32 v6, s6, v6
	v_cmp_gt_u32_e32 vcc, s21, v6
	s_and_saveexec_b64 s[0:1], vcc
	s_cbranch_execz .LBB171_13
; %bb.10:
	v_add_u32_e32 v6, s7, v6
	v_mov_b32_e32 v7, 0
	v_lshlrev_b64 v[8:9], 2, v[6:7]
	v_mov_b32_e32 v6, s17
	v_add_co_u32_e32 v8, vcc, s16, v8
	v_addc_co_u32_e32 v9, vcc, v6, v9, vcc
	global_load_dword v8, v[8:9], off
	v_mov_b32_e32 v6, s9
	s_waitcnt vmcnt(0)
	v_ashrrev_i32_e32 v9, 31, v8
	v_lshlrev_b64 v[8:9], 2, v[8:9]
	v_add_co_u32_e32 v8, vcc, s8, v8
	v_addc_co_u32_e32 v9, vcc, v6, v9, vcc
	global_load_dwordx2 v[10:11], v[8:9], off
	v_pk_mov_b32 v[8:9], 0, 0
	s_waitcnt vmcnt(0)
	v_sub_u32_e32 v6, v11, v10
	v_cmp_lt_u32_e32 vcc, v12, v6
	s_and_saveexec_b64 s[4:5], vcc
	s_cbranch_execz .LBB171_12
; %bb.11:
	v_add_u32_e32 v6, v10, v1
	v_lshlrev_b64 v[6:7], 2, v[6:7]
	v_mov_b32_e32 v9, s11
	v_add_co_u32_e32 v8, vcc, s10, v6
	v_addc_co_u32_e32 v9, vcc, v9, v7, vcc
	global_load_dword v8, v[8:9], off
	v_mov_b32_e32 v9, s13
	v_add_co_u32_e32 v6, vcc, s12, v6
	v_addc_co_u32_e32 v7, vcc, v9, v7, vcc
	global_load_dword v9, v[6:7], off
	v_mov_b32_e32 v10, s15
	s_waitcnt vmcnt(1)
	v_subrev_u32_e32 v6, s20, v8
	v_ashrrev_i32_e32 v7, 31, v6
	v_lshlrev_b64 v[6:7], 3, v[6:7]
	v_add_co_u32_e32 v6, vcc, s14, v6
	v_addc_co_u32_e32 v7, vcc, v10, v7, vcc
	global_load_dwordx2 v[6:7], v[6:7], off
	s_waitcnt vmcnt(1)
	v_cvt_f64_f32_e32 v[8:9], v9
	v_mul_f64 v[8:9], v[4:5], v[8:9]
	s_waitcnt vmcnt(0)
	v_mul_f64 v[8:9], v[8:9], v[6:7]
.LBB171_12:
	s_or_b64 exec, exec, s[4:5]
	v_lshlrev_b32_e32 v6, 3, v0
	ds_write_b64 v6, v[8:9] offset:2048
.LBB171_13:
	s_or_b64 exec, exec, s[0:1]
	v_or_b32_e32 v6, 0x200, v0
	v_lshrrev_b32_e32 v6, s2, v6
	v_add_u32_e32 v6, s6, v6
	v_cmp_gt_u32_e32 vcc, s21, v6
	s_and_saveexec_b64 s[0:1], vcc
	s_cbranch_execz .LBB171_17
; %bb.14:
	v_add_u32_e32 v6, s7, v6
	v_mov_b32_e32 v7, 0
	v_lshlrev_b64 v[8:9], 2, v[6:7]
	v_mov_b32_e32 v6, s17
	v_add_co_u32_e32 v8, vcc, s16, v8
	v_addc_co_u32_e32 v9, vcc, v6, v9, vcc
	global_load_dword v8, v[8:9], off
	v_mov_b32_e32 v6, s9
	s_waitcnt vmcnt(0)
	v_ashrrev_i32_e32 v9, 31, v8
	v_lshlrev_b64 v[8:9], 2, v[8:9]
	v_add_co_u32_e32 v8, vcc, s8, v8
	v_addc_co_u32_e32 v9, vcc, v6, v9, vcc
	global_load_dwordx2 v[10:11], v[8:9], off
	v_pk_mov_b32 v[8:9], 0, 0
	s_waitcnt vmcnt(0)
	v_sub_u32_e32 v6, v11, v10
	v_cmp_lt_u32_e32 vcc, v12, v6
	s_and_saveexec_b64 s[4:5], vcc
	s_cbranch_execz .LBB171_16
; %bb.15:
	v_add_u32_e32 v6, v10, v1
	v_lshlrev_b64 v[6:7], 2, v[6:7]
	v_mov_b32_e32 v9, s11
	v_add_co_u32_e32 v8, vcc, s10, v6
	v_addc_co_u32_e32 v9, vcc, v9, v7, vcc
	global_load_dword v8, v[8:9], off
	v_mov_b32_e32 v9, s13
	v_add_co_u32_e32 v6, vcc, s12, v6
	v_addc_co_u32_e32 v7, vcc, v9, v7, vcc
	global_load_dword v9, v[6:7], off
	v_mov_b32_e32 v10, s15
	s_waitcnt vmcnt(1)
	v_subrev_u32_e32 v6, s20, v8
	v_ashrrev_i32_e32 v7, 31, v6
	v_lshlrev_b64 v[6:7], 3, v[6:7]
	v_add_co_u32_e32 v6, vcc, s14, v6
	v_addc_co_u32_e32 v7, vcc, v10, v7, vcc
	global_load_dwordx2 v[6:7], v[6:7], off
	s_waitcnt vmcnt(1)
	v_cvt_f64_f32_e32 v[8:9], v9
	v_mul_f64 v[8:9], v[4:5], v[8:9]
	s_waitcnt vmcnt(0)
	v_mul_f64 v[8:9], v[8:9], v[6:7]
.LBB171_16:
	s_or_b64 exec, exec, s[4:5]
	v_lshlrev_b32_e32 v6, 3, v0
	ds_write_b64 v6, v[8:9] offset:4096
.LBB171_17:
	;; [unrolled: 57-line block ×3, first 2 shown]
	s_or_b64 exec, exec, s[0:1]
	s_cmp_lt_u32 s2, 11
	s_waitcnt lgkmcnt(0)
	s_barrier
	s_cbranch_scc0 .LBB171_30
; %bb.22:
	s_sub_i32 s8, s21, s6
	s_add_i32 s9, s7, s6
	v_cmp_neq_f64_e32 vcc, 0, v[2:3]
	s_mov_b32 s10, 0
	v_mov_b32_e32 v5, 0
	s_branch .LBB171_25
.LBB171_23:                             ;   in Loop: Header=BB171_25 Depth=1
	s_or_b64 exec, exec, s[6:7]
	v_mov_b32_e32 v1, s19
	v_add_co_u32_e64 v8, s[0:1], s18, v8
	v_addc_co_u32_e64 v9, s[0:1], v1, v9, s[0:1]
	global_store_dwordx2 v[8:9], v[6:7], off
.LBB171_24:                             ;   in Loop: Header=BB171_25 Depth=1
	s_or_b64 exec, exec, s[4:5]
	s_addk_i32 s10, 0x100
	s_cmp_lt_u32 s10, s3
	s_cbranch_scc0 .LBB171_30
.LBB171_25:                             ; =>This Loop Header: Depth=1
                                        ;     Child Loop BB171_27 Depth 2
	v_add_u32_e32 v1, s10, v0
	v_cmp_gt_u32_e64 s[0:1], s8, v1
	s_and_saveexec_b64 s[4:5], s[0:1]
	s_cbranch_execz .LBB171_24
; %bb.26:                               ;   in Loop: Header=BB171_25 Depth=1
	v_add_u32_e32 v4, s9, v1
	v_lshlrev_b64 v[6:7], 2, v[4:5]
	v_mov_b32_e32 v4, s17
	v_add_co_u32_e64 v6, s[0:1], s16, v6
	v_addc_co_u32_e64 v7, s[0:1], v4, v7, s[0:1]
	global_load_dword v8, v[6:7], off
	v_lshlrev_b32_e32 v1, s2, v1
	v_lshlrev_b32_e32 v1, 3, v1
	s_mov_b32 s0, 1
	v_pk_mov_b32 v[6:7], 0, 0
.LBB171_27:                             ;   Parent Loop BB171_25 Depth=1
                                        ; =>  This Inner Loop Header: Depth=2
	ds_read_b64 v[10:11], v1
	s_lshr_b32 s1, s0, s2
	s_add_i32 s0, s0, 1
	v_add_u32_e32 v1, 8, v1
	s_cmp_lg_u32 s1, 0
	s_waitcnt lgkmcnt(0)
	v_add_f64 v[6:7], v[6:7], v[10:11]
	s_cbranch_scc0 .LBB171_27
; %bb.28:                               ;   in Loop: Header=BB171_25 Depth=1
	s_waitcnt vmcnt(0)
	v_ashrrev_i32_e32 v9, 31, v8
	v_lshlrev_b64 v[8:9], 3, v[8:9]
	s_and_saveexec_b64 s[6:7], vcc
	s_cbranch_execz .LBB171_23
; %bb.29:                               ;   in Loop: Header=BB171_25 Depth=1
	v_mov_b32_e32 v1, s19
	v_add_co_u32_e64 v10, s[0:1], s18, v8
	v_addc_co_u32_e64 v11, s[0:1], v1, v9, s[0:1]
	global_load_dwordx2 v[10:11], v[10:11], off
	s_waitcnt vmcnt(0)
	v_fmac_f64_e32 v[6:7], v[2:3], v[10:11]
	s_branch .LBB171_23
.LBB171_30:
	s_endpgm
	.section	.rodata,"a",@progbits
	.p2align	6, 0x0
	.amdhsa_kernel _ZN9rocsparseL30csrmvn_lrb_short_rows_2_kernelIiifdddEEvbT_PT0_S3_jNS_24const_host_device_scalarIT4_EEPKS1_PKS2_PKT1_PKT2_S6_PT3_21rocsparse_index_base_b
		.amdhsa_group_segment_fixed_size 8192
		.amdhsa_private_segment_fixed_size 0
		.amdhsa_kernarg_size 96
		.amdhsa_user_sgpr_count 6
		.amdhsa_user_sgpr_private_segment_buffer 1
		.amdhsa_user_sgpr_dispatch_ptr 0
		.amdhsa_user_sgpr_queue_ptr 0
		.amdhsa_user_sgpr_kernarg_segment_ptr 1
		.amdhsa_user_sgpr_dispatch_id 0
		.amdhsa_user_sgpr_flat_scratch_init 0
		.amdhsa_user_sgpr_kernarg_preload_length 0
		.amdhsa_user_sgpr_kernarg_preload_offset 0
		.amdhsa_user_sgpr_private_segment_size 0
		.amdhsa_uses_dynamic_stack 0
		.amdhsa_system_sgpr_private_segment_wavefront_offset 0
		.amdhsa_system_sgpr_workgroup_id_x 1
		.amdhsa_system_sgpr_workgroup_id_y 0
		.amdhsa_system_sgpr_workgroup_id_z 0
		.amdhsa_system_sgpr_workgroup_info 0
		.amdhsa_system_vgpr_workitem_id 0
		.amdhsa_next_free_vgpr 13
		.amdhsa_next_free_sgpr 24
		.amdhsa_accum_offset 16
		.amdhsa_reserve_vcc 1
		.amdhsa_reserve_flat_scratch 0
		.amdhsa_float_round_mode_32 0
		.amdhsa_float_round_mode_16_64 0
		.amdhsa_float_denorm_mode_32 3
		.amdhsa_float_denorm_mode_16_64 3
		.amdhsa_dx10_clamp 1
		.amdhsa_ieee_mode 1
		.amdhsa_fp16_overflow 0
		.amdhsa_tg_split 0
		.amdhsa_exception_fp_ieee_invalid_op 0
		.amdhsa_exception_fp_denorm_src 0
		.amdhsa_exception_fp_ieee_div_zero 0
		.amdhsa_exception_fp_ieee_overflow 0
		.amdhsa_exception_fp_ieee_underflow 0
		.amdhsa_exception_fp_ieee_inexact 0
		.amdhsa_exception_int_div_zero 0
	.end_amdhsa_kernel
	.section	.text._ZN9rocsparseL30csrmvn_lrb_short_rows_2_kernelIiifdddEEvbT_PT0_S3_jNS_24const_host_device_scalarIT4_EEPKS1_PKS2_PKT1_PKT2_S6_PT3_21rocsparse_index_base_b,"axG",@progbits,_ZN9rocsparseL30csrmvn_lrb_short_rows_2_kernelIiifdddEEvbT_PT0_S3_jNS_24const_host_device_scalarIT4_EEPKS1_PKS2_PKT1_PKT2_S6_PT3_21rocsparse_index_base_b,comdat
.Lfunc_end171:
	.size	_ZN9rocsparseL30csrmvn_lrb_short_rows_2_kernelIiifdddEEvbT_PT0_S3_jNS_24const_host_device_scalarIT4_EEPKS1_PKS2_PKT1_PKT2_S6_PT3_21rocsparse_index_base_b, .Lfunc_end171-_ZN9rocsparseL30csrmvn_lrb_short_rows_2_kernelIiifdddEEvbT_PT0_S3_jNS_24const_host_device_scalarIT4_EEPKS1_PKS2_PKT1_PKT2_S6_PT3_21rocsparse_index_base_b
                                        ; -- End function
	.section	.AMDGPU.csdata,"",@progbits
; Kernel info:
; codeLenInByte = 1600
; NumSgprs: 28
; NumVgprs: 13
; NumAgprs: 0
; TotalNumVgprs: 13
; ScratchSize: 0
; MemoryBound: 0
; FloatMode: 240
; IeeeMode: 1
; LDSByteSize: 8192 bytes/workgroup (compile time only)
; SGPRBlocks: 3
; VGPRBlocks: 1
; NumSGPRsForWavesPerEU: 28
; NumVGPRsForWavesPerEU: 13
; AccumOffset: 16
; Occupancy: 8
; WaveLimiterHint : 1
; COMPUTE_PGM_RSRC2:SCRATCH_EN: 0
; COMPUTE_PGM_RSRC2:USER_SGPR: 6
; COMPUTE_PGM_RSRC2:TRAP_HANDLER: 0
; COMPUTE_PGM_RSRC2:TGID_X_EN: 1
; COMPUTE_PGM_RSRC2:TGID_Y_EN: 0
; COMPUTE_PGM_RSRC2:TGID_Z_EN: 0
; COMPUTE_PGM_RSRC2:TIDIG_COMP_CNT: 0
; COMPUTE_PGM_RSRC3_GFX90A:ACCUM_OFFSET: 3
; COMPUTE_PGM_RSRC3_GFX90A:TG_SPLIT: 0
	.section	.text._ZN9rocsparseL41csrmvn_lrb_medium_rows_warp_reduce_kernelILj256ELj32EiifdddEEvbT1_lPT2_S3_jNS_24const_host_device_scalarIT6_EEPKS1_PKS2_PKT3_PKT4_S6_PT5_21rocsparse_index_base_b,"axG",@progbits,_ZN9rocsparseL41csrmvn_lrb_medium_rows_warp_reduce_kernelILj256ELj32EiifdddEEvbT1_lPT2_S3_jNS_24const_host_device_scalarIT6_EEPKS1_PKS2_PKT3_PKT4_S6_PT5_21rocsparse_index_base_b,comdat
	.globl	_ZN9rocsparseL41csrmvn_lrb_medium_rows_warp_reduce_kernelILj256ELj32EiifdddEEvbT1_lPT2_S3_jNS_24const_host_device_scalarIT6_EEPKS1_PKS2_PKT3_PKT4_S6_PT5_21rocsparse_index_base_b ; -- Begin function _ZN9rocsparseL41csrmvn_lrb_medium_rows_warp_reduce_kernelILj256ELj32EiifdddEEvbT1_lPT2_S3_jNS_24const_host_device_scalarIT6_EEPKS1_PKS2_PKT3_PKT4_S6_PT5_21rocsparse_index_base_b
	.p2align	8
	.type	_ZN9rocsparseL41csrmvn_lrb_medium_rows_warp_reduce_kernelILj256ELj32EiifdddEEvbT1_lPT2_S3_jNS_24const_host_device_scalarIT6_EEPKS1_PKS2_PKT3_PKT4_S6_PT5_21rocsparse_index_base_b,@function
_ZN9rocsparseL41csrmvn_lrb_medium_rows_warp_reduce_kernelILj256ELj32EiifdddEEvbT1_lPT2_S3_jNS_24const_host_device_scalarIT6_EEPKS1_PKS2_PKT3_PKT4_S6_PT5_21rocsparse_index_base_b: ; @_ZN9rocsparseL41csrmvn_lrb_medium_rows_warp_reduce_kernelILj256ELj32EiifdddEEvbT1_lPT2_S3_jNS_24const_host_device_scalarIT6_EEPKS1_PKS2_PKT3_PKT4_S6_PT5_21rocsparse_index_base_b
; %bb.0:
	s_load_dwordx2 s[8:9], s[4:5], 0x60
	s_load_dwordx2 s[10:11], s[4:5], 0x28
	;; [unrolled: 1-line block ×3, first 2 shown]
	s_waitcnt lgkmcnt(0)
	s_bitcmp1_b32 s9, 0
	s_cselect_b64 s[12:13], -1, 0
	s_xor_b64 s[2:3], s[12:13], -1
	s_and_b64 vcc, exec, s[12:13]
	v_pk_mov_b32 v[4:5], s[10:11], s[10:11] op_sel:[0,1]
	s_cbranch_vccnz .LBB172_2
; %bb.1:
	v_pk_mov_b32 v[2:3], s[10:11], s[10:11] op_sel:[0,1]
	flat_load_dwordx2 v[4:5], v[2:3]
.LBB172_2:
	s_andn2_b64 vcc, exec, s[2:3]
	v_pk_mov_b32 v[2:3], s[0:1], s[0:1] op_sel:[0,1]
	s_cbranch_vccnz .LBB172_4
; %bb.3:
	v_pk_mov_b32 v[2:3], s[0:1], s[0:1] op_sel:[0,1]
	flat_load_dwordx2 v[2:3], v[2:3]
.LBB172_4:
	s_waitcnt vmcnt(0) lgkmcnt(0)
	v_cmp_neq_f64_e32 vcc, 0, v[4:5]
	v_cmp_neq_f64_e64 s[0:1], 1.0, v[2:3]
	s_or_b64 s[0:1], vcc, s[0:1]
	s_and_saveexec_b64 s[2:3], s[0:1]
	s_cbranch_execz .LBB172_14
; %bb.5:
	s_load_dwordx2 s[0:1], s[4:5], 0x8
	v_lshrrev_b32_e32 v1, 5, v0
	v_lshl_or_b32 v6, s6, 3, v1
	v_ashrrev_i32_e32 v7, 31, v6
	s_waitcnt lgkmcnt(0)
	v_cmp_gt_i64_e32 vcc, s[0:1], v[6:7]
	s_and_b64 exec, exec, vcc
	s_cbranch_execz .LBB172_14
; %bb.6:
	s_load_dword s6, s[4:5], 0x20
	s_load_dwordx4 s[0:3], s[4:5], 0x10
	s_mov_b32 s7, 0
	v_and_b32_e32 v10, 31, v0
	v_subrev_u32_e32 v0, s8, v10
	s_waitcnt lgkmcnt(0)
	s_lshl_b64 s[6:7], s[6:7], 2
	s_add_u32 s2, s2, s6
	s_addc_u32 s3, s3, s7
	s_load_dword s2, s[2:3], 0x0
	v_mov_b32_e32 v1, s1
	s_load_dwordx2 s[6:7], s[4:5], 0x58
	s_waitcnt lgkmcnt(0)
	v_add_u32_e32 v6, s2, v6
	v_ashrrev_i32_e32 v7, 31, v6
	v_lshlrev_b64 v[6:7], 2, v[6:7]
	v_add_co_u32_e32 v6, vcc, s0, v6
	v_addc_co_u32_e32 v7, vcc, v1, v7, vcc
	global_load_dword v6, v[6:7], off
	s_load_dwordx2 s[0:1], s[4:5], 0x30
	s_waitcnt lgkmcnt(0)
	v_mov_b32_e32 v1, s1
	s_waitcnt vmcnt(0)
	v_ashrrev_i32_e32 v7, 31, v6
	v_lshlrev_b64 v[8:9], 2, v[6:7]
	v_add_co_u32_e32 v8, vcc, s0, v8
	v_addc_co_u32_e32 v9, vcc, v1, v9, vcc
	global_load_dwordx2 v[8:9], v[8:9], off
	s_waitcnt vmcnt(0)
	v_subrev_u32_e32 v11, s8, v9
	v_add_u32_e32 v8, v8, v0
	v_cmp_lt_i32_e32 vcc, v8, v11
	v_pk_mov_b32 v[0:1], 0, 0
	s_and_saveexec_b64 s[10:11], vcc
	s_cbranch_execz .LBB172_10
; %bb.7:
	s_load_dwordx4 s[0:3], s[4:5], 0x38
	s_load_dwordx2 s[12:13], s[4:5], 0x48
	s_mov_b64 s[4:5], 0
	v_pk_mov_b32 v[0:1], 0, 0
	s_waitcnt lgkmcnt(0)
	v_mov_b32_e32 v12, s3
	v_mov_b32_e32 v13, s1
	;; [unrolled: 1-line block ×3, first 2 shown]
.LBB172_8:                              ; =>This Inner Loop Header: Depth=1
	v_ashrrev_i32_e32 v9, 31, v8
	v_lshlrev_b64 v[16:17], 2, v[8:9]
	v_add_co_u32_e32 v18, vcc, s0, v16
	v_addc_co_u32_e32 v19, vcc, v13, v17, vcc
	global_load_dword v9, v[18:19], off
	v_add_co_u32_e32 v16, vcc, s2, v16
	v_addc_co_u32_e32 v17, vcc, v12, v17, vcc
	global_load_dword v15, v[16:17], off
	v_add_u32_e32 v8, 32, v8
	s_waitcnt vmcnt(1)
	v_subrev_u32_e32 v16, s8, v9
	v_ashrrev_i32_e32 v17, 31, v16
	v_lshlrev_b64 v[16:17], 3, v[16:17]
	v_add_co_u32_e32 v16, vcc, s12, v16
	v_addc_co_u32_e32 v17, vcc, v14, v17, vcc
	global_load_dwordx2 v[16:17], v[16:17], off
	s_waitcnt vmcnt(1)
	v_cvt_f64_f32_e32 v[18:19], v15
	v_mul_f64 v[18:19], v[4:5], v[18:19]
	v_cmp_ge_i32_e32 vcc, v8, v11
	s_or_b64 s[4:5], vcc, s[4:5]
	s_waitcnt vmcnt(0)
	v_fmac_f64_e32 v[0:1], v[18:19], v[16:17]
	s_andn2_b64 exec, exec, s[4:5]
	s_cbranch_execnz .LBB172_8
; %bb.9:
	s_or_b64 exec, exec, s[4:5]
.LBB172_10:
	s_or_b64 exec, exec, s[10:11]
	v_mov_b32_dpp v4, v0 row_shr:1 row_mask:0xf bank_mask:0xf
	v_mov_b32_dpp v5, v1 row_shr:1 row_mask:0xf bank_mask:0xf
	v_add_f64 v[0:1], v[0:1], v[4:5]
	v_cmp_eq_u32_e32 vcc, 31, v10
	s_nop 0
	v_mov_b32_dpp v4, v0 row_shr:2 row_mask:0xf bank_mask:0xf
	v_mov_b32_dpp v5, v1 row_shr:2 row_mask:0xf bank_mask:0xf
	v_add_f64 v[0:1], v[0:1], v[4:5]
	s_nop 1
	v_mov_b32_dpp v4, v0 row_shr:4 row_mask:0xf bank_mask:0xe
	v_mov_b32_dpp v5, v1 row_shr:4 row_mask:0xf bank_mask:0xe
	v_add_f64 v[0:1], v[0:1], v[4:5]
	;; [unrolled: 4-line block ×3, first 2 shown]
	s_nop 1
	v_mov_b32_dpp v4, v0 row_bcast:15 row_mask:0xa bank_mask:0xf
	v_mov_b32_dpp v5, v1 row_bcast:15 row_mask:0xa bank_mask:0xf
	s_and_b64 exec, exec, vcc
	s_cbranch_execz .LBB172_14
; %bb.11:
	v_add_f64 v[0:1], v[0:1], v[4:5]
	v_cmp_neq_f64_e32 vcc, 0, v[2:3]
	v_lshlrev_b64 v[4:5], 3, v[6:7]
	s_and_saveexec_b64 s[0:1], vcc
	s_cbranch_execz .LBB172_13
; %bb.12:
	v_mov_b32_e32 v7, s7
	v_add_co_u32_e32 v6, vcc, s6, v4
	v_addc_co_u32_e32 v7, vcc, v7, v5, vcc
	global_load_dwordx2 v[6:7], v[6:7], off
	s_waitcnt vmcnt(0)
	v_fmac_f64_e32 v[0:1], v[2:3], v[6:7]
.LBB172_13:
	s_or_b64 exec, exec, s[0:1]
	v_mov_b32_e32 v3, s7
	v_add_co_u32_e32 v2, vcc, s6, v4
	v_addc_co_u32_e32 v3, vcc, v3, v5, vcc
	global_store_dwordx2 v[2:3], v[0:1], off
.LBB172_14:
	s_endpgm
	.section	.rodata,"a",@progbits
	.p2align	6, 0x0
	.amdhsa_kernel _ZN9rocsparseL41csrmvn_lrb_medium_rows_warp_reduce_kernelILj256ELj32EiifdddEEvbT1_lPT2_S3_jNS_24const_host_device_scalarIT6_EEPKS1_PKS2_PKT3_PKT4_S6_PT5_21rocsparse_index_base_b
		.amdhsa_group_segment_fixed_size 0
		.amdhsa_private_segment_fixed_size 0
		.amdhsa_kernarg_size 104
		.amdhsa_user_sgpr_count 6
		.amdhsa_user_sgpr_private_segment_buffer 1
		.amdhsa_user_sgpr_dispatch_ptr 0
		.amdhsa_user_sgpr_queue_ptr 0
		.amdhsa_user_sgpr_kernarg_segment_ptr 1
		.amdhsa_user_sgpr_dispatch_id 0
		.amdhsa_user_sgpr_flat_scratch_init 0
		.amdhsa_user_sgpr_kernarg_preload_length 0
		.amdhsa_user_sgpr_kernarg_preload_offset 0
		.amdhsa_user_sgpr_private_segment_size 0
		.amdhsa_uses_dynamic_stack 0
		.amdhsa_system_sgpr_private_segment_wavefront_offset 0
		.amdhsa_system_sgpr_workgroup_id_x 1
		.amdhsa_system_sgpr_workgroup_id_y 0
		.amdhsa_system_sgpr_workgroup_id_z 0
		.amdhsa_system_sgpr_workgroup_info 0
		.amdhsa_system_vgpr_workitem_id 0
		.amdhsa_next_free_vgpr 20
		.amdhsa_next_free_sgpr 14
		.amdhsa_accum_offset 20
		.amdhsa_reserve_vcc 1
		.amdhsa_reserve_flat_scratch 0
		.amdhsa_float_round_mode_32 0
		.amdhsa_float_round_mode_16_64 0
		.amdhsa_float_denorm_mode_32 3
		.amdhsa_float_denorm_mode_16_64 3
		.amdhsa_dx10_clamp 1
		.amdhsa_ieee_mode 1
		.amdhsa_fp16_overflow 0
		.amdhsa_tg_split 0
		.amdhsa_exception_fp_ieee_invalid_op 0
		.amdhsa_exception_fp_denorm_src 0
		.amdhsa_exception_fp_ieee_div_zero 0
		.amdhsa_exception_fp_ieee_overflow 0
		.amdhsa_exception_fp_ieee_underflow 0
		.amdhsa_exception_fp_ieee_inexact 0
		.amdhsa_exception_int_div_zero 0
	.end_amdhsa_kernel
	.section	.text._ZN9rocsparseL41csrmvn_lrb_medium_rows_warp_reduce_kernelILj256ELj32EiifdddEEvbT1_lPT2_S3_jNS_24const_host_device_scalarIT6_EEPKS1_PKS2_PKT3_PKT4_S6_PT5_21rocsparse_index_base_b,"axG",@progbits,_ZN9rocsparseL41csrmvn_lrb_medium_rows_warp_reduce_kernelILj256ELj32EiifdddEEvbT1_lPT2_S3_jNS_24const_host_device_scalarIT6_EEPKS1_PKS2_PKT3_PKT4_S6_PT5_21rocsparse_index_base_b,comdat
.Lfunc_end172:
	.size	_ZN9rocsparseL41csrmvn_lrb_medium_rows_warp_reduce_kernelILj256ELj32EiifdddEEvbT1_lPT2_S3_jNS_24const_host_device_scalarIT6_EEPKS1_PKS2_PKT3_PKT4_S6_PT5_21rocsparse_index_base_b, .Lfunc_end172-_ZN9rocsparseL41csrmvn_lrb_medium_rows_warp_reduce_kernelILj256ELj32EiifdddEEvbT1_lPT2_S3_jNS_24const_host_device_scalarIT6_EEPKS1_PKS2_PKT3_PKT4_S6_PT5_21rocsparse_index_base_b
                                        ; -- End function
	.section	.AMDGPU.csdata,"",@progbits
; Kernel info:
; codeLenInByte = 752
; NumSgprs: 18
; NumVgprs: 20
; NumAgprs: 0
; TotalNumVgprs: 20
; ScratchSize: 0
; MemoryBound: 0
; FloatMode: 240
; IeeeMode: 1
; LDSByteSize: 0 bytes/workgroup (compile time only)
; SGPRBlocks: 2
; VGPRBlocks: 2
; NumSGPRsForWavesPerEU: 18
; NumVGPRsForWavesPerEU: 20
; AccumOffset: 20
; Occupancy: 8
; WaveLimiterHint : 1
; COMPUTE_PGM_RSRC2:SCRATCH_EN: 0
; COMPUTE_PGM_RSRC2:USER_SGPR: 6
; COMPUTE_PGM_RSRC2:TRAP_HANDLER: 0
; COMPUTE_PGM_RSRC2:TGID_X_EN: 1
; COMPUTE_PGM_RSRC2:TGID_Y_EN: 0
; COMPUTE_PGM_RSRC2:TGID_Z_EN: 0
; COMPUTE_PGM_RSRC2:TIDIG_COMP_CNT: 0
; COMPUTE_PGM_RSRC3_GFX90A:ACCUM_OFFSET: 4
; COMPUTE_PGM_RSRC3_GFX90A:TG_SPLIT: 0
	.section	.text._ZN9rocsparseL41csrmvn_lrb_medium_rows_warp_reduce_kernelILj256ELj64EiifdddEEvbT1_lPT2_S3_jNS_24const_host_device_scalarIT6_EEPKS1_PKS2_PKT3_PKT4_S6_PT5_21rocsparse_index_base_b,"axG",@progbits,_ZN9rocsparseL41csrmvn_lrb_medium_rows_warp_reduce_kernelILj256ELj64EiifdddEEvbT1_lPT2_S3_jNS_24const_host_device_scalarIT6_EEPKS1_PKS2_PKT3_PKT4_S6_PT5_21rocsparse_index_base_b,comdat
	.globl	_ZN9rocsparseL41csrmvn_lrb_medium_rows_warp_reduce_kernelILj256ELj64EiifdddEEvbT1_lPT2_S3_jNS_24const_host_device_scalarIT6_EEPKS1_PKS2_PKT3_PKT4_S6_PT5_21rocsparse_index_base_b ; -- Begin function _ZN9rocsparseL41csrmvn_lrb_medium_rows_warp_reduce_kernelILj256ELj64EiifdddEEvbT1_lPT2_S3_jNS_24const_host_device_scalarIT6_EEPKS1_PKS2_PKT3_PKT4_S6_PT5_21rocsparse_index_base_b
	.p2align	8
	.type	_ZN9rocsparseL41csrmvn_lrb_medium_rows_warp_reduce_kernelILj256ELj64EiifdddEEvbT1_lPT2_S3_jNS_24const_host_device_scalarIT6_EEPKS1_PKS2_PKT3_PKT4_S6_PT5_21rocsparse_index_base_b,@function
_ZN9rocsparseL41csrmvn_lrb_medium_rows_warp_reduce_kernelILj256ELj64EiifdddEEvbT1_lPT2_S3_jNS_24const_host_device_scalarIT6_EEPKS1_PKS2_PKT3_PKT4_S6_PT5_21rocsparse_index_base_b: ; @_ZN9rocsparseL41csrmvn_lrb_medium_rows_warp_reduce_kernelILj256ELj64EiifdddEEvbT1_lPT2_S3_jNS_24const_host_device_scalarIT6_EEPKS1_PKS2_PKT3_PKT4_S6_PT5_21rocsparse_index_base_b
; %bb.0:
	s_load_dwordx2 s[8:9], s[4:5], 0x60
	s_load_dwordx2 s[10:11], s[4:5], 0x28
	;; [unrolled: 1-line block ×3, first 2 shown]
	s_waitcnt lgkmcnt(0)
	s_bitcmp1_b32 s9, 0
	s_cselect_b64 s[12:13], -1, 0
	s_xor_b64 s[2:3], s[12:13], -1
	s_and_b64 vcc, exec, s[12:13]
	v_pk_mov_b32 v[4:5], s[10:11], s[10:11] op_sel:[0,1]
	s_cbranch_vccnz .LBB173_2
; %bb.1:
	v_pk_mov_b32 v[2:3], s[10:11], s[10:11] op_sel:[0,1]
	flat_load_dwordx2 v[4:5], v[2:3]
.LBB173_2:
	s_andn2_b64 vcc, exec, s[2:3]
	v_pk_mov_b32 v[2:3], s[0:1], s[0:1] op_sel:[0,1]
	s_cbranch_vccnz .LBB173_4
; %bb.3:
	v_pk_mov_b32 v[2:3], s[0:1], s[0:1] op_sel:[0,1]
	flat_load_dwordx2 v[2:3], v[2:3]
.LBB173_4:
	s_waitcnt vmcnt(0) lgkmcnt(0)
	v_cmp_neq_f64_e32 vcc, 0, v[4:5]
	v_cmp_neq_f64_e64 s[0:1], 1.0, v[2:3]
	s_or_b64 s[0:1], vcc, s[0:1]
	s_and_saveexec_b64 s[2:3], s[0:1]
	s_cbranch_execz .LBB173_14
; %bb.5:
	s_load_dwordx2 s[0:1], s[4:5], 0x8
	v_lshrrev_b32_e32 v1, 6, v0
	v_lshl_or_b32 v6, s6, 2, v1
	v_ashrrev_i32_e32 v7, 31, v6
	s_waitcnt lgkmcnt(0)
	v_cmp_gt_i64_e32 vcc, s[0:1], v[6:7]
	s_and_b64 exec, exec, vcc
	s_cbranch_execz .LBB173_14
; %bb.6:
	s_load_dword s6, s[4:5], 0x20
	s_load_dwordx4 s[0:3], s[4:5], 0x10
	s_mov_b32 s7, 0
	v_and_b32_e32 v10, 63, v0
	v_subrev_u32_e32 v0, s8, v10
	s_waitcnt lgkmcnt(0)
	s_lshl_b64 s[6:7], s[6:7], 2
	s_add_u32 s2, s2, s6
	s_addc_u32 s3, s3, s7
	s_load_dword s2, s[2:3], 0x0
	v_mov_b32_e32 v1, s1
	s_load_dwordx2 s[6:7], s[4:5], 0x58
	s_waitcnt lgkmcnt(0)
	v_add_u32_e32 v6, s2, v6
	v_ashrrev_i32_e32 v7, 31, v6
	v_lshlrev_b64 v[6:7], 2, v[6:7]
	v_add_co_u32_e32 v6, vcc, s0, v6
	v_addc_co_u32_e32 v7, vcc, v1, v7, vcc
	global_load_dword v6, v[6:7], off
	s_load_dwordx2 s[0:1], s[4:5], 0x30
	s_waitcnt lgkmcnt(0)
	v_mov_b32_e32 v1, s1
	s_waitcnt vmcnt(0)
	v_ashrrev_i32_e32 v7, 31, v6
	v_lshlrev_b64 v[8:9], 2, v[6:7]
	v_add_co_u32_e32 v8, vcc, s0, v8
	v_addc_co_u32_e32 v9, vcc, v1, v9, vcc
	global_load_dwordx2 v[8:9], v[8:9], off
	s_waitcnt vmcnt(0)
	v_subrev_u32_e32 v11, s8, v9
	v_add_u32_e32 v8, v8, v0
	v_cmp_lt_i32_e32 vcc, v8, v11
	v_pk_mov_b32 v[0:1], 0, 0
	s_and_saveexec_b64 s[10:11], vcc
	s_cbranch_execz .LBB173_10
; %bb.7:
	s_load_dwordx4 s[0:3], s[4:5], 0x38
	s_load_dwordx2 s[12:13], s[4:5], 0x48
	s_mov_b64 s[4:5], 0
	v_pk_mov_b32 v[0:1], 0, 0
	s_waitcnt lgkmcnt(0)
	v_mov_b32_e32 v12, s3
	v_mov_b32_e32 v13, s1
	;; [unrolled: 1-line block ×3, first 2 shown]
.LBB173_8:                              ; =>This Inner Loop Header: Depth=1
	v_ashrrev_i32_e32 v9, 31, v8
	v_lshlrev_b64 v[16:17], 2, v[8:9]
	v_add_co_u32_e32 v18, vcc, s0, v16
	v_addc_co_u32_e32 v19, vcc, v13, v17, vcc
	global_load_dword v9, v[18:19], off
	v_add_co_u32_e32 v16, vcc, s2, v16
	v_addc_co_u32_e32 v17, vcc, v12, v17, vcc
	global_load_dword v15, v[16:17], off
	v_add_u32_e32 v8, 64, v8
	s_waitcnt vmcnt(1)
	v_subrev_u32_e32 v16, s8, v9
	v_ashrrev_i32_e32 v17, 31, v16
	v_lshlrev_b64 v[16:17], 3, v[16:17]
	v_add_co_u32_e32 v16, vcc, s12, v16
	v_addc_co_u32_e32 v17, vcc, v14, v17, vcc
	global_load_dwordx2 v[16:17], v[16:17], off
	s_waitcnt vmcnt(1)
	v_cvt_f64_f32_e32 v[18:19], v15
	v_mul_f64 v[18:19], v[4:5], v[18:19]
	v_cmp_ge_i32_e32 vcc, v8, v11
	s_or_b64 s[4:5], vcc, s[4:5]
	s_waitcnt vmcnt(0)
	v_fmac_f64_e32 v[0:1], v[18:19], v[16:17]
	s_andn2_b64 exec, exec, s[4:5]
	s_cbranch_execnz .LBB173_8
; %bb.9:
	s_or_b64 exec, exec, s[4:5]
.LBB173_10:
	s_or_b64 exec, exec, s[10:11]
	v_mov_b32_dpp v4, v0 row_shr:1 row_mask:0xf bank_mask:0xf
	v_mov_b32_dpp v5, v1 row_shr:1 row_mask:0xf bank_mask:0xf
	v_add_f64 v[0:1], v[0:1], v[4:5]
	v_cmp_eq_u32_e32 vcc, 63, v10
	s_nop 0
	v_mov_b32_dpp v4, v0 row_shr:2 row_mask:0xf bank_mask:0xf
	v_mov_b32_dpp v5, v1 row_shr:2 row_mask:0xf bank_mask:0xf
	v_add_f64 v[0:1], v[0:1], v[4:5]
	s_nop 1
	v_mov_b32_dpp v4, v0 row_shr:4 row_mask:0xf bank_mask:0xe
	v_mov_b32_dpp v5, v1 row_shr:4 row_mask:0xf bank_mask:0xe
	v_add_f64 v[0:1], v[0:1], v[4:5]
	;; [unrolled: 4-line block ×3, first 2 shown]
	s_nop 1
	v_mov_b32_dpp v4, v0 row_bcast:15 row_mask:0xa bank_mask:0xf
	v_mov_b32_dpp v5, v1 row_bcast:15 row_mask:0xa bank_mask:0xf
	v_add_f64 v[0:1], v[0:1], v[4:5]
	s_nop 1
	v_mov_b32_dpp v4, v0 row_bcast:31 row_mask:0xc bank_mask:0xf
	v_mov_b32_dpp v5, v1 row_bcast:31 row_mask:0xc bank_mask:0xf
	s_and_b64 exec, exec, vcc
	s_cbranch_execz .LBB173_14
; %bb.11:
	v_add_f64 v[0:1], v[0:1], v[4:5]
	v_cmp_neq_f64_e32 vcc, 0, v[2:3]
	v_lshlrev_b64 v[4:5], 3, v[6:7]
	s_and_saveexec_b64 s[0:1], vcc
	s_cbranch_execz .LBB173_13
; %bb.12:
	v_mov_b32_e32 v7, s7
	v_add_co_u32_e32 v6, vcc, s6, v4
	v_addc_co_u32_e32 v7, vcc, v7, v5, vcc
	global_load_dwordx2 v[6:7], v[6:7], off
	s_waitcnt vmcnt(0)
	v_fmac_f64_e32 v[0:1], v[2:3], v[6:7]
.LBB173_13:
	s_or_b64 exec, exec, s[0:1]
	v_mov_b32_e32 v3, s7
	v_add_co_u32_e32 v2, vcc, s6, v4
	v_addc_co_u32_e32 v3, vcc, v3, v5, vcc
	global_store_dwordx2 v[2:3], v[0:1], off
.LBB173_14:
	s_endpgm
	.section	.rodata,"a",@progbits
	.p2align	6, 0x0
	.amdhsa_kernel _ZN9rocsparseL41csrmvn_lrb_medium_rows_warp_reduce_kernelILj256ELj64EiifdddEEvbT1_lPT2_S3_jNS_24const_host_device_scalarIT6_EEPKS1_PKS2_PKT3_PKT4_S6_PT5_21rocsparse_index_base_b
		.amdhsa_group_segment_fixed_size 0
		.amdhsa_private_segment_fixed_size 0
		.amdhsa_kernarg_size 104
		.amdhsa_user_sgpr_count 6
		.amdhsa_user_sgpr_private_segment_buffer 1
		.amdhsa_user_sgpr_dispatch_ptr 0
		.amdhsa_user_sgpr_queue_ptr 0
		.amdhsa_user_sgpr_kernarg_segment_ptr 1
		.amdhsa_user_sgpr_dispatch_id 0
		.amdhsa_user_sgpr_flat_scratch_init 0
		.amdhsa_user_sgpr_kernarg_preload_length 0
		.amdhsa_user_sgpr_kernarg_preload_offset 0
		.amdhsa_user_sgpr_private_segment_size 0
		.amdhsa_uses_dynamic_stack 0
		.amdhsa_system_sgpr_private_segment_wavefront_offset 0
		.amdhsa_system_sgpr_workgroup_id_x 1
		.amdhsa_system_sgpr_workgroup_id_y 0
		.amdhsa_system_sgpr_workgroup_id_z 0
		.amdhsa_system_sgpr_workgroup_info 0
		.amdhsa_system_vgpr_workitem_id 0
		.amdhsa_next_free_vgpr 20
		.amdhsa_next_free_sgpr 14
		.amdhsa_accum_offset 20
		.amdhsa_reserve_vcc 1
		.amdhsa_reserve_flat_scratch 0
		.amdhsa_float_round_mode_32 0
		.amdhsa_float_round_mode_16_64 0
		.amdhsa_float_denorm_mode_32 3
		.amdhsa_float_denorm_mode_16_64 3
		.amdhsa_dx10_clamp 1
		.amdhsa_ieee_mode 1
		.amdhsa_fp16_overflow 0
		.amdhsa_tg_split 0
		.amdhsa_exception_fp_ieee_invalid_op 0
		.amdhsa_exception_fp_denorm_src 0
		.amdhsa_exception_fp_ieee_div_zero 0
		.amdhsa_exception_fp_ieee_overflow 0
		.amdhsa_exception_fp_ieee_underflow 0
		.amdhsa_exception_fp_ieee_inexact 0
		.amdhsa_exception_int_div_zero 0
	.end_amdhsa_kernel
	.section	.text._ZN9rocsparseL41csrmvn_lrb_medium_rows_warp_reduce_kernelILj256ELj64EiifdddEEvbT1_lPT2_S3_jNS_24const_host_device_scalarIT6_EEPKS1_PKS2_PKT3_PKT4_S6_PT5_21rocsparse_index_base_b,"axG",@progbits,_ZN9rocsparseL41csrmvn_lrb_medium_rows_warp_reduce_kernelILj256ELj64EiifdddEEvbT1_lPT2_S3_jNS_24const_host_device_scalarIT6_EEPKS1_PKS2_PKT3_PKT4_S6_PT5_21rocsparse_index_base_b,comdat
.Lfunc_end173:
	.size	_ZN9rocsparseL41csrmvn_lrb_medium_rows_warp_reduce_kernelILj256ELj64EiifdddEEvbT1_lPT2_S3_jNS_24const_host_device_scalarIT6_EEPKS1_PKS2_PKT3_PKT4_S6_PT5_21rocsparse_index_base_b, .Lfunc_end173-_ZN9rocsparseL41csrmvn_lrb_medium_rows_warp_reduce_kernelILj256ELj64EiifdddEEvbT1_lPT2_S3_jNS_24const_host_device_scalarIT6_EEPKS1_PKS2_PKT3_PKT4_S6_PT5_21rocsparse_index_base_b
                                        ; -- End function
	.section	.AMDGPU.csdata,"",@progbits
; Kernel info:
; codeLenInByte = 780
; NumSgprs: 18
; NumVgprs: 20
; NumAgprs: 0
; TotalNumVgprs: 20
; ScratchSize: 0
; MemoryBound: 0
; FloatMode: 240
; IeeeMode: 1
; LDSByteSize: 0 bytes/workgroup (compile time only)
; SGPRBlocks: 2
; VGPRBlocks: 2
; NumSGPRsForWavesPerEU: 18
; NumVGPRsForWavesPerEU: 20
; AccumOffset: 20
; Occupancy: 8
; WaveLimiterHint : 1
; COMPUTE_PGM_RSRC2:SCRATCH_EN: 0
; COMPUTE_PGM_RSRC2:USER_SGPR: 6
; COMPUTE_PGM_RSRC2:TRAP_HANDLER: 0
; COMPUTE_PGM_RSRC2:TGID_X_EN: 1
; COMPUTE_PGM_RSRC2:TGID_Y_EN: 0
; COMPUTE_PGM_RSRC2:TGID_Z_EN: 0
; COMPUTE_PGM_RSRC2:TIDIG_COMP_CNT: 0
; COMPUTE_PGM_RSRC3_GFX90A:ACCUM_OFFSET: 4
; COMPUTE_PGM_RSRC3_GFX90A:TG_SPLIT: 0
	.section	.text._ZN9rocsparseL29csrmvn_lrb_medium_rows_kernelILj256EiifdddEEvbT0_PT1_S3_jNS_24const_host_device_scalarIT5_EEPKS1_PKS2_PKT2_PKT3_S6_PT4_21rocsparse_index_base_b,"axG",@progbits,_ZN9rocsparseL29csrmvn_lrb_medium_rows_kernelILj256EiifdddEEvbT0_PT1_S3_jNS_24const_host_device_scalarIT5_EEPKS1_PKS2_PKT2_PKT3_S6_PT4_21rocsparse_index_base_b,comdat
	.globl	_ZN9rocsparseL29csrmvn_lrb_medium_rows_kernelILj256EiifdddEEvbT0_PT1_S3_jNS_24const_host_device_scalarIT5_EEPKS1_PKS2_PKT2_PKT3_S6_PT4_21rocsparse_index_base_b ; -- Begin function _ZN9rocsparseL29csrmvn_lrb_medium_rows_kernelILj256EiifdddEEvbT0_PT1_S3_jNS_24const_host_device_scalarIT5_EEPKS1_PKS2_PKT2_PKT3_S6_PT4_21rocsparse_index_base_b
	.p2align	8
	.type	_ZN9rocsparseL29csrmvn_lrb_medium_rows_kernelILj256EiifdddEEvbT0_PT1_S3_jNS_24const_host_device_scalarIT5_EEPKS1_PKS2_PKT2_PKT3_S6_PT4_21rocsparse_index_base_b,@function
_ZN9rocsparseL29csrmvn_lrb_medium_rows_kernelILj256EiifdddEEvbT0_PT1_S3_jNS_24const_host_device_scalarIT5_EEPKS1_PKS2_PKT2_PKT3_S6_PT4_21rocsparse_index_base_b: ; @_ZN9rocsparseL29csrmvn_lrb_medium_rows_kernelILj256EiifdddEEvbT0_PT1_S3_jNS_24const_host_device_scalarIT5_EEPKS1_PKS2_PKT2_PKT3_S6_PT4_21rocsparse_index_base_b
; %bb.0:
	s_load_dwordx2 s[10:11], s[4:5], 0x58
	s_load_dwordx2 s[8:9], s[4:5], 0x20
	;; [unrolled: 1-line block ×3, first 2 shown]
	s_waitcnt lgkmcnt(0)
	s_bitcmp1_b32 s11, 0
	s_cselect_b64 s[12:13], -1, 0
	s_xor_b64 s[2:3], s[12:13], -1
	s_and_b64 vcc, exec, s[12:13]
	v_pk_mov_b32 v[4:5], s[8:9], s[8:9] op_sel:[0,1]
	s_cbranch_vccnz .LBB174_2
; %bb.1:
	v_pk_mov_b32 v[2:3], s[8:9], s[8:9] op_sel:[0,1]
	flat_load_dwordx2 v[4:5], v[2:3]
.LBB174_2:
	s_andn2_b64 vcc, exec, s[2:3]
	v_pk_mov_b32 v[2:3], s[0:1], s[0:1] op_sel:[0,1]
	s_cbranch_vccnz .LBB174_4
; %bb.3:
	v_pk_mov_b32 v[2:3], s[0:1], s[0:1] op_sel:[0,1]
	flat_load_dwordx2 v[2:3], v[2:3]
.LBB174_4:
	s_waitcnt vmcnt(0) lgkmcnt(0)
	v_cmp_neq_f64_e32 vcc, 0, v[4:5]
	v_cmp_neq_f64_e64 s[0:1], 1.0, v[2:3]
	s_or_b64 s[0:1], vcc, s[0:1]
	s_and_saveexec_b64 s[2:3], s[0:1]
	s_cbranch_execz .LBB174_29
; %bb.5:
	s_load_dword s8, s[4:5], 0x18
	s_load_dwordx4 s[0:3], s[4:5], 0x8
	s_mov_b32 s9, 0
	v_subrev_u32_e32 v1, s10, v0
	v_pk_mov_b32 v[8:9], 0, 0
	s_waitcnt lgkmcnt(0)
	s_lshl_b64 s[8:9], s[8:9], 2
	s_add_u32 s2, s2, s8
	s_addc_u32 s3, s3, s9
	s_load_dword s2, s[2:3], 0x0
	s_waitcnt lgkmcnt(0)
	s_add_i32 s2, s2, s6
	s_ashr_i32 s3, s2, 31
	s_lshl_b64 s[2:3], s[2:3], 2
	s_add_u32 s0, s0, s2
	s_addc_u32 s1, s1, s3
	s_load_dword s6, s[0:1], 0x0
	s_load_dwordx2 s[2:3], s[4:5], 0x28
	s_waitcnt lgkmcnt(0)
	s_ashr_i32 s7, s6, 31
	s_lshl_b64 s[0:1], s[6:7], 2
	s_add_u32 s0, s2, s0
	s_addc_u32 s1, s3, s1
	s_load_dwordx2 s[2:3], s[0:1], 0x0
	s_load_dwordx2 s[8:9], s[4:5], 0x50
	s_waitcnt lgkmcnt(0)
	s_sub_i32 s11, s3, s10
	v_add_u32_e32 v6, s2, v1
	v_cmp_gt_i32_e32 vcc, s11, v6
	s_and_saveexec_b64 s[12:13], vcc
	s_cbranch_execz .LBB174_9
; %bb.6:
	s_load_dwordx4 s[0:3], s[4:5], 0x30
	s_load_dwordx2 s[14:15], s[4:5], 0x40
	s_mov_b64 s[4:5], 0
	v_pk_mov_b32 v[8:9], 0, 0
	s_waitcnt lgkmcnt(0)
	v_mov_b32_e32 v1, s3
	v_mov_b32_e32 v10, s1
	;; [unrolled: 1-line block ×3, first 2 shown]
.LBB174_7:                              ; =>This Inner Loop Header: Depth=1
	v_ashrrev_i32_e32 v7, 31, v6
	v_lshlrev_b64 v[12:13], 2, v[6:7]
	v_add_co_u32_e32 v14, vcc, s0, v12
	v_addc_co_u32_e32 v15, vcc, v10, v13, vcc
	global_load_dword v7, v[14:15], off
	v_add_co_u32_e32 v12, vcc, s2, v12
	v_addc_co_u32_e32 v13, vcc, v1, v13, vcc
	global_load_dword v14, v[12:13], off
	v_add_u32_e32 v6, 0x100, v6
	s_waitcnt vmcnt(1)
	v_subrev_u32_e32 v12, s10, v7
	v_ashrrev_i32_e32 v13, 31, v12
	v_lshlrev_b64 v[12:13], 3, v[12:13]
	v_add_co_u32_e32 v12, vcc, s14, v12
	v_addc_co_u32_e32 v13, vcc, v11, v13, vcc
	global_load_dwordx2 v[12:13], v[12:13], off
	s_waitcnt vmcnt(1)
	v_cvt_f64_f32_e32 v[14:15], v14
	v_mul_f64 v[14:15], v[4:5], v[14:15]
	v_cmp_le_i32_e32 vcc, s11, v6
	s_or_b64 s[4:5], vcc, s[4:5]
	s_waitcnt vmcnt(0)
	v_fmac_f64_e32 v[8:9], v[14:15], v[12:13]
	s_andn2_b64 exec, exec, s[4:5]
	s_cbranch_execnz .LBB174_7
; %bb.8:
	s_or_b64 exec, exec, s[4:5]
.LBB174_9:
	s_or_b64 exec, exec, s[12:13]
	s_movk_i32 s0, 0x80
	v_lshlrev_b32_e32 v1, 3, v0
	v_cmp_gt_u32_e32 vcc, s0, v0
	ds_write_b64 v1, v[8:9]
	s_waitcnt lgkmcnt(0)
	s_barrier
	s_and_saveexec_b64 s[0:1], vcc
	s_cbranch_execz .LBB174_11
; %bb.10:
	ds_read2st64_b64 v[4:7], v1 offset1:2
	s_waitcnt lgkmcnt(0)
	v_add_f64 v[4:5], v[4:5], v[6:7]
	ds_write_b64 v1, v[4:5]
.LBB174_11:
	s_or_b64 exec, exec, s[0:1]
	v_cmp_gt_u32_e32 vcc, 64, v0
	s_waitcnt lgkmcnt(0)
	s_barrier
	s_and_saveexec_b64 s[0:1], vcc
	s_cbranch_execz .LBB174_13
; %bb.12:
	ds_read2st64_b64 v[4:7], v1 offset1:1
	s_waitcnt lgkmcnt(0)
	v_add_f64 v[4:5], v[4:5], v[6:7]
	ds_write_b64 v1, v[4:5]
.LBB174_13:
	s_or_b64 exec, exec, s[0:1]
	v_cmp_gt_u32_e32 vcc, 32, v0
	s_waitcnt lgkmcnt(0)
	s_barrier
	s_and_saveexec_b64 s[0:1], vcc
	s_cbranch_execz .LBB174_15
; %bb.14:
	ds_read2_b64 v[4:7], v1 offset1:32
	s_waitcnt lgkmcnt(0)
	v_add_f64 v[4:5], v[4:5], v[6:7]
	ds_write_b64 v1, v[4:5]
.LBB174_15:
	s_or_b64 exec, exec, s[0:1]
	v_cmp_gt_u32_e32 vcc, 16, v0
	s_waitcnt lgkmcnt(0)
	s_barrier
	s_and_saveexec_b64 s[0:1], vcc
	s_cbranch_execz .LBB174_17
; %bb.16:
	ds_read2_b64 v[4:7], v1 offset1:16
	s_waitcnt lgkmcnt(0)
	v_add_f64 v[4:5], v[4:5], v[6:7]
	ds_write_b64 v1, v[4:5]
.LBB174_17:
	;; [unrolled: 12-line block ×5, first 2 shown]
	s_or_b64 exec, exec, s[0:1]
	v_cmp_eq_u32_e32 vcc, 0, v0
	s_waitcnt lgkmcnt(0)
	s_barrier
	s_and_saveexec_b64 s[0:1], vcc
	s_cbranch_execz .LBB174_25
; %bb.24:
	v_mov_b32_e32 v8, 0
	ds_read_b128 v[4:7], v8
	s_waitcnt lgkmcnt(0)
	v_add_f64 v[0:1], v[4:5], v[6:7]
	ds_write_b64 v8, v[0:1]
.LBB174_25:
	s_or_b64 exec, exec, s[0:1]
	s_waitcnt lgkmcnt(0)
	s_barrier
	s_and_b64 exec, exec, vcc
	s_cbranch_execz .LBB174_29
; %bb.26:
	v_mov_b32_e32 v4, 0
	ds_read_b64 v[0:1], v4
	v_cmp_neq_f64_e32 vcc, 0, v[2:3]
	s_and_saveexec_b64 s[0:1], vcc
	s_cbranch_execz .LBB174_28
; %bb.27:
	s_lshl_b64 s[2:3], s[6:7], 3
	s_add_u32 s2, s8, s2
	s_addc_u32 s3, s9, s3
	s_load_dwordx2 s[2:3], s[2:3], 0x0
	s_waitcnt lgkmcnt(0)
	v_fmac_f64_e32 v[0:1], s[2:3], v[2:3]
.LBB174_28:
	s_or_b64 exec, exec, s[0:1]
	s_lshl_b64 s[0:1], s[6:7], 3
	s_add_u32 s0, s8, s0
	s_addc_u32 s1, s9, s1
	s_waitcnt lgkmcnt(0)
	global_store_dwordx2 v4, v[0:1], s[0:1]
.LBB174_29:
	s_endpgm
	.section	.rodata,"a",@progbits
	.p2align	6, 0x0
	.amdhsa_kernel _ZN9rocsparseL29csrmvn_lrb_medium_rows_kernelILj256EiifdddEEvbT0_PT1_S3_jNS_24const_host_device_scalarIT5_EEPKS1_PKS2_PKT2_PKT3_S6_PT4_21rocsparse_index_base_b
		.amdhsa_group_segment_fixed_size 2048
		.amdhsa_private_segment_fixed_size 0
		.amdhsa_kernarg_size 96
		.amdhsa_user_sgpr_count 6
		.amdhsa_user_sgpr_private_segment_buffer 1
		.amdhsa_user_sgpr_dispatch_ptr 0
		.amdhsa_user_sgpr_queue_ptr 0
		.amdhsa_user_sgpr_kernarg_segment_ptr 1
		.amdhsa_user_sgpr_dispatch_id 0
		.amdhsa_user_sgpr_flat_scratch_init 0
		.amdhsa_user_sgpr_kernarg_preload_length 0
		.amdhsa_user_sgpr_kernarg_preload_offset 0
		.amdhsa_user_sgpr_private_segment_size 0
		.amdhsa_uses_dynamic_stack 0
		.amdhsa_system_sgpr_private_segment_wavefront_offset 0
		.amdhsa_system_sgpr_workgroup_id_x 1
		.amdhsa_system_sgpr_workgroup_id_y 0
		.amdhsa_system_sgpr_workgroup_id_z 0
		.amdhsa_system_sgpr_workgroup_info 0
		.amdhsa_system_vgpr_workitem_id 0
		.amdhsa_next_free_vgpr 16
		.amdhsa_next_free_sgpr 16
		.amdhsa_accum_offset 16
		.amdhsa_reserve_vcc 1
		.amdhsa_reserve_flat_scratch 0
		.amdhsa_float_round_mode_32 0
		.amdhsa_float_round_mode_16_64 0
		.amdhsa_float_denorm_mode_32 3
		.amdhsa_float_denorm_mode_16_64 3
		.amdhsa_dx10_clamp 1
		.amdhsa_ieee_mode 1
		.amdhsa_fp16_overflow 0
		.amdhsa_tg_split 0
		.amdhsa_exception_fp_ieee_invalid_op 0
		.amdhsa_exception_fp_denorm_src 0
		.amdhsa_exception_fp_ieee_div_zero 0
		.amdhsa_exception_fp_ieee_overflow 0
		.amdhsa_exception_fp_ieee_underflow 0
		.amdhsa_exception_fp_ieee_inexact 0
		.amdhsa_exception_int_div_zero 0
	.end_amdhsa_kernel
	.section	.text._ZN9rocsparseL29csrmvn_lrb_medium_rows_kernelILj256EiifdddEEvbT0_PT1_S3_jNS_24const_host_device_scalarIT5_EEPKS1_PKS2_PKT2_PKT3_S6_PT4_21rocsparse_index_base_b,"axG",@progbits,_ZN9rocsparseL29csrmvn_lrb_medium_rows_kernelILj256EiifdddEEvbT0_PT1_S3_jNS_24const_host_device_scalarIT5_EEPKS1_PKS2_PKT2_PKT3_S6_PT4_21rocsparse_index_base_b,comdat
.Lfunc_end174:
	.size	_ZN9rocsparseL29csrmvn_lrb_medium_rows_kernelILj256EiifdddEEvbT0_PT1_S3_jNS_24const_host_device_scalarIT5_EEPKS1_PKS2_PKT2_PKT3_S6_PT4_21rocsparse_index_base_b, .Lfunc_end174-_ZN9rocsparseL29csrmvn_lrb_medium_rows_kernelILj256EiifdddEEvbT0_PT1_S3_jNS_24const_host_device_scalarIT5_EEPKS1_PKS2_PKT2_PKT3_S6_PT4_21rocsparse_index_base_b
                                        ; -- End function
	.section	.AMDGPU.csdata,"",@progbits
; Kernel info:
; codeLenInByte = 1004
; NumSgprs: 20
; NumVgprs: 16
; NumAgprs: 0
; TotalNumVgprs: 16
; ScratchSize: 0
; MemoryBound: 0
; FloatMode: 240
; IeeeMode: 1
; LDSByteSize: 2048 bytes/workgroup (compile time only)
; SGPRBlocks: 2
; VGPRBlocks: 1
; NumSGPRsForWavesPerEU: 20
; NumVGPRsForWavesPerEU: 16
; AccumOffset: 16
; Occupancy: 8
; WaveLimiterHint : 1
; COMPUTE_PGM_RSRC2:SCRATCH_EN: 0
; COMPUTE_PGM_RSRC2:USER_SGPR: 6
; COMPUTE_PGM_RSRC2:TRAP_HANDLER: 0
; COMPUTE_PGM_RSRC2:TGID_X_EN: 1
; COMPUTE_PGM_RSRC2:TGID_Y_EN: 0
; COMPUTE_PGM_RSRC2:TGID_Z_EN: 0
; COMPUTE_PGM_RSRC2:TIDIG_COMP_CNT: 0
; COMPUTE_PGM_RSRC3_GFX90A:ACCUM_OFFSET: 3
; COMPUTE_PGM_RSRC3_GFX90A:TG_SPLIT: 0
	.section	.text._ZN9rocsparseL27csrmvn_lrb_long_rows_kernelIiifdddEEvbT_PjPT0_S4_jNS_24const_host_device_scalarIT4_EEPKS1_PKS3_PKT1_PKT2_S7_PT3_21rocsparse_index_base_b,"axG",@progbits,_ZN9rocsparseL27csrmvn_lrb_long_rows_kernelIiifdddEEvbT_PjPT0_S4_jNS_24const_host_device_scalarIT4_EEPKS1_PKS3_PKT1_PKT2_S7_PT3_21rocsparse_index_base_b,comdat
	.globl	_ZN9rocsparseL27csrmvn_lrb_long_rows_kernelIiifdddEEvbT_PjPT0_S4_jNS_24const_host_device_scalarIT4_EEPKS1_PKS3_PKT1_PKT2_S7_PT3_21rocsparse_index_base_b ; -- Begin function _ZN9rocsparseL27csrmvn_lrb_long_rows_kernelIiifdddEEvbT_PjPT0_S4_jNS_24const_host_device_scalarIT4_EEPKS1_PKS3_PKT1_PKT2_S7_PT3_21rocsparse_index_base_b
	.p2align	8
	.type	_ZN9rocsparseL27csrmvn_lrb_long_rows_kernelIiifdddEEvbT_PjPT0_S4_jNS_24const_host_device_scalarIT4_EEPKS1_PKS3_PKT1_PKT2_S7_PT3_21rocsparse_index_base_b,@function
_ZN9rocsparseL27csrmvn_lrb_long_rows_kernelIiifdddEEvbT_PjPT0_S4_jNS_24const_host_device_scalarIT4_EEPKS1_PKS3_PKT1_PKT2_S7_PT3_21rocsparse_index_base_b: ; @_ZN9rocsparseL27csrmvn_lrb_long_rows_kernelIiifdddEEvbT_PjPT0_S4_jNS_24const_host_device_scalarIT4_EEPKS1_PKS3_PKT1_PKT2_S7_PT3_21rocsparse_index_base_b
; %bb.0:
	s_load_dwordx2 s[16:17], s[4:5], 0x60
	s_load_dwordx2 s[8:9], s[4:5], 0x28
	s_load_dwordx2 s[0:1], s[4:5], 0x50
	s_waitcnt lgkmcnt(0)
	s_bitcmp1_b32 s17, 0
	s_cselect_b64 s[10:11], -1, 0
	s_xor_b64 s[2:3], s[10:11], -1
	s_and_b64 vcc, exec, s[10:11]
	v_pk_mov_b32 v[2:3], s[8:9], s[8:9] op_sel:[0,1]
	s_cbranch_vccnz .LBB175_2
; %bb.1:
	v_pk_mov_b32 v[2:3], s[8:9], s[8:9] op_sel:[0,1]
	flat_load_dwordx2 v[2:3], v[2:3]
.LBB175_2:
	s_andn2_b64 vcc, exec, s[2:3]
	v_pk_mov_b32 v[4:5], s[0:1], s[0:1] op_sel:[0,1]
	s_cbranch_vccnz .LBB175_4
; %bb.3:
	v_pk_mov_b32 v[4:5], s[0:1], s[0:1] op_sel:[0,1]
	flat_load_dwordx2 v[4:5], v[4:5]
.LBB175_4:
	s_waitcnt vmcnt(0) lgkmcnt(0)
	v_cmp_neq_f64_e32 vcc, 0, v[2:3]
	v_cmp_neq_f64_e64 s[0:1], 1.0, v[4:5]
	s_or_b64 s[0:1], vcc, s[0:1]
	s_and_saveexec_b64 s[2:3], s[0:1]
	s_cbranch_execz .LBB175_39
; %bb.5:
	s_load_dword s0, s[4:5], 0x20
	s_load_dwordx2 s[2:3], s[4:5], 0x18
	s_mov_b32 s1, 0
	v_pk_mov_b32 v[6:7], 0, 0
	s_waitcnt lgkmcnt(0)
	s_lshl_b64 s[8:9], s[0:1], 2
	s_add_u32 s8, s2, s8
	s_addc_u32 s9, s3, s9
	s_lshl_b32 s0, -1, s0
	s_not_b32 s0, s0
	s_mul_hi_u32 s0, s0, 0x2aaaaaab
	s_lshr_b32 s7, s0, 7
	s_add_i32 s10, s7, 1
	v_cvt_f32_u32_e32 v1, s10
	s_load_dwordx4 s[0:3], s[4:5], 0x8
	s_load_dword s11, s[8:9], 0x0
	s_not_b32 s7, s7
	v_rcp_iflag_f32_e32 v1, v1
	v_mul_f32_e32 v1, 0x4f7ffffe, v1
	v_cvt_u32_f32_e32 v1, v1
	v_readfirstlane_b32 s8, v1
	s_mul_i32 s7, s7, s8
	s_mul_hi_u32 s7, s8, s7
	s_add_i32 s8, s8, s7
	s_mul_hi_u32 s7, s6, s8
	s_mul_i32 s8, s7, s10
	s_sub_i32 s8, s6, s8
	s_add_i32 s9, s7, 1
	s_sub_i32 s12, s8, s10
	s_cmp_ge_u32 s8, s10
	s_cselect_b32 s7, s9, s7
	s_cselect_b32 s8, s12, s8
	s_add_i32 s9, s7, 1
	s_cmp_ge_u32 s8, s10
	s_cselect_b32 s7, s9, s7
	s_waitcnt lgkmcnt(0)
	s_add_i32 s8, s7, s11
	s_mul_i32 s14, s7, s10
	s_ashr_i32 s9, s8, 31
	s_sub_i32 s24, s6, s14
	s_lshl_b64 s[8:9], s[8:9], 2
	s_add_u32 s8, s2, s8
	s_addc_u32 s9, s3, s9
	s_load_dword s12, s[8:9], 0x0
	s_load_dwordx2 s[10:11], s[4:5], 0x30
	s_load_dwordx2 s[2:3], s[4:5], 0x58
	v_or_b32_e32 v1, s24, v0
	v_cmp_eq_u32_e32 vcc, 0, v1
	s_waitcnt lgkmcnt(0)
	s_ashr_i32 s13, s12, 31
	s_lshl_b64 s[8:9], s[12:13], 2
	s_add_u32 s8, s10, s8
	s_addc_u32 s9, s11, s9
	s_ashr_i32 s7, s6, 31
	s_lshl_b64 s[6:7], s[6:7], 2
	s_add_u32 s6, s0, s6
	s_addc_u32 s7, s1, s7
	s_load_dwordx2 s[8:9], s[8:9], 0x0
	s_nop 0
	s_load_dword s17, s[6:7], 0x0
	s_and_saveexec_b64 s[10:11], vcc
	s_cbranch_execz .LBB175_9
; %bb.6:
	s_lshl_b64 s[18:19], s[12:13], 3
	s_add_u32 s18, s2, s18
	s_addc_u32 s19, s3, s19
	s_load_dwordx2 s[18:19], s[18:19], 0x0
	s_mov_b64 s[20:21], exec
	v_mbcnt_lo_u32_b32 v1, s20, 0
	v_mbcnt_hi_u32_b32 v1, s21, v1
	v_add_f64 v[4:5], v[4:5], -1.0
	v_cmp_eq_u32_e32 vcc, 0, v1
	s_waitcnt vmcnt(0) expcnt(0) lgkmcnt(0)
	s_and_saveexec_b64 s[22:23], vcc
	s_cbranch_execz .LBB175_8
; %bb.7:
	s_ashr_i32 s15, s14, 31
	s_lshl_b64 s[26:27], s[14:15], 2
	s_add_u32 s26, s0, s26
	s_addc_u32 s27, s1, s27
	s_bcnt1_i32_b64 s15, s[20:21]
	s_and_b32 s15, s15, 1
	v_mov_b32_e32 v1, 0
	v_mov_b32_e32 v6, s15
	global_atomic_xor v1, v6, s[26:27]
.LBB175_8:
	s_or_b64 exec, exec, s[22:23]
	v_mul_f64 v[6:7], v[4:5], s[18:19]
.LBB175_9:
	s_or_b64 exec, exec, s[10:11]
	s_mul_i32 s10, s24, 0x300
	s_sub_i32 s10, s10, s16
	s_waitcnt lgkmcnt(0)
	s_add_i32 s8, s10, s8
	s_sub_i32 s9, s9, s16
	s_add_i32 s10, s8, 0x300
	s_min_i32 s15, s10, s9
	v_add_u32_e32 v4, s8, v0
	v_cmp_gt_i32_e32 vcc, s15, v4
	s_and_saveexec_b64 s[18:19], vcc
	s_cbranch_execz .LBB175_13
; %bb.10:
	s_load_dwordx4 s[8:11], s[4:5], 0x38
	s_load_dwordx2 s[20:21], s[4:5], 0x48
	s_mov_b64 s[4:5], 0
	s_waitcnt lgkmcnt(0)
	v_mov_b32_e32 v1, s11
	v_mov_b32_e32 v8, s9
	;; [unrolled: 1-line block ×3, first 2 shown]
.LBB175_11:                             ; =>This Inner Loop Header: Depth=1
	v_ashrrev_i32_e32 v5, 31, v4
	v_lshlrev_b64 v[10:11], 2, v[4:5]
	v_add_co_u32_e32 v12, vcc, s8, v10
	v_addc_co_u32_e32 v13, vcc, v8, v11, vcc
	global_load_dword v5, v[12:13], off
	v_add_co_u32_e32 v10, vcc, s10, v10
	v_addc_co_u32_e32 v11, vcc, v1, v11, vcc
	global_load_dword v12, v[10:11], off
	v_add_u32_e32 v4, 0x100, v4
	s_waitcnt vmcnt(1)
	v_subrev_u32_e32 v10, s16, v5
	v_ashrrev_i32_e32 v11, 31, v10
	v_lshlrev_b64 v[10:11], 3, v[10:11]
	v_add_co_u32_e32 v10, vcc, s20, v10
	v_addc_co_u32_e32 v11, vcc, v9, v11, vcc
	global_load_dwordx2 v[10:11], v[10:11], off
	s_waitcnt vmcnt(1)
	v_cvt_f64_f32_e32 v[12:13], v12
	v_mul_f64 v[12:13], v[2:3], v[12:13]
	v_cmp_le_i32_e32 vcc, s15, v4
	s_or_b64 s[4:5], vcc, s[4:5]
	s_waitcnt vmcnt(0)
	v_fmac_f64_e32 v[6:7], v[12:13], v[10:11]
	s_andn2_b64 exec, exec, s[4:5]
	s_cbranch_execnz .LBB175_11
; %bb.12:
	s_or_b64 exec, exec, s[4:5]
.LBB175_13:
	s_or_b64 exec, exec, s[18:19]
	s_movk_i32 s4, 0x80
	v_lshlrev_b32_e32 v1, 3, v0
	v_cmp_gt_u32_e32 vcc, s4, v0
	ds_write_b64 v1, v[6:7]
	s_waitcnt lgkmcnt(0)
	s_barrier
	s_and_saveexec_b64 s[4:5], vcc
	s_cbranch_execz .LBB175_15
; %bb.14:
	ds_read2st64_b64 v[2:5], v1 offset1:2
	s_waitcnt lgkmcnt(0)
	v_add_f64 v[2:3], v[2:3], v[4:5]
	ds_write_b64 v1, v[2:3]
.LBB175_15:
	s_or_b64 exec, exec, s[4:5]
	v_cmp_gt_u32_e32 vcc, 64, v0
	s_waitcnt lgkmcnt(0)
	s_barrier
	s_and_saveexec_b64 s[4:5], vcc
	s_cbranch_execz .LBB175_17
; %bb.16:
	ds_read2st64_b64 v[2:5], v1 offset1:1
	s_waitcnt lgkmcnt(0)
	v_add_f64 v[2:3], v[2:3], v[4:5]
	ds_write_b64 v1, v[2:3]
.LBB175_17:
	s_or_b64 exec, exec, s[4:5]
	v_cmp_gt_u32_e32 vcc, 32, v0
	s_waitcnt lgkmcnt(0)
	s_barrier
	s_and_saveexec_b64 s[4:5], vcc
	s_cbranch_execz .LBB175_19
; %bb.18:
	ds_read2_b64 v[2:5], v1 offset1:32
	s_waitcnt lgkmcnt(0)
	v_add_f64 v[2:3], v[2:3], v[4:5]
	ds_write_b64 v1, v[2:3]
.LBB175_19:
	s_or_b64 exec, exec, s[4:5]
	v_cmp_gt_u32_e32 vcc, 16, v0
	s_waitcnt lgkmcnt(0)
	s_barrier
	s_and_saveexec_b64 s[4:5], vcc
	s_cbranch_execz .LBB175_21
; %bb.20:
	ds_read2_b64 v[2:5], v1 offset1:16
	s_waitcnt lgkmcnt(0)
	v_add_f64 v[2:3], v[2:3], v[4:5]
	ds_write_b64 v1, v[2:3]
.LBB175_21:
	;; [unrolled: 12-line block ×5, first 2 shown]
	s_or_b64 exec, exec, s[4:5]
	v_cmp_eq_u32_e32 vcc, 0, v0
	s_waitcnt lgkmcnt(0)
	s_barrier
	s_and_saveexec_b64 s[4:5], vcc
	s_cbranch_execz .LBB175_29
; %bb.28:
	v_mov_b32_e32 v4, 0
	ds_read_b128 v[0:3], v4
	s_waitcnt lgkmcnt(0)
	v_add_f64 v[0:1], v[0:1], v[2:3]
	ds_write_b64 v4, v[0:1]
.LBB175_29:
	s_or_b64 exec, exec, s[4:5]
	s_waitcnt lgkmcnt(0)
	s_barrier
	s_and_b64 exec, exec, vcc
	s_cbranch_execz .LBB175_39
; %bb.30:
	s_cmp_eq_u32 s24, 0
	s_cbranch_scc1 .LBB175_36
; %bb.31:
	s_ashr_i32 s15, s14, 31
	s_lshl_b64 s[4:5], s[14:15], 2
	s_add_u32 s0, s0, s4
	s_addc_u32 s1, s1, s5
	v_mov_b32_e32 v0, 0
	s_branch .LBB175_33
.LBB175_32:                             ;   in Loop: Header=BB175_33 Depth=1
	s_or_b64 exec, exec, s[4:5]
	s_waitcnt vmcnt(0)
	v_readfirstlane_b32 s4, v1
	s_cmp_eq_u32 s4, s17
	s_cbranch_scc0 .LBB175_35
.LBB175_33:                             ; =>This Inner Loop Header: Depth=1
	v_mbcnt_lo_u32_b32 v1, exec_lo, 0
	v_mbcnt_hi_u32_b32 v1, exec_hi, v1
	v_cmp_eq_u32_e32 vcc, 0, v1
                                        ; implicit-def: $vgpr1
	s_and_saveexec_b64 s[4:5], vcc
	s_cbranch_execz .LBB175_32
; %bb.34:                               ;   in Loop: Header=BB175_33 Depth=1
	global_load_dword v1, v0, s[0:1] glc
	s_branch .LBB175_32
.LBB175_35:
	v_mov_b32_e32 v0, 0
	global_load_dword v1, v0, s[6:7]
	s_waitcnt vmcnt(0)
	v_xor_b32_e32 v1, 1, v1
	global_store_dword v0, v1, s[6:7]
.LBB175_36:
	s_mov_b64 s[4:5], exec
	v_mbcnt_lo_u32_b32 v0, s4, 0
	v_mbcnt_hi_u32_b32 v0, s5, v0
	v_cmp_eq_u32_e32 vcc, 0, v0
	s_and_b64 s[0:1], exec, vcc
	s_mov_b64 exec, s[0:1]
	s_cbranch_execz .LBB175_39
; %bb.37:
	s_lshl_b64 s[0:1], s[12:13], 3
	s_add_u32 s0, s2, s0
	s_addc_u32 s1, s3, s1
	v_mov_b32_e32 v6, 0
	global_load_dwordx2 v[2:3], v6, s[0:1]
	ds_read_b64 v[0:1], v6
	s_bcnt1_i32_b64 s2, s[4:5]
	v_cvt_f64_u32_e32 v[4:5], s2
	s_mov_b64 s[2:3], 0
	s_waitcnt lgkmcnt(0)
	v_mul_f64 v[4:5], v[0:1], v[4:5]
.LBB175_38:                             ; =>This Inner Loop Header: Depth=1
	s_waitcnt vmcnt(0)
	v_add_f64 v[0:1], v[2:3], v[4:5]
	global_atomic_cmpswap_x2 v[0:1], v6, v[0:3], s[0:1] glc
	s_waitcnt vmcnt(0)
	v_cmp_eq_u64_e32 vcc, v[0:1], v[2:3]
	s_or_b64 s[2:3], vcc, s[2:3]
	v_pk_mov_b32 v[2:3], v[0:1], v[0:1] op_sel:[0,1]
	s_andn2_b64 exec, exec, s[2:3]
	s_cbranch_execnz .LBB175_38
.LBB175_39:
	s_endpgm
	.section	.rodata,"a",@progbits
	.p2align	6, 0x0
	.amdhsa_kernel _ZN9rocsparseL27csrmvn_lrb_long_rows_kernelIiifdddEEvbT_PjPT0_S4_jNS_24const_host_device_scalarIT4_EEPKS1_PKS3_PKT1_PKT2_S7_PT3_21rocsparse_index_base_b
		.amdhsa_group_segment_fixed_size 2048
		.amdhsa_private_segment_fixed_size 0
		.amdhsa_kernarg_size 104
		.amdhsa_user_sgpr_count 6
		.amdhsa_user_sgpr_private_segment_buffer 1
		.amdhsa_user_sgpr_dispatch_ptr 0
		.amdhsa_user_sgpr_queue_ptr 0
		.amdhsa_user_sgpr_kernarg_segment_ptr 1
		.amdhsa_user_sgpr_dispatch_id 0
		.amdhsa_user_sgpr_flat_scratch_init 0
		.amdhsa_user_sgpr_kernarg_preload_length 0
		.amdhsa_user_sgpr_kernarg_preload_offset 0
		.amdhsa_user_sgpr_private_segment_size 0
		.amdhsa_uses_dynamic_stack 0
		.amdhsa_system_sgpr_private_segment_wavefront_offset 0
		.amdhsa_system_sgpr_workgroup_id_x 1
		.amdhsa_system_sgpr_workgroup_id_y 0
		.amdhsa_system_sgpr_workgroup_id_z 0
		.amdhsa_system_sgpr_workgroup_info 0
		.amdhsa_system_vgpr_workitem_id 0
		.amdhsa_next_free_vgpr 14
		.amdhsa_next_free_sgpr 28
		.amdhsa_accum_offset 16
		.amdhsa_reserve_vcc 1
		.amdhsa_reserve_flat_scratch 0
		.amdhsa_float_round_mode_32 0
		.amdhsa_float_round_mode_16_64 0
		.amdhsa_float_denorm_mode_32 3
		.amdhsa_float_denorm_mode_16_64 3
		.amdhsa_dx10_clamp 1
		.amdhsa_ieee_mode 1
		.amdhsa_fp16_overflow 0
		.amdhsa_tg_split 0
		.amdhsa_exception_fp_ieee_invalid_op 0
		.amdhsa_exception_fp_denorm_src 0
		.amdhsa_exception_fp_ieee_div_zero 0
		.amdhsa_exception_fp_ieee_overflow 0
		.amdhsa_exception_fp_ieee_underflow 0
		.amdhsa_exception_fp_ieee_inexact 0
		.amdhsa_exception_int_div_zero 0
	.end_amdhsa_kernel
	.section	.text._ZN9rocsparseL27csrmvn_lrb_long_rows_kernelIiifdddEEvbT_PjPT0_S4_jNS_24const_host_device_scalarIT4_EEPKS1_PKS3_PKT1_PKT2_S7_PT3_21rocsparse_index_base_b,"axG",@progbits,_ZN9rocsparseL27csrmvn_lrb_long_rows_kernelIiifdddEEvbT_PjPT0_S4_jNS_24const_host_device_scalarIT4_EEPKS1_PKS3_PKT1_PKT2_S7_PT3_21rocsparse_index_base_b,comdat
.Lfunc_end175:
	.size	_ZN9rocsparseL27csrmvn_lrb_long_rows_kernelIiifdddEEvbT_PjPT0_S4_jNS_24const_host_device_scalarIT4_EEPKS1_PKS3_PKT1_PKT2_S7_PT3_21rocsparse_index_base_b, .Lfunc_end175-_ZN9rocsparseL27csrmvn_lrb_long_rows_kernelIiifdddEEvbT_PjPT0_S4_jNS_24const_host_device_scalarIT4_EEPKS1_PKS3_PKT1_PKT2_S7_PT3_21rocsparse_index_base_b
                                        ; -- End function
	.section	.AMDGPU.csdata,"",@progbits
; Kernel info:
; codeLenInByte = 1488
; NumSgprs: 32
; NumVgprs: 14
; NumAgprs: 0
; TotalNumVgprs: 14
; ScratchSize: 0
; MemoryBound: 0
; FloatMode: 240
; IeeeMode: 1
; LDSByteSize: 2048 bytes/workgroup (compile time only)
; SGPRBlocks: 3
; VGPRBlocks: 1
; NumSGPRsForWavesPerEU: 32
; NumVGPRsForWavesPerEU: 14
; AccumOffset: 16
; Occupancy: 8
; WaveLimiterHint : 1
; COMPUTE_PGM_RSRC2:SCRATCH_EN: 0
; COMPUTE_PGM_RSRC2:USER_SGPR: 6
; COMPUTE_PGM_RSRC2:TRAP_HANDLER: 0
; COMPUTE_PGM_RSRC2:TGID_X_EN: 1
; COMPUTE_PGM_RSRC2:TGID_Y_EN: 0
; COMPUTE_PGM_RSRC2:TGID_Z_EN: 0
; COMPUTE_PGM_RSRC2:TIDIG_COMP_CNT: 0
; COMPUTE_PGM_RSRC3_GFX90A:ACCUM_OFFSET: 3
; COMPUTE_PGM_RSRC3_GFX90A:TG_SPLIT: 0
	.section	.text._ZN9rocsparseL28csrmvn_lrb_short_rows_kernelIlifdddEEvbT_PT0_S3_jNS_24const_host_device_scalarIT4_EEPKS1_PKS2_PKT1_PKT2_S6_PT3_21rocsparse_index_base_b,"axG",@progbits,_ZN9rocsparseL28csrmvn_lrb_short_rows_kernelIlifdddEEvbT_PT0_S3_jNS_24const_host_device_scalarIT4_EEPKS1_PKS2_PKT1_PKT2_S6_PT3_21rocsparse_index_base_b,comdat
	.globl	_ZN9rocsparseL28csrmvn_lrb_short_rows_kernelIlifdddEEvbT_PT0_S3_jNS_24const_host_device_scalarIT4_EEPKS1_PKS2_PKT1_PKT2_S6_PT3_21rocsparse_index_base_b ; -- Begin function _ZN9rocsparseL28csrmvn_lrb_short_rows_kernelIlifdddEEvbT_PT0_S3_jNS_24const_host_device_scalarIT4_EEPKS1_PKS2_PKT1_PKT2_S6_PT3_21rocsparse_index_base_b
	.p2align	8
	.type	_ZN9rocsparseL28csrmvn_lrb_short_rows_kernelIlifdddEEvbT_PT0_S3_jNS_24const_host_device_scalarIT4_EEPKS1_PKS2_PKT1_PKT2_S6_PT3_21rocsparse_index_base_b,@function
_ZN9rocsparseL28csrmvn_lrb_short_rows_kernelIlifdddEEvbT_PT0_S3_jNS_24const_host_device_scalarIT4_EEPKS1_PKS2_PKT1_PKT2_S6_PT3_21rocsparse_index_base_b: ; @_ZN9rocsparseL28csrmvn_lrb_short_rows_kernelIlifdddEEvbT_PT0_S3_jNS_24const_host_device_scalarIT4_EEPKS1_PKS2_PKT1_PKT2_S6_PT3_21rocsparse_index_base_b
; %bb.0:
	s_load_dwordx2 s[18:19], s[4:5], 0x60
	s_load_dwordx2 s[8:9], s[4:5], 0x28
	;; [unrolled: 1-line block ×3, first 2 shown]
	s_waitcnt lgkmcnt(0)
	s_bitcmp1_b32 s19, 0
	s_cselect_b64 s[10:11], -1, 0
	s_xor_b64 s[2:3], s[10:11], -1
	s_and_b64 vcc, exec, s[10:11]
	v_pk_mov_b32 v[8:9], s[8:9], s[8:9] op_sel:[0,1]
	s_cbranch_vccnz .LBB176_2
; %bb.1:
	v_pk_mov_b32 v[2:3], s[8:9], s[8:9] op_sel:[0,1]
	flat_load_dwordx2 v[8:9], v[2:3]
.LBB176_2:
	s_andn2_b64 vcc, exec, s[2:3]
	v_pk_mov_b32 v[6:7], s[0:1], s[0:1] op_sel:[0,1]
	s_cbranch_vccnz .LBB176_4
; %bb.3:
	v_pk_mov_b32 v[2:3], s[0:1], s[0:1] op_sel:[0,1]
	flat_load_dwordx2 v[6:7], v[2:3]
.LBB176_4:
	s_waitcnt vmcnt(0) lgkmcnt(0)
	v_cmp_neq_f64_e32 vcc, 0, v[8:9]
	v_cmp_neq_f64_e64 s[0:1], 1.0, v[6:7]
	s_or_b64 s[0:1], vcc, s[0:1]
	s_and_saveexec_b64 s[2:3], s[0:1]
	s_cbranch_execz .LBB176_18
; %bb.5:
	s_load_dword s16, s[4:5], 0x20
	s_load_dwordx4 s[0:3], s[4:5], 0x10
	s_mov_b32 s19, 0
	s_mov_b32 s17, s19
	;; [unrolled: 1-line block ×3, first 2 shown]
	s_waitcnt lgkmcnt(0)
	s_lshl_b64 s[8:9], s[16:17], 2
	s_add_u32 s8, s2, s8
	s_addc_u32 s9, s3, s9
	s_add_i32 s10, s16, 1
	s_lshl_b64 s[10:11], s[10:11], 2
	s_add_u32 s2, s2, s10
	s_addc_u32 s3, s3, s11
	s_load_dword s17, s[8:9], 0x0
	s_load_dword s7, s[2:3], 0x0
	s_lshl_b32 s20, s6, 8
	s_add_i32 s3, s20, 0x100
	s_waitcnt lgkmcnt(0)
	s_sub_i32 s2, s7, s17
	s_min_u32 s21, s2, s3
	s_cmp_gt_u32 s16, 23
	s_cbranch_scc1 .LBB176_12
; %bb.6:
	s_load_dwordx8 s[8:15], s[4:5], 0x30
	v_mov_b32_e32 v13, 0
	s_lshl_b32 s22, 0x100, s16
	v_bfe_u32 v10, v0, 0, s16
	v_mov_b32_e32 v11, v13
	v_lshl_add_u32 v1, v0, 3, 0
	s_mov_b32 s23, s19
	s_branch .LBB176_9
.LBB176_7:                              ;   in Loop: Header=BB176_9 Depth=1
	s_or_b64 exec, exec, s[6:7]
	ds_write_b64 v1, v[4:5]
.LBB176_8:                              ;   in Loop: Header=BB176_9 Depth=1
	s_or_b64 exec, exec, s[2:3]
	s_addk_i32 s23, 0x100
	s_cmp_ge_u32 s23, s22
	v_add_u32_e32 v1, 0x800, v1
	s_cbranch_scc1 .LBB176_12
.LBB176_9:                              ; =>This Inner Loop Header: Depth=1
	v_add_u32_e32 v2, s23, v0
	v_lshrrev_b32_e32 v2, s16, v2
	v_add_u32_e32 v2, s20, v2
	v_cmp_gt_u32_e32 vcc, s21, v2
	s_and_saveexec_b64 s[2:3], vcc
	s_cbranch_execz .LBB176_8
; %bb.10:                               ;   in Loop: Header=BB176_9 Depth=1
	v_add_u32_e32 v12, s17, v2
	v_lshlrev_b64 v[2:3], 2, v[12:13]
	v_mov_b32_e32 v4, s1
	v_add_co_u32_e32 v2, vcc, s0, v2
	v_addc_co_u32_e32 v3, vcc, v4, v3, vcc
	global_load_dword v2, v[2:3], off
	s_waitcnt lgkmcnt(0)
	v_mov_b32_e32 v4, s9
	s_waitcnt vmcnt(0)
	v_ashrrev_i32_e32 v3, 31, v2
	v_lshlrev_b64 v[2:3], 3, v[2:3]
	v_add_co_u32_e32 v2, vcc, s8, v2
	v_addc_co_u32_e32 v3, vcc, v4, v3, vcc
	global_load_dwordx4 v[2:5], v[2:3], off
	s_waitcnt vmcnt(0)
	v_sub_co_u32_e32 v4, vcc, v4, v2
	v_subb_co_u32_e32 v5, vcc, v5, v3, vcc
	v_cmp_gt_i64_e32 vcc, v[4:5], v[10:11]
	v_pk_mov_b32 v[4:5], 0, 0
	s_and_saveexec_b64 s[6:7], vcc
	s_cbranch_execz .LBB176_7
; %bb.11:                               ;   in Loop: Header=BB176_9 Depth=1
	v_mov_b32_e32 v4, s19
	v_subrev_co_u32_e32 v2, vcc, s18, v2
	v_subb_co_u32_e32 v3, vcc, v3, v4, vcc
	v_add_co_u32_e32 v2, vcc, v2, v10
	v_addc_co_u32_e32 v3, vcc, 0, v3, vcc
	v_lshlrev_b64 v[2:3], 2, v[2:3]
	v_mov_b32_e32 v5, s11
	v_add_co_u32_e32 v4, vcc, s10, v2
	v_addc_co_u32_e32 v5, vcc, v5, v3, vcc
	global_load_dword v4, v[4:5], off
	v_mov_b32_e32 v5, s13
	v_add_co_u32_e32 v2, vcc, s12, v2
	v_addc_co_u32_e32 v3, vcc, v5, v3, vcc
	global_load_dword v5, v[2:3], off
	v_mov_b32_e32 v12, s15
	s_waitcnt vmcnt(1)
	v_subrev_u32_e32 v2, s18, v4
	v_ashrrev_i32_e32 v3, 31, v2
	v_lshlrev_b64 v[2:3], 3, v[2:3]
	v_add_co_u32_e32 v2, vcc, s14, v2
	v_addc_co_u32_e32 v3, vcc, v12, v3, vcc
	global_load_dwordx2 v[2:3], v[2:3], off
	s_waitcnt vmcnt(1)
	v_cvt_f64_f32_e32 v[4:5], v5
	v_mul_f64 v[4:5], v[8:9], v[4:5]
	s_waitcnt vmcnt(0)
	v_mul_f64 v[4:5], v[4:5], v[2:3]
	s_branch .LBB176_7
.LBB176_12:
	s_sub_i32 s2, s21, s20
	v_cmp_gt_u32_e32 vcc, s2, v0
	s_waitcnt lgkmcnt(0)
	s_barrier
	s_and_b64 exec, exec, vcc
	s_cbranch_execz .LBB176_18
; %bb.13:
	s_add_i32 s17, s17, s20
	v_add_u32_e32 v2, s17, v0
	v_mov_b32_e32 v3, 0
	v_lshlrev_b64 v[2:3], 2, v[2:3]
	v_mov_b32_e32 v1, s1
	v_add_co_u32_e32 v2, vcc, s0, v2
	v_addc_co_u32_e32 v3, vcc, v1, v3, vcc
	global_load_dword v2, v[2:3], off
	s_load_dwordx2 s[0:1], s[4:5], 0x58
	v_lshlrev_b32_e32 v0, s16, v0
	v_lshl_add_u32 v3, v0, 3, 0
	s_mov_b32 s2, 1
	v_pk_mov_b32 v[0:1], 0, 0
.LBB176_14:                             ; =>This Inner Loop Header: Depth=1
	ds_read_b64 v[4:5], v3
	s_lshr_b32 s3, s2, s16
	s_add_i32 s2, s2, 1
	v_add_u32_e32 v3, 8, v3
	s_cmp_lg_u32 s3, 0
	s_waitcnt lgkmcnt(0)
	v_add_f64 v[0:1], v[0:1], v[4:5]
	s_cbranch_scc0 .LBB176_14
; %bb.15:
	s_waitcnt vmcnt(0)
	v_ashrrev_i32_e32 v3, 31, v2
	v_cmp_neq_f64_e32 vcc, 0, v[6:7]
	v_lshlrev_b64 v[2:3], 3, v[2:3]
	s_and_saveexec_b64 s[2:3], vcc
	s_cbranch_execz .LBB176_17
; %bb.16:
	v_mov_b32_e32 v5, s1
	v_add_co_u32_e32 v4, vcc, s0, v2
	v_addc_co_u32_e32 v5, vcc, v5, v3, vcc
	global_load_dwordx2 v[4:5], v[4:5], off
	s_waitcnt vmcnt(0)
	v_fmac_f64_e32 v[0:1], v[6:7], v[4:5]
.LBB176_17:
	s_or_b64 exec, exec, s[2:3]
	v_mov_b32_e32 v4, s1
	v_add_co_u32_e32 v2, vcc, s0, v2
	v_addc_co_u32_e32 v3, vcc, v4, v3, vcc
	global_store_dwordx2 v[2:3], v[0:1], off
.LBB176_18:
	s_endpgm
	.section	.rodata,"a",@progbits
	.p2align	6, 0x0
	.amdhsa_kernel _ZN9rocsparseL28csrmvn_lrb_short_rows_kernelIlifdddEEvbT_PT0_S3_jNS_24const_host_device_scalarIT4_EEPKS1_PKS2_PKT1_PKT2_S6_PT3_21rocsparse_index_base_b
		.amdhsa_group_segment_fixed_size 0
		.amdhsa_private_segment_fixed_size 0
		.amdhsa_kernarg_size 104
		.amdhsa_user_sgpr_count 6
		.amdhsa_user_sgpr_private_segment_buffer 1
		.amdhsa_user_sgpr_dispatch_ptr 0
		.amdhsa_user_sgpr_queue_ptr 0
		.amdhsa_user_sgpr_kernarg_segment_ptr 1
		.amdhsa_user_sgpr_dispatch_id 0
		.amdhsa_user_sgpr_flat_scratch_init 0
		.amdhsa_user_sgpr_kernarg_preload_length 0
		.amdhsa_user_sgpr_kernarg_preload_offset 0
		.amdhsa_user_sgpr_private_segment_size 0
		.amdhsa_uses_dynamic_stack 0
		.amdhsa_system_sgpr_private_segment_wavefront_offset 0
		.amdhsa_system_sgpr_workgroup_id_x 1
		.amdhsa_system_sgpr_workgroup_id_y 0
		.amdhsa_system_sgpr_workgroup_id_z 0
		.amdhsa_system_sgpr_workgroup_info 0
		.amdhsa_system_vgpr_workitem_id 0
		.amdhsa_next_free_vgpr 14
		.amdhsa_next_free_sgpr 24
		.amdhsa_accum_offset 16
		.amdhsa_reserve_vcc 1
		.amdhsa_reserve_flat_scratch 0
		.amdhsa_float_round_mode_32 0
		.amdhsa_float_round_mode_16_64 0
		.amdhsa_float_denorm_mode_32 3
		.amdhsa_float_denorm_mode_16_64 3
		.amdhsa_dx10_clamp 1
		.amdhsa_ieee_mode 1
		.amdhsa_fp16_overflow 0
		.amdhsa_tg_split 0
		.amdhsa_exception_fp_ieee_invalid_op 0
		.amdhsa_exception_fp_denorm_src 0
		.amdhsa_exception_fp_ieee_div_zero 0
		.amdhsa_exception_fp_ieee_overflow 0
		.amdhsa_exception_fp_ieee_underflow 0
		.amdhsa_exception_fp_ieee_inexact 0
		.amdhsa_exception_int_div_zero 0
	.end_amdhsa_kernel
	.section	.text._ZN9rocsparseL28csrmvn_lrb_short_rows_kernelIlifdddEEvbT_PT0_S3_jNS_24const_host_device_scalarIT4_EEPKS1_PKS2_PKT1_PKT2_S6_PT3_21rocsparse_index_base_b,"axG",@progbits,_ZN9rocsparseL28csrmvn_lrb_short_rows_kernelIlifdddEEvbT_PT0_S3_jNS_24const_host_device_scalarIT4_EEPKS1_PKS2_PKT1_PKT2_S6_PT3_21rocsparse_index_base_b,comdat
.Lfunc_end176:
	.size	_ZN9rocsparseL28csrmvn_lrb_short_rows_kernelIlifdddEEvbT_PT0_S3_jNS_24const_host_device_scalarIT4_EEPKS1_PKS2_PKT1_PKT2_S6_PT3_21rocsparse_index_base_b, .Lfunc_end176-_ZN9rocsparseL28csrmvn_lrb_short_rows_kernelIlifdddEEvbT_PT0_S3_jNS_24const_host_device_scalarIT4_EEPKS1_PKS2_PKT1_PKT2_S6_PT3_21rocsparse_index_base_b
                                        ; -- End function
	.section	.AMDGPU.csdata,"",@progbits
; Kernel info:
; codeLenInByte = 812
; NumSgprs: 28
; NumVgprs: 14
; NumAgprs: 0
; TotalNumVgprs: 14
; ScratchSize: 0
; MemoryBound: 0
; FloatMode: 240
; IeeeMode: 1
; LDSByteSize: 0 bytes/workgroup (compile time only)
; SGPRBlocks: 3
; VGPRBlocks: 1
; NumSGPRsForWavesPerEU: 28
; NumVGPRsForWavesPerEU: 14
; AccumOffset: 16
; Occupancy: 8
; WaveLimiterHint : 1
; COMPUTE_PGM_RSRC2:SCRATCH_EN: 0
; COMPUTE_PGM_RSRC2:USER_SGPR: 6
; COMPUTE_PGM_RSRC2:TRAP_HANDLER: 0
; COMPUTE_PGM_RSRC2:TGID_X_EN: 1
; COMPUTE_PGM_RSRC2:TGID_Y_EN: 0
; COMPUTE_PGM_RSRC2:TGID_Z_EN: 0
; COMPUTE_PGM_RSRC2:TIDIG_COMP_CNT: 0
; COMPUTE_PGM_RSRC3_GFX90A:ACCUM_OFFSET: 3
; COMPUTE_PGM_RSRC3_GFX90A:TG_SPLIT: 0
	.section	.text._ZN9rocsparseL30csrmvn_lrb_short_rows_2_kernelIlifdddEEvbT_PT0_S3_jNS_24const_host_device_scalarIT4_EEPKS1_PKS2_PKT1_PKT2_S6_PT3_21rocsparse_index_base_b,"axG",@progbits,_ZN9rocsparseL30csrmvn_lrb_short_rows_2_kernelIlifdddEEvbT_PT0_S3_jNS_24const_host_device_scalarIT4_EEPKS1_PKS2_PKT1_PKT2_S6_PT3_21rocsparse_index_base_b,comdat
	.globl	_ZN9rocsparseL30csrmvn_lrb_short_rows_2_kernelIlifdddEEvbT_PT0_S3_jNS_24const_host_device_scalarIT4_EEPKS1_PKS2_PKT1_PKT2_S6_PT3_21rocsparse_index_base_b ; -- Begin function _ZN9rocsparseL30csrmvn_lrb_short_rows_2_kernelIlifdddEEvbT_PT0_S3_jNS_24const_host_device_scalarIT4_EEPKS1_PKS2_PKT1_PKT2_S6_PT3_21rocsparse_index_base_b
	.p2align	8
	.type	_ZN9rocsparseL30csrmvn_lrb_short_rows_2_kernelIlifdddEEvbT_PT0_S3_jNS_24const_host_device_scalarIT4_EEPKS1_PKS2_PKT1_PKT2_S6_PT3_21rocsparse_index_base_b,@function
_ZN9rocsparseL30csrmvn_lrb_short_rows_2_kernelIlifdddEEvbT_PT0_S3_jNS_24const_host_device_scalarIT4_EEPKS1_PKS2_PKT1_PKT2_S6_PT3_21rocsparse_index_base_b: ; @_ZN9rocsparseL30csrmvn_lrb_short_rows_2_kernelIlifdddEEvbT_PT0_S3_jNS_24const_host_device_scalarIT4_EEPKS1_PKS2_PKT1_PKT2_S6_PT3_21rocsparse_index_base_b
; %bb.0:
	s_load_dwordx2 s[20:21], s[4:5], 0x60
	s_load_dwordx2 s[8:9], s[4:5], 0x28
	;; [unrolled: 1-line block ×3, first 2 shown]
	s_waitcnt lgkmcnt(0)
	s_bitcmp1_b32 s21, 0
	s_cselect_b64 s[10:11], -1, 0
	s_xor_b64 s[2:3], s[10:11], -1
	s_and_b64 vcc, exec, s[10:11]
	v_pk_mov_b32 v[8:9], s[8:9], s[8:9] op_sel:[0,1]
	s_cbranch_vccnz .LBB177_2
; %bb.1:
	v_pk_mov_b32 v[2:3], s[8:9], s[8:9] op_sel:[0,1]
	flat_load_dwordx2 v[8:9], v[2:3]
.LBB177_2:
	s_andn2_b64 vcc, exec, s[2:3]
	v_pk_mov_b32 v[6:7], s[0:1], s[0:1] op_sel:[0,1]
	s_cbranch_vccnz .LBB177_4
; %bb.3:
	v_pk_mov_b32 v[2:3], s[0:1], s[0:1] op_sel:[0,1]
	flat_load_dwordx2 v[6:7], v[2:3]
.LBB177_4:
	s_waitcnt vmcnt(0) lgkmcnt(0)
	v_cmp_neq_f64_e32 vcc, 0, v[8:9]
	v_cmp_neq_f64_e64 s[0:1], 1.0, v[6:7]
	s_or_b64 s[0:1], vcc, s[0:1]
	s_and_saveexec_b64 s[2:3], s[0:1]
	s_cbranch_execz .LBB177_30
; %bb.5:
	s_load_dword s2, s[4:5], 0x20
	s_load_dwordx4 s[16:19], s[4:5], 0x10
	s_mov_b32 s3, 0
	s_mov_b32 s1, s3
	v_mov_b32_e32 v11, 0
	s_waitcnt lgkmcnt(0)
	s_lshl_b64 s[8:9], s[2:3], 2
	s_add_u32 s22, s18, s8
	s_addc_u32 s23, s19, s9
	s_add_i32 s0, s2, 1
	s_lshl_b64 s[0:1], s[0:1], 2
	s_add_u32 s0, s18, s0
	s_addc_u32 s1, s19, s1
	s_load_dword s7, s[22:23], 0x0
	s_load_dword s21, s[0:1], 0x0
	s_load_dwordx2 s[18:19], s[4:5], 0x58
	s_load_dwordx8 s[8:15], s[4:5], 0x30
	s_lshr_b32 s3, 0x400, s2
	s_mul_i32 s6, s3, s6
	s_waitcnt lgkmcnt(0)
	s_sub_i32 s0, s21, s7
	s_add_i32 s1, s6, s3
	v_lshrrev_b32_e32 v1, s2, v0
	s_min_u32 s21, s0, s1
	v_add_u32_e32 v1, s6, v1
	v_bfe_u32 v10, v0, 0, s2
	v_cmp_gt_u32_e32 vcc, s21, v1
	s_and_saveexec_b64 s[0:1], vcc
	s_cbranch_execz .LBB177_9
; %bb.6:
	v_add_u32_e32 v2, s7, v1
	v_mov_b32_e32 v3, v11
	v_lshlrev_b64 v[2:3], 2, v[2:3]
	v_mov_b32_e32 v1, s17
	v_add_co_u32_e32 v2, vcc, s16, v2
	v_addc_co_u32_e32 v3, vcc, v1, v3, vcc
	global_load_dword v2, v[2:3], off
	v_mov_b32_e32 v1, s9
	s_waitcnt vmcnt(0)
	v_ashrrev_i32_e32 v3, 31, v2
	v_lshlrev_b64 v[2:3], 3, v[2:3]
	v_add_co_u32_e32 v2, vcc, s8, v2
	v_addc_co_u32_e32 v3, vcc, v1, v3, vcc
	global_load_dwordx4 v[2:5], v[2:3], off
	s_waitcnt vmcnt(0)
	v_sub_co_u32_e32 v4, vcc, v4, v2
	v_subb_co_u32_e32 v5, vcc, v5, v3, vcc
	v_cmp_gt_i64_e32 vcc, v[4:5], v[10:11]
	v_pk_mov_b32 v[4:5], 0, 0
	s_and_saveexec_b64 s[4:5], vcc
	s_cbranch_execz .LBB177_8
; %bb.7:
	v_subrev_co_u32_e32 v1, vcc, s20, v2
	v_subbrev_co_u32_e32 v3, vcc, 0, v3, vcc
	v_add_co_u32_e32 v2, vcc, v1, v10
	v_addc_co_u32_e32 v3, vcc, 0, v3, vcc
	v_lshlrev_b64 v[2:3], 2, v[2:3]
	v_mov_b32_e32 v1, s11
	v_add_co_u32_e32 v4, vcc, s10, v2
	v_addc_co_u32_e32 v5, vcc, v1, v3, vcc
	global_load_dword v1, v[4:5], off
	v_mov_b32_e32 v4, s13
	v_add_co_u32_e32 v2, vcc, s12, v2
	v_addc_co_u32_e32 v3, vcc, v4, v3, vcc
	global_load_dword v4, v[2:3], off
	v_mov_b32_e32 v5, s15
	s_waitcnt vmcnt(1)
	v_subrev_u32_e32 v2, s20, v1
	v_ashrrev_i32_e32 v3, 31, v2
	v_lshlrev_b64 v[2:3], 3, v[2:3]
	v_add_co_u32_e32 v2, vcc, s14, v2
	v_addc_co_u32_e32 v3, vcc, v5, v3, vcc
	global_load_dwordx2 v[2:3], v[2:3], off
	s_waitcnt vmcnt(1)
	v_cvt_f64_f32_e32 v[4:5], v4
	v_mul_f64 v[4:5], v[8:9], v[4:5]
	s_waitcnt vmcnt(0)
	v_mul_f64 v[4:5], v[4:5], v[2:3]
.LBB177_8:
	s_or_b64 exec, exec, s[4:5]
	v_lshlrev_b32_e32 v1, 3, v0
	ds_write_b64 v1, v[4:5]
.LBB177_9:
	s_or_b64 exec, exec, s[0:1]
	v_or_b32_e32 v1, 0x100, v0
	v_lshrrev_b32_e32 v1, s2, v1
	v_add_u32_e32 v1, s6, v1
	v_cmp_gt_u32_e32 vcc, s21, v1
	s_and_saveexec_b64 s[0:1], vcc
	s_cbranch_execz .LBB177_13
; %bb.10:
	v_add_u32_e32 v2, s7, v1
	v_mov_b32_e32 v3, 0
	v_lshlrev_b64 v[2:3], 2, v[2:3]
	v_mov_b32_e32 v1, s17
	v_add_co_u32_e32 v2, vcc, s16, v2
	v_addc_co_u32_e32 v3, vcc, v1, v3, vcc
	global_load_dword v2, v[2:3], off
	v_mov_b32_e32 v1, s9
	s_waitcnt vmcnt(0)
	v_ashrrev_i32_e32 v3, 31, v2
	v_lshlrev_b64 v[2:3], 3, v[2:3]
	v_add_co_u32_e32 v2, vcc, s8, v2
	v_addc_co_u32_e32 v3, vcc, v1, v3, vcc
	global_load_dwordx4 v[2:5], v[2:3], off
	s_waitcnt vmcnt(0)
	v_sub_co_u32_e32 v4, vcc, v4, v2
	v_subb_co_u32_e32 v5, vcc, v5, v3, vcc
	v_cmp_gt_i64_e32 vcc, v[4:5], v[10:11]
	v_pk_mov_b32 v[4:5], 0, 0
	s_and_saveexec_b64 s[4:5], vcc
	s_cbranch_execz .LBB177_12
; %bb.11:
	v_subrev_co_u32_e32 v1, vcc, s20, v2
	v_subbrev_co_u32_e32 v3, vcc, 0, v3, vcc
	v_add_co_u32_e32 v2, vcc, v1, v10
	v_addc_co_u32_e32 v3, vcc, 0, v3, vcc
	v_lshlrev_b64 v[2:3], 2, v[2:3]
	v_mov_b32_e32 v1, s11
	v_add_co_u32_e32 v4, vcc, s10, v2
	v_addc_co_u32_e32 v5, vcc, v1, v3, vcc
	global_load_dword v1, v[4:5], off
	v_mov_b32_e32 v4, s13
	v_add_co_u32_e32 v2, vcc, s12, v2
	v_addc_co_u32_e32 v3, vcc, v4, v3, vcc
	global_load_dword v4, v[2:3], off
	v_mov_b32_e32 v5, s15
	s_waitcnt vmcnt(1)
	v_subrev_u32_e32 v2, s20, v1
	v_ashrrev_i32_e32 v3, 31, v2
	v_lshlrev_b64 v[2:3], 3, v[2:3]
	v_add_co_u32_e32 v2, vcc, s14, v2
	v_addc_co_u32_e32 v3, vcc, v5, v3, vcc
	global_load_dwordx2 v[2:3], v[2:3], off
	s_waitcnt vmcnt(1)
	v_cvt_f64_f32_e32 v[4:5], v4
	v_mul_f64 v[4:5], v[8:9], v[4:5]
	s_waitcnt vmcnt(0)
	v_mul_f64 v[4:5], v[4:5], v[2:3]
.LBB177_12:
	s_or_b64 exec, exec, s[4:5]
	v_lshlrev_b32_e32 v1, 3, v0
	ds_write_b64 v1, v[4:5] offset:2048
.LBB177_13:
	s_or_b64 exec, exec, s[0:1]
	v_or_b32_e32 v1, 0x200, v0
	v_lshrrev_b32_e32 v1, s2, v1
	v_add_u32_e32 v1, s6, v1
	v_cmp_gt_u32_e32 vcc, s21, v1
	s_and_saveexec_b64 s[0:1], vcc
	s_cbranch_execz .LBB177_17
; %bb.14:
	v_add_u32_e32 v2, s7, v1
	v_mov_b32_e32 v3, 0
	v_lshlrev_b64 v[2:3], 2, v[2:3]
	v_mov_b32_e32 v1, s17
	v_add_co_u32_e32 v2, vcc, s16, v2
	v_addc_co_u32_e32 v3, vcc, v1, v3, vcc
	global_load_dword v2, v[2:3], off
	v_mov_b32_e32 v1, s9
	s_waitcnt vmcnt(0)
	v_ashrrev_i32_e32 v3, 31, v2
	v_lshlrev_b64 v[2:3], 3, v[2:3]
	v_add_co_u32_e32 v2, vcc, s8, v2
	v_addc_co_u32_e32 v3, vcc, v1, v3, vcc
	global_load_dwordx4 v[2:5], v[2:3], off
	s_waitcnt vmcnt(0)
	v_sub_co_u32_e32 v4, vcc, v4, v2
	v_subb_co_u32_e32 v5, vcc, v5, v3, vcc
	v_cmp_gt_i64_e32 vcc, v[4:5], v[10:11]
	v_pk_mov_b32 v[4:5], 0, 0
	s_and_saveexec_b64 s[4:5], vcc
	s_cbranch_execz .LBB177_16
; %bb.15:
	v_subrev_co_u32_e32 v1, vcc, s20, v2
	v_subbrev_co_u32_e32 v3, vcc, 0, v3, vcc
	v_add_co_u32_e32 v2, vcc, v1, v10
	v_addc_co_u32_e32 v3, vcc, 0, v3, vcc
	v_lshlrev_b64 v[2:3], 2, v[2:3]
	v_mov_b32_e32 v1, s11
	v_add_co_u32_e32 v4, vcc, s10, v2
	v_addc_co_u32_e32 v5, vcc, v1, v3, vcc
	global_load_dword v1, v[4:5], off
	v_mov_b32_e32 v4, s13
	v_add_co_u32_e32 v2, vcc, s12, v2
	v_addc_co_u32_e32 v3, vcc, v4, v3, vcc
	global_load_dword v4, v[2:3], off
	v_mov_b32_e32 v5, s15
	s_waitcnt vmcnt(1)
	v_subrev_u32_e32 v2, s20, v1
	v_ashrrev_i32_e32 v3, 31, v2
	v_lshlrev_b64 v[2:3], 3, v[2:3]
	v_add_co_u32_e32 v2, vcc, s14, v2
	v_addc_co_u32_e32 v3, vcc, v5, v3, vcc
	global_load_dwordx2 v[2:3], v[2:3], off
	s_waitcnt vmcnt(1)
	v_cvt_f64_f32_e32 v[4:5], v4
	v_mul_f64 v[4:5], v[8:9], v[4:5]
	s_waitcnt vmcnt(0)
	v_mul_f64 v[4:5], v[4:5], v[2:3]
.LBB177_16:
	s_or_b64 exec, exec, s[4:5]
	v_lshlrev_b32_e32 v1, 3, v0
	ds_write_b64 v1, v[4:5] offset:4096
.LBB177_17:
	;; [unrolled: 61-line block ×3, first 2 shown]
	s_or_b64 exec, exec, s[0:1]
	s_cmp_lt_u32 s2, 11
	s_waitcnt lgkmcnt(0)
	s_barrier
	s_cbranch_scc0 .LBB177_30
; %bb.22:
	s_sub_i32 s8, s21, s6
	s_add_i32 s9, s7, s6
	v_cmp_neq_f64_e32 vcc, 0, v[6:7]
	s_mov_b32 s10, 0
	v_mov_b32_e32 v3, 0
	s_branch .LBB177_25
.LBB177_23:                             ;   in Loop: Header=BB177_25 Depth=1
	s_or_b64 exec, exec, s[6:7]
	v_mov_b32_e32 v1, s19
	v_add_co_u32_e64 v8, s[0:1], s18, v8
	v_addc_co_u32_e64 v9, s[0:1], v1, v9, s[0:1]
	global_store_dwordx2 v[8:9], v[4:5], off
.LBB177_24:                             ;   in Loop: Header=BB177_25 Depth=1
	s_or_b64 exec, exec, s[4:5]
	s_addk_i32 s10, 0x100
	s_cmp_lt_u32 s10, s3
	s_cbranch_scc0 .LBB177_30
.LBB177_25:                             ; =>This Loop Header: Depth=1
                                        ;     Child Loop BB177_27 Depth 2
	v_add_u32_e32 v1, s10, v0
	v_cmp_gt_u32_e64 s[0:1], s8, v1
	s_and_saveexec_b64 s[4:5], s[0:1]
	s_cbranch_execz .LBB177_24
; %bb.26:                               ;   in Loop: Header=BB177_25 Depth=1
	v_add_u32_e32 v2, s9, v1
	v_lshlrev_b64 v[4:5], 2, v[2:3]
	v_mov_b32_e32 v2, s17
	v_add_co_u32_e64 v4, s[0:1], s16, v4
	v_addc_co_u32_e64 v5, s[0:1], v2, v5, s[0:1]
	global_load_dword v8, v[4:5], off
	v_lshlrev_b32_e32 v1, s2, v1
	v_lshlrev_b32_e32 v1, 3, v1
	s_mov_b32 s0, 1
	v_pk_mov_b32 v[4:5], 0, 0
.LBB177_27:                             ;   Parent Loop BB177_25 Depth=1
                                        ; =>  This Inner Loop Header: Depth=2
	ds_read_b64 v[10:11], v1
	s_lshr_b32 s1, s0, s2
	s_add_i32 s0, s0, 1
	v_add_u32_e32 v1, 8, v1
	s_cmp_lg_u32 s1, 0
	s_waitcnt lgkmcnt(0)
	v_add_f64 v[4:5], v[4:5], v[10:11]
	s_cbranch_scc0 .LBB177_27
; %bb.28:                               ;   in Loop: Header=BB177_25 Depth=1
	s_waitcnt vmcnt(0)
	v_ashrrev_i32_e32 v9, 31, v8
	v_lshlrev_b64 v[8:9], 3, v[8:9]
	s_and_saveexec_b64 s[6:7], vcc
	s_cbranch_execz .LBB177_23
; %bb.29:                               ;   in Loop: Header=BB177_25 Depth=1
	v_mov_b32_e32 v1, s19
	v_add_co_u32_e64 v10, s[0:1], s18, v8
	v_addc_co_u32_e64 v11, s[0:1], v1, v9, s[0:1]
	global_load_dwordx2 v[10:11], v[10:11], off
	s_waitcnt vmcnt(0)
	v_fmac_f64_e32 v[4:5], v[6:7], v[10:11]
	s_branch .LBB177_23
.LBB177_30:
	s_endpgm
	.section	.rodata,"a",@progbits
	.p2align	6, 0x0
	.amdhsa_kernel _ZN9rocsparseL30csrmvn_lrb_short_rows_2_kernelIlifdddEEvbT_PT0_S3_jNS_24const_host_device_scalarIT4_EEPKS1_PKS2_PKT1_PKT2_S6_PT3_21rocsparse_index_base_b
		.amdhsa_group_segment_fixed_size 8192
		.amdhsa_private_segment_fixed_size 0
		.amdhsa_kernarg_size 104
		.amdhsa_user_sgpr_count 6
		.amdhsa_user_sgpr_private_segment_buffer 1
		.amdhsa_user_sgpr_dispatch_ptr 0
		.amdhsa_user_sgpr_queue_ptr 0
		.amdhsa_user_sgpr_kernarg_segment_ptr 1
		.amdhsa_user_sgpr_dispatch_id 0
		.amdhsa_user_sgpr_flat_scratch_init 0
		.amdhsa_user_sgpr_kernarg_preload_length 0
		.amdhsa_user_sgpr_kernarg_preload_offset 0
		.amdhsa_user_sgpr_private_segment_size 0
		.amdhsa_uses_dynamic_stack 0
		.amdhsa_system_sgpr_private_segment_wavefront_offset 0
		.amdhsa_system_sgpr_workgroup_id_x 1
		.amdhsa_system_sgpr_workgroup_id_y 0
		.amdhsa_system_sgpr_workgroup_id_z 0
		.amdhsa_system_sgpr_workgroup_info 0
		.amdhsa_system_vgpr_workitem_id 0
		.amdhsa_next_free_vgpr 12
		.amdhsa_next_free_sgpr 24
		.amdhsa_accum_offset 12
		.amdhsa_reserve_vcc 1
		.amdhsa_reserve_flat_scratch 0
		.amdhsa_float_round_mode_32 0
		.amdhsa_float_round_mode_16_64 0
		.amdhsa_float_denorm_mode_32 3
		.amdhsa_float_denorm_mode_16_64 3
		.amdhsa_dx10_clamp 1
		.amdhsa_ieee_mode 1
		.amdhsa_fp16_overflow 0
		.amdhsa_tg_split 0
		.amdhsa_exception_fp_ieee_invalid_op 0
		.amdhsa_exception_fp_denorm_src 0
		.amdhsa_exception_fp_ieee_div_zero 0
		.amdhsa_exception_fp_ieee_overflow 0
		.amdhsa_exception_fp_ieee_underflow 0
		.amdhsa_exception_fp_ieee_inexact 0
		.amdhsa_exception_int_div_zero 0
	.end_amdhsa_kernel
	.section	.text._ZN9rocsparseL30csrmvn_lrb_short_rows_2_kernelIlifdddEEvbT_PT0_S3_jNS_24const_host_device_scalarIT4_EEPKS1_PKS2_PKT1_PKT2_S6_PT3_21rocsparse_index_base_b,"axG",@progbits,_ZN9rocsparseL30csrmvn_lrb_short_rows_2_kernelIlifdddEEvbT_PT0_S3_jNS_24const_host_device_scalarIT4_EEPKS1_PKS2_PKT1_PKT2_S6_PT3_21rocsparse_index_base_b,comdat
.Lfunc_end177:
	.size	_ZN9rocsparseL30csrmvn_lrb_short_rows_2_kernelIlifdddEEvbT_PT0_S3_jNS_24const_host_device_scalarIT4_EEPKS1_PKS2_PKT1_PKT2_S6_PT3_21rocsparse_index_base_b, .Lfunc_end177-_ZN9rocsparseL30csrmvn_lrb_short_rows_2_kernelIlifdddEEvbT_PT0_S3_jNS_24const_host_device_scalarIT4_EEPKS1_PKS2_PKT1_PKT2_S6_PT3_21rocsparse_index_base_b
                                        ; -- End function
	.section	.AMDGPU.csdata,"",@progbits
; Kernel info:
; codeLenInByte = 1664
; NumSgprs: 28
; NumVgprs: 12
; NumAgprs: 0
; TotalNumVgprs: 12
; ScratchSize: 0
; MemoryBound: 0
; FloatMode: 240
; IeeeMode: 1
; LDSByteSize: 8192 bytes/workgroup (compile time only)
; SGPRBlocks: 3
; VGPRBlocks: 1
; NumSGPRsForWavesPerEU: 28
; NumVGPRsForWavesPerEU: 12
; AccumOffset: 12
; Occupancy: 8
; WaveLimiterHint : 1
; COMPUTE_PGM_RSRC2:SCRATCH_EN: 0
; COMPUTE_PGM_RSRC2:USER_SGPR: 6
; COMPUTE_PGM_RSRC2:TRAP_HANDLER: 0
; COMPUTE_PGM_RSRC2:TGID_X_EN: 1
; COMPUTE_PGM_RSRC2:TGID_Y_EN: 0
; COMPUTE_PGM_RSRC2:TGID_Z_EN: 0
; COMPUTE_PGM_RSRC2:TIDIG_COMP_CNT: 0
; COMPUTE_PGM_RSRC3_GFX90A:ACCUM_OFFSET: 2
; COMPUTE_PGM_RSRC3_GFX90A:TG_SPLIT: 0
	.section	.text._ZN9rocsparseL41csrmvn_lrb_medium_rows_warp_reduce_kernelILj256ELj32ElifdddEEvbT1_lPT2_S3_jNS_24const_host_device_scalarIT6_EEPKS1_PKS2_PKT3_PKT4_S6_PT5_21rocsparse_index_base_b,"axG",@progbits,_ZN9rocsparseL41csrmvn_lrb_medium_rows_warp_reduce_kernelILj256ELj32ElifdddEEvbT1_lPT2_S3_jNS_24const_host_device_scalarIT6_EEPKS1_PKS2_PKT3_PKT4_S6_PT5_21rocsparse_index_base_b,comdat
	.globl	_ZN9rocsparseL41csrmvn_lrb_medium_rows_warp_reduce_kernelILj256ELj32ElifdddEEvbT1_lPT2_S3_jNS_24const_host_device_scalarIT6_EEPKS1_PKS2_PKT3_PKT4_S6_PT5_21rocsparse_index_base_b ; -- Begin function _ZN9rocsparseL41csrmvn_lrb_medium_rows_warp_reduce_kernelILj256ELj32ElifdddEEvbT1_lPT2_S3_jNS_24const_host_device_scalarIT6_EEPKS1_PKS2_PKT3_PKT4_S6_PT5_21rocsparse_index_base_b
	.p2align	8
	.type	_ZN9rocsparseL41csrmvn_lrb_medium_rows_warp_reduce_kernelILj256ELj32ElifdddEEvbT1_lPT2_S3_jNS_24const_host_device_scalarIT6_EEPKS1_PKS2_PKT3_PKT4_S6_PT5_21rocsparse_index_base_b,@function
_ZN9rocsparseL41csrmvn_lrb_medium_rows_warp_reduce_kernelILj256ELj32ElifdddEEvbT1_lPT2_S3_jNS_24const_host_device_scalarIT6_EEPKS1_PKS2_PKT3_PKT4_S6_PT5_21rocsparse_index_base_b: ; @_ZN9rocsparseL41csrmvn_lrb_medium_rows_warp_reduce_kernelILj256ELj32ElifdddEEvbT1_lPT2_S3_jNS_24const_host_device_scalarIT6_EEPKS1_PKS2_PKT3_PKT4_S6_PT5_21rocsparse_index_base_b
; %bb.0:
	s_load_dwordx2 s[2:3], s[4:5], 0x68
	s_load_dwordx2 s[10:11], s[4:5], 0x30
	;; [unrolled: 1-line block ×3, first 2 shown]
	s_waitcnt lgkmcnt(0)
	s_bitcmp1_b32 s3, 0
	s_cselect_b64 s[12:13], -1, 0
	s_xor_b64 s[8:9], s[12:13], -1
	s_and_b64 vcc, exec, s[12:13]
	v_pk_mov_b32 v[4:5], s[10:11], s[10:11] op_sel:[0,1]
	s_cbranch_vccnz .LBB178_2
; %bb.1:
	v_pk_mov_b32 v[2:3], s[10:11], s[10:11] op_sel:[0,1]
	flat_load_dwordx2 v[4:5], v[2:3]
.LBB178_2:
	s_andn2_b64 vcc, exec, s[8:9]
	v_pk_mov_b32 v[2:3], s[0:1], s[0:1] op_sel:[0,1]
	s_cbranch_vccnz .LBB178_4
; %bb.3:
	v_pk_mov_b32 v[2:3], s[0:1], s[0:1] op_sel:[0,1]
	flat_load_dwordx2 v[2:3], v[2:3]
.LBB178_4:
	s_waitcnt vmcnt(0) lgkmcnt(0)
	v_cmp_neq_f64_e32 vcc, 0, v[4:5]
	v_cmp_neq_f64_e64 s[0:1], 1.0, v[2:3]
	s_or_b64 s[0:1], vcc, s[0:1]
	s_and_saveexec_b64 s[8:9], s[0:1]
	s_cbranch_execz .LBB178_14
; %bb.5:
	s_load_dwordx2 s[0:1], s[4:5], 0x10
	v_lshrrev_b32_e32 v1, 5, v0
	v_lshl_or_b32 v6, s6, 3, v1
	v_ashrrev_i32_e32 v7, 31, v6
	s_waitcnt lgkmcnt(0)
	v_cmp_gt_i64_e32 vcc, s[0:1], v[6:7]
	s_and_b64 exec, exec, vcc
	s_cbranch_execz .LBB178_14
; %bb.6:
	s_load_dword s0, s[4:5], 0x28
	s_load_dwordx4 s[8:11], s[4:5], 0x18
	s_mov_b32 s1, 0
	v_and_b32_e32 v16, 31, v0
	s_load_dwordx2 s[6:7], s[4:5], 0x60
	s_waitcnt lgkmcnt(0)
	s_lshl_b64 s[0:1], s[0:1], 2
	s_add_u32 s0, s10, s0
	s_addc_u32 s1, s11, s1
	s_load_dword s0, s[0:1], 0x0
	v_mov_b32_e32 v1, s9
	s_waitcnt lgkmcnt(0)
	v_add_u32_e32 v6, s0, v6
	v_ashrrev_i32_e32 v7, 31, v6
	v_lshlrev_b64 v[6:7], 2, v[6:7]
	v_add_co_u32_e32 v6, vcc, s8, v6
	v_addc_co_u32_e32 v7, vcc, v1, v7, vcc
	global_load_dword v6, v[6:7], off
	s_load_dwordx2 s[0:1], s[4:5], 0x38
	s_waitcnt lgkmcnt(0)
	v_mov_b32_e32 v1, s1
	s_waitcnt vmcnt(0)
	v_ashrrev_i32_e32 v7, 31, v6
	v_lshlrev_b64 v[6:7], 3, v[6:7]
	v_add_co_u32_e32 v8, vcc, s0, v6
	v_addc_co_u32_e32 v9, vcc, v1, v7, vcc
	global_load_dwordx4 v[8:11], v[8:9], off
	v_subrev_co_u32_e32 v12, vcc, s2, v16
	v_subb_co_u32_e64 v13, s[0:1], 0, 0, vcc
	s_waitcnt vmcnt(0)
	v_subrev_co_u32_e32 v0, vcc, s2, v10
	v_subbrev_co_u32_e32 v1, vcc, 0, v11, vcc
	v_add_co_u32_e32 v8, vcc, v8, v12
	v_addc_co_u32_e32 v9, vcc, v9, v13, vcc
	v_cmp_lt_i64_e32 vcc, v[8:9], v[0:1]
	v_pk_mov_b32 v[10:11], 0, 0
	s_and_saveexec_b64 s[8:9], vcc
	s_cbranch_execz .LBB178_10
; %bb.7:
	s_load_dwordx4 s[12:15], s[4:5], 0x40
	s_load_dwordx2 s[10:11], s[4:5], 0x50
	v_lshlrev_b64 v[10:11], 2, v[8:9]
	s_mov_b64 s[4:5], 0
	s_waitcnt lgkmcnt(0)
	v_mov_b32_e32 v13, s15
	v_add_co_u32_e32 v12, vcc, s14, v10
	v_addc_co_u32_e32 v13, vcc, v13, v11, vcc
	v_mov_b32_e32 v15, s13
	v_add_co_u32_e32 v14, vcc, s12, v10
	v_addc_co_u32_e32 v15, vcc, v15, v11, vcc
	v_pk_mov_b32 v[10:11], 0, 0
	v_mov_b32_e32 v17, s11
.LBB178_8:                              ; =>This Inner Loop Header: Depth=1
	global_load_dword v18, v[14:15], off
	global_load_dword v20, v[12:13], off
	s_waitcnt vmcnt(1)
	v_subrev_u32_e32 v18, s2, v18
	v_ashrrev_i32_e32 v19, 31, v18
	v_lshlrev_b64 v[18:19], 3, v[18:19]
	v_add_co_u32_e32 v18, vcc, s10, v18
	v_addc_co_u32_e32 v19, vcc, v17, v19, vcc
	global_load_dwordx2 v[18:19], v[18:19], off
	v_add_co_u32_e32 v8, vcc, 32, v8
	v_addc_co_u32_e32 v9, vcc, 0, v9, vcc
	v_add_co_u32_e32 v12, vcc, 0x80, v12
	v_addc_co_u32_e32 v13, vcc, 0, v13, vcc
	s_waitcnt vmcnt(1)
	v_cvt_f64_f32_e32 v[20:21], v20
	v_add_co_u32_e32 v14, vcc, 0x80, v14
	v_cmp_ge_i64_e64 s[0:1], v[8:9], v[0:1]
	v_mul_f64 v[20:21], v[4:5], v[20:21]
	v_addc_co_u32_e32 v15, vcc, 0, v15, vcc
	s_or_b64 s[4:5], s[0:1], s[4:5]
	s_waitcnt vmcnt(0)
	v_fmac_f64_e32 v[10:11], v[20:21], v[18:19]
	s_andn2_b64 exec, exec, s[4:5]
	s_cbranch_execnz .LBB178_8
; %bb.9:
	s_or_b64 exec, exec, s[4:5]
.LBB178_10:
	s_or_b64 exec, exec, s[8:9]
	v_mov_b32_dpp v0, v10 row_shr:1 row_mask:0xf bank_mask:0xf
	v_mov_b32_dpp v1, v11 row_shr:1 row_mask:0xf bank_mask:0xf
	v_add_f64 v[0:1], v[10:11], v[0:1]
	v_cmp_eq_u32_e32 vcc, 31, v16
	s_nop 0
	v_mov_b32_dpp v4, v0 row_shr:2 row_mask:0xf bank_mask:0xf
	v_mov_b32_dpp v5, v1 row_shr:2 row_mask:0xf bank_mask:0xf
	v_add_f64 v[0:1], v[0:1], v[4:5]
	s_nop 1
	v_mov_b32_dpp v4, v0 row_shr:4 row_mask:0xf bank_mask:0xe
	v_mov_b32_dpp v5, v1 row_shr:4 row_mask:0xf bank_mask:0xe
	v_add_f64 v[0:1], v[0:1], v[4:5]
	;; [unrolled: 4-line block ×3, first 2 shown]
	s_nop 1
	v_mov_b32_dpp v4, v0 row_bcast:15 row_mask:0xa bank_mask:0xf
	v_mov_b32_dpp v5, v1 row_bcast:15 row_mask:0xa bank_mask:0xf
	s_and_b64 exec, exec, vcc
	s_cbranch_execz .LBB178_14
; %bb.11:
	v_add_f64 v[0:1], v[0:1], v[4:5]
	v_cmp_neq_f64_e32 vcc, 0, v[2:3]
	s_and_saveexec_b64 s[0:1], vcc
	s_cbranch_execz .LBB178_13
; %bb.12:
	v_mov_b32_e32 v5, s7
	v_add_co_u32_e32 v4, vcc, s6, v6
	v_addc_co_u32_e32 v5, vcc, v5, v7, vcc
	global_load_dwordx2 v[4:5], v[4:5], off
	s_waitcnt vmcnt(0)
	v_fmac_f64_e32 v[0:1], v[2:3], v[4:5]
.LBB178_13:
	s_or_b64 exec, exec, s[0:1]
	v_mov_b32_e32 v3, s7
	v_add_co_u32_e32 v2, vcc, s6, v6
	v_addc_co_u32_e32 v3, vcc, v3, v7, vcc
	global_store_dwordx2 v[2:3], v[0:1], off
.LBB178_14:
	s_endpgm
	.section	.rodata,"a",@progbits
	.p2align	6, 0x0
	.amdhsa_kernel _ZN9rocsparseL41csrmvn_lrb_medium_rows_warp_reduce_kernelILj256ELj32ElifdddEEvbT1_lPT2_S3_jNS_24const_host_device_scalarIT6_EEPKS1_PKS2_PKT3_PKT4_S6_PT5_21rocsparse_index_base_b
		.amdhsa_group_segment_fixed_size 0
		.amdhsa_private_segment_fixed_size 0
		.amdhsa_kernarg_size 112
		.amdhsa_user_sgpr_count 6
		.amdhsa_user_sgpr_private_segment_buffer 1
		.amdhsa_user_sgpr_dispatch_ptr 0
		.amdhsa_user_sgpr_queue_ptr 0
		.amdhsa_user_sgpr_kernarg_segment_ptr 1
		.amdhsa_user_sgpr_dispatch_id 0
		.amdhsa_user_sgpr_flat_scratch_init 0
		.amdhsa_user_sgpr_kernarg_preload_length 0
		.amdhsa_user_sgpr_kernarg_preload_offset 0
		.amdhsa_user_sgpr_private_segment_size 0
		.amdhsa_uses_dynamic_stack 0
		.amdhsa_system_sgpr_private_segment_wavefront_offset 0
		.amdhsa_system_sgpr_workgroup_id_x 1
		.amdhsa_system_sgpr_workgroup_id_y 0
		.amdhsa_system_sgpr_workgroup_id_z 0
		.amdhsa_system_sgpr_workgroup_info 0
		.amdhsa_system_vgpr_workitem_id 0
		.amdhsa_next_free_vgpr 22
		.amdhsa_next_free_sgpr 16
		.amdhsa_accum_offset 24
		.amdhsa_reserve_vcc 1
		.amdhsa_reserve_flat_scratch 0
		.amdhsa_float_round_mode_32 0
		.amdhsa_float_round_mode_16_64 0
		.amdhsa_float_denorm_mode_32 3
		.amdhsa_float_denorm_mode_16_64 3
		.amdhsa_dx10_clamp 1
		.amdhsa_ieee_mode 1
		.amdhsa_fp16_overflow 0
		.amdhsa_tg_split 0
		.amdhsa_exception_fp_ieee_invalid_op 0
		.amdhsa_exception_fp_denorm_src 0
		.amdhsa_exception_fp_ieee_div_zero 0
		.amdhsa_exception_fp_ieee_overflow 0
		.amdhsa_exception_fp_ieee_underflow 0
		.amdhsa_exception_fp_ieee_inexact 0
		.amdhsa_exception_int_div_zero 0
	.end_amdhsa_kernel
	.section	.text._ZN9rocsparseL41csrmvn_lrb_medium_rows_warp_reduce_kernelILj256ELj32ElifdddEEvbT1_lPT2_S3_jNS_24const_host_device_scalarIT6_EEPKS1_PKS2_PKT3_PKT4_S6_PT5_21rocsparse_index_base_b,"axG",@progbits,_ZN9rocsparseL41csrmvn_lrb_medium_rows_warp_reduce_kernelILj256ELj32ElifdddEEvbT1_lPT2_S3_jNS_24const_host_device_scalarIT6_EEPKS1_PKS2_PKT3_PKT4_S6_PT5_21rocsparse_index_base_b,comdat
.Lfunc_end178:
	.size	_ZN9rocsparseL41csrmvn_lrb_medium_rows_warp_reduce_kernelILj256ELj32ElifdddEEvbT1_lPT2_S3_jNS_24const_host_device_scalarIT6_EEPKS1_PKS2_PKT3_PKT4_S6_PT5_21rocsparse_index_base_b, .Lfunc_end178-_ZN9rocsparseL41csrmvn_lrb_medium_rows_warp_reduce_kernelILj256ELj32ElifdddEEvbT1_lPT2_S3_jNS_24const_host_device_scalarIT6_EEPKS1_PKS2_PKT3_PKT4_S6_PT5_21rocsparse_index_base_b
                                        ; -- End function
	.section	.AMDGPU.csdata,"",@progbits
; Kernel info:
; codeLenInByte = 788
; NumSgprs: 20
; NumVgprs: 22
; NumAgprs: 0
; TotalNumVgprs: 22
; ScratchSize: 0
; MemoryBound: 0
; FloatMode: 240
; IeeeMode: 1
; LDSByteSize: 0 bytes/workgroup (compile time only)
; SGPRBlocks: 2
; VGPRBlocks: 2
; NumSGPRsForWavesPerEU: 20
; NumVGPRsForWavesPerEU: 22
; AccumOffset: 24
; Occupancy: 8
; WaveLimiterHint : 1
; COMPUTE_PGM_RSRC2:SCRATCH_EN: 0
; COMPUTE_PGM_RSRC2:USER_SGPR: 6
; COMPUTE_PGM_RSRC2:TRAP_HANDLER: 0
; COMPUTE_PGM_RSRC2:TGID_X_EN: 1
; COMPUTE_PGM_RSRC2:TGID_Y_EN: 0
; COMPUTE_PGM_RSRC2:TGID_Z_EN: 0
; COMPUTE_PGM_RSRC2:TIDIG_COMP_CNT: 0
; COMPUTE_PGM_RSRC3_GFX90A:ACCUM_OFFSET: 5
; COMPUTE_PGM_RSRC3_GFX90A:TG_SPLIT: 0
	.section	.text._ZN9rocsparseL41csrmvn_lrb_medium_rows_warp_reduce_kernelILj256ELj64ElifdddEEvbT1_lPT2_S3_jNS_24const_host_device_scalarIT6_EEPKS1_PKS2_PKT3_PKT4_S6_PT5_21rocsparse_index_base_b,"axG",@progbits,_ZN9rocsparseL41csrmvn_lrb_medium_rows_warp_reduce_kernelILj256ELj64ElifdddEEvbT1_lPT2_S3_jNS_24const_host_device_scalarIT6_EEPKS1_PKS2_PKT3_PKT4_S6_PT5_21rocsparse_index_base_b,comdat
	.globl	_ZN9rocsparseL41csrmvn_lrb_medium_rows_warp_reduce_kernelILj256ELj64ElifdddEEvbT1_lPT2_S3_jNS_24const_host_device_scalarIT6_EEPKS1_PKS2_PKT3_PKT4_S6_PT5_21rocsparse_index_base_b ; -- Begin function _ZN9rocsparseL41csrmvn_lrb_medium_rows_warp_reduce_kernelILj256ELj64ElifdddEEvbT1_lPT2_S3_jNS_24const_host_device_scalarIT6_EEPKS1_PKS2_PKT3_PKT4_S6_PT5_21rocsparse_index_base_b
	.p2align	8
	.type	_ZN9rocsparseL41csrmvn_lrb_medium_rows_warp_reduce_kernelILj256ELj64ElifdddEEvbT1_lPT2_S3_jNS_24const_host_device_scalarIT6_EEPKS1_PKS2_PKT3_PKT4_S6_PT5_21rocsparse_index_base_b,@function
_ZN9rocsparseL41csrmvn_lrb_medium_rows_warp_reduce_kernelILj256ELj64ElifdddEEvbT1_lPT2_S3_jNS_24const_host_device_scalarIT6_EEPKS1_PKS2_PKT3_PKT4_S6_PT5_21rocsparse_index_base_b: ; @_ZN9rocsparseL41csrmvn_lrb_medium_rows_warp_reduce_kernelILj256ELj64ElifdddEEvbT1_lPT2_S3_jNS_24const_host_device_scalarIT6_EEPKS1_PKS2_PKT3_PKT4_S6_PT5_21rocsparse_index_base_b
; %bb.0:
	s_load_dwordx2 s[2:3], s[4:5], 0x68
	s_load_dwordx2 s[10:11], s[4:5], 0x30
	;; [unrolled: 1-line block ×3, first 2 shown]
	s_waitcnt lgkmcnt(0)
	s_bitcmp1_b32 s3, 0
	s_cselect_b64 s[12:13], -1, 0
	s_xor_b64 s[8:9], s[12:13], -1
	s_and_b64 vcc, exec, s[12:13]
	v_pk_mov_b32 v[4:5], s[10:11], s[10:11] op_sel:[0,1]
	s_cbranch_vccnz .LBB179_2
; %bb.1:
	v_pk_mov_b32 v[2:3], s[10:11], s[10:11] op_sel:[0,1]
	flat_load_dwordx2 v[4:5], v[2:3]
.LBB179_2:
	s_andn2_b64 vcc, exec, s[8:9]
	v_pk_mov_b32 v[2:3], s[0:1], s[0:1] op_sel:[0,1]
	s_cbranch_vccnz .LBB179_4
; %bb.3:
	v_pk_mov_b32 v[2:3], s[0:1], s[0:1] op_sel:[0,1]
	flat_load_dwordx2 v[2:3], v[2:3]
.LBB179_4:
	s_waitcnt vmcnt(0) lgkmcnt(0)
	v_cmp_neq_f64_e32 vcc, 0, v[4:5]
	v_cmp_neq_f64_e64 s[0:1], 1.0, v[2:3]
	s_or_b64 s[0:1], vcc, s[0:1]
	s_and_saveexec_b64 s[8:9], s[0:1]
	s_cbranch_execz .LBB179_14
; %bb.5:
	s_load_dwordx2 s[0:1], s[4:5], 0x10
	v_lshrrev_b32_e32 v1, 6, v0
	v_lshl_or_b32 v6, s6, 2, v1
	v_ashrrev_i32_e32 v7, 31, v6
	s_waitcnt lgkmcnt(0)
	v_cmp_gt_i64_e32 vcc, s[0:1], v[6:7]
	s_and_b64 exec, exec, vcc
	s_cbranch_execz .LBB179_14
; %bb.6:
	s_load_dword s0, s[4:5], 0x28
	s_load_dwordx4 s[8:11], s[4:5], 0x18
	s_mov_b32 s1, 0
	v_and_b32_e32 v16, 63, v0
	s_load_dwordx2 s[6:7], s[4:5], 0x60
	s_waitcnt lgkmcnt(0)
	s_lshl_b64 s[0:1], s[0:1], 2
	s_add_u32 s0, s10, s0
	s_addc_u32 s1, s11, s1
	s_load_dword s0, s[0:1], 0x0
	v_mov_b32_e32 v1, s9
	s_waitcnt lgkmcnt(0)
	v_add_u32_e32 v6, s0, v6
	v_ashrrev_i32_e32 v7, 31, v6
	v_lshlrev_b64 v[6:7], 2, v[6:7]
	v_add_co_u32_e32 v6, vcc, s8, v6
	v_addc_co_u32_e32 v7, vcc, v1, v7, vcc
	global_load_dword v6, v[6:7], off
	s_load_dwordx2 s[0:1], s[4:5], 0x38
	s_waitcnt lgkmcnt(0)
	v_mov_b32_e32 v1, s1
	s_waitcnt vmcnt(0)
	v_ashrrev_i32_e32 v7, 31, v6
	v_lshlrev_b64 v[6:7], 3, v[6:7]
	v_add_co_u32_e32 v8, vcc, s0, v6
	v_addc_co_u32_e32 v9, vcc, v1, v7, vcc
	global_load_dwordx4 v[8:11], v[8:9], off
	v_subrev_co_u32_e32 v12, vcc, s2, v16
	v_subb_co_u32_e64 v13, s[0:1], 0, 0, vcc
	s_waitcnt vmcnt(0)
	v_subrev_co_u32_e32 v0, vcc, s2, v10
	v_subbrev_co_u32_e32 v1, vcc, 0, v11, vcc
	v_add_co_u32_e32 v8, vcc, v8, v12
	v_addc_co_u32_e32 v9, vcc, v9, v13, vcc
	v_cmp_lt_i64_e32 vcc, v[8:9], v[0:1]
	v_pk_mov_b32 v[10:11], 0, 0
	s_and_saveexec_b64 s[8:9], vcc
	s_cbranch_execz .LBB179_10
; %bb.7:
	s_load_dwordx4 s[12:15], s[4:5], 0x40
	s_load_dwordx2 s[10:11], s[4:5], 0x50
	v_lshlrev_b64 v[10:11], 2, v[8:9]
	s_mov_b64 s[4:5], 0
	s_waitcnt lgkmcnt(0)
	v_mov_b32_e32 v13, s15
	v_add_co_u32_e32 v12, vcc, s14, v10
	v_addc_co_u32_e32 v13, vcc, v13, v11, vcc
	v_mov_b32_e32 v15, s13
	v_add_co_u32_e32 v14, vcc, s12, v10
	v_addc_co_u32_e32 v15, vcc, v15, v11, vcc
	v_pk_mov_b32 v[10:11], 0, 0
	v_mov_b32_e32 v17, s11
.LBB179_8:                              ; =>This Inner Loop Header: Depth=1
	global_load_dword v18, v[14:15], off
	global_load_dword v20, v[12:13], off
	s_waitcnt vmcnt(1)
	v_subrev_u32_e32 v18, s2, v18
	v_ashrrev_i32_e32 v19, 31, v18
	v_lshlrev_b64 v[18:19], 3, v[18:19]
	v_add_co_u32_e32 v18, vcc, s10, v18
	v_addc_co_u32_e32 v19, vcc, v17, v19, vcc
	global_load_dwordx2 v[18:19], v[18:19], off
	v_add_co_u32_e32 v8, vcc, 64, v8
	v_addc_co_u32_e32 v9, vcc, 0, v9, vcc
	v_add_co_u32_e32 v12, vcc, 0x100, v12
	v_addc_co_u32_e32 v13, vcc, 0, v13, vcc
	s_waitcnt vmcnt(1)
	v_cvt_f64_f32_e32 v[20:21], v20
	v_add_co_u32_e32 v14, vcc, 0x100, v14
	v_cmp_ge_i64_e64 s[0:1], v[8:9], v[0:1]
	v_mul_f64 v[20:21], v[4:5], v[20:21]
	v_addc_co_u32_e32 v15, vcc, 0, v15, vcc
	s_or_b64 s[4:5], s[0:1], s[4:5]
	s_waitcnt vmcnt(0)
	v_fmac_f64_e32 v[10:11], v[20:21], v[18:19]
	s_andn2_b64 exec, exec, s[4:5]
	s_cbranch_execnz .LBB179_8
; %bb.9:
	s_or_b64 exec, exec, s[4:5]
.LBB179_10:
	s_or_b64 exec, exec, s[8:9]
	v_mov_b32_dpp v0, v10 row_shr:1 row_mask:0xf bank_mask:0xf
	v_mov_b32_dpp v1, v11 row_shr:1 row_mask:0xf bank_mask:0xf
	v_add_f64 v[0:1], v[10:11], v[0:1]
	v_cmp_eq_u32_e32 vcc, 63, v16
	s_nop 0
	v_mov_b32_dpp v4, v0 row_shr:2 row_mask:0xf bank_mask:0xf
	v_mov_b32_dpp v5, v1 row_shr:2 row_mask:0xf bank_mask:0xf
	v_add_f64 v[0:1], v[0:1], v[4:5]
	s_nop 1
	v_mov_b32_dpp v4, v0 row_shr:4 row_mask:0xf bank_mask:0xe
	v_mov_b32_dpp v5, v1 row_shr:4 row_mask:0xf bank_mask:0xe
	v_add_f64 v[0:1], v[0:1], v[4:5]
	;; [unrolled: 4-line block ×3, first 2 shown]
	s_nop 1
	v_mov_b32_dpp v4, v0 row_bcast:15 row_mask:0xa bank_mask:0xf
	v_mov_b32_dpp v5, v1 row_bcast:15 row_mask:0xa bank_mask:0xf
	v_add_f64 v[0:1], v[0:1], v[4:5]
	s_nop 1
	v_mov_b32_dpp v4, v0 row_bcast:31 row_mask:0xc bank_mask:0xf
	v_mov_b32_dpp v5, v1 row_bcast:31 row_mask:0xc bank_mask:0xf
	s_and_b64 exec, exec, vcc
	s_cbranch_execz .LBB179_14
; %bb.11:
	v_add_f64 v[0:1], v[0:1], v[4:5]
	v_cmp_neq_f64_e32 vcc, 0, v[2:3]
	s_and_saveexec_b64 s[0:1], vcc
	s_cbranch_execz .LBB179_13
; %bb.12:
	v_mov_b32_e32 v5, s7
	v_add_co_u32_e32 v4, vcc, s6, v6
	v_addc_co_u32_e32 v5, vcc, v5, v7, vcc
	global_load_dwordx2 v[4:5], v[4:5], off
	s_waitcnt vmcnt(0)
	v_fmac_f64_e32 v[0:1], v[2:3], v[4:5]
.LBB179_13:
	s_or_b64 exec, exec, s[0:1]
	v_mov_b32_e32 v3, s7
	v_add_co_u32_e32 v2, vcc, s6, v6
	v_addc_co_u32_e32 v3, vcc, v3, v7, vcc
	global_store_dwordx2 v[2:3], v[0:1], off
.LBB179_14:
	s_endpgm
	.section	.rodata,"a",@progbits
	.p2align	6, 0x0
	.amdhsa_kernel _ZN9rocsparseL41csrmvn_lrb_medium_rows_warp_reduce_kernelILj256ELj64ElifdddEEvbT1_lPT2_S3_jNS_24const_host_device_scalarIT6_EEPKS1_PKS2_PKT3_PKT4_S6_PT5_21rocsparse_index_base_b
		.amdhsa_group_segment_fixed_size 0
		.amdhsa_private_segment_fixed_size 0
		.amdhsa_kernarg_size 112
		.amdhsa_user_sgpr_count 6
		.amdhsa_user_sgpr_private_segment_buffer 1
		.amdhsa_user_sgpr_dispatch_ptr 0
		.amdhsa_user_sgpr_queue_ptr 0
		.amdhsa_user_sgpr_kernarg_segment_ptr 1
		.amdhsa_user_sgpr_dispatch_id 0
		.amdhsa_user_sgpr_flat_scratch_init 0
		.amdhsa_user_sgpr_kernarg_preload_length 0
		.amdhsa_user_sgpr_kernarg_preload_offset 0
		.amdhsa_user_sgpr_private_segment_size 0
		.amdhsa_uses_dynamic_stack 0
		.amdhsa_system_sgpr_private_segment_wavefront_offset 0
		.amdhsa_system_sgpr_workgroup_id_x 1
		.amdhsa_system_sgpr_workgroup_id_y 0
		.amdhsa_system_sgpr_workgroup_id_z 0
		.amdhsa_system_sgpr_workgroup_info 0
		.amdhsa_system_vgpr_workitem_id 0
		.amdhsa_next_free_vgpr 22
		.amdhsa_next_free_sgpr 16
		.amdhsa_accum_offset 24
		.amdhsa_reserve_vcc 1
		.amdhsa_reserve_flat_scratch 0
		.amdhsa_float_round_mode_32 0
		.amdhsa_float_round_mode_16_64 0
		.amdhsa_float_denorm_mode_32 3
		.amdhsa_float_denorm_mode_16_64 3
		.amdhsa_dx10_clamp 1
		.amdhsa_ieee_mode 1
		.amdhsa_fp16_overflow 0
		.amdhsa_tg_split 0
		.amdhsa_exception_fp_ieee_invalid_op 0
		.amdhsa_exception_fp_denorm_src 0
		.amdhsa_exception_fp_ieee_div_zero 0
		.amdhsa_exception_fp_ieee_overflow 0
		.amdhsa_exception_fp_ieee_underflow 0
		.amdhsa_exception_fp_ieee_inexact 0
		.amdhsa_exception_int_div_zero 0
	.end_amdhsa_kernel
	.section	.text._ZN9rocsparseL41csrmvn_lrb_medium_rows_warp_reduce_kernelILj256ELj64ElifdddEEvbT1_lPT2_S3_jNS_24const_host_device_scalarIT6_EEPKS1_PKS2_PKT3_PKT4_S6_PT5_21rocsparse_index_base_b,"axG",@progbits,_ZN9rocsparseL41csrmvn_lrb_medium_rows_warp_reduce_kernelILj256ELj64ElifdddEEvbT1_lPT2_S3_jNS_24const_host_device_scalarIT6_EEPKS1_PKS2_PKT3_PKT4_S6_PT5_21rocsparse_index_base_b,comdat
.Lfunc_end179:
	.size	_ZN9rocsparseL41csrmvn_lrb_medium_rows_warp_reduce_kernelILj256ELj64ElifdddEEvbT1_lPT2_S3_jNS_24const_host_device_scalarIT6_EEPKS1_PKS2_PKT3_PKT4_S6_PT5_21rocsparse_index_base_b, .Lfunc_end179-_ZN9rocsparseL41csrmvn_lrb_medium_rows_warp_reduce_kernelILj256ELj64ElifdddEEvbT1_lPT2_S3_jNS_24const_host_device_scalarIT6_EEPKS1_PKS2_PKT3_PKT4_S6_PT5_21rocsparse_index_base_b
                                        ; -- End function
	.section	.AMDGPU.csdata,"",@progbits
; Kernel info:
; codeLenInByte = 816
; NumSgprs: 20
; NumVgprs: 22
; NumAgprs: 0
; TotalNumVgprs: 22
; ScratchSize: 0
; MemoryBound: 0
; FloatMode: 240
; IeeeMode: 1
; LDSByteSize: 0 bytes/workgroup (compile time only)
; SGPRBlocks: 2
; VGPRBlocks: 2
; NumSGPRsForWavesPerEU: 20
; NumVGPRsForWavesPerEU: 22
; AccumOffset: 24
; Occupancy: 8
; WaveLimiterHint : 1
; COMPUTE_PGM_RSRC2:SCRATCH_EN: 0
; COMPUTE_PGM_RSRC2:USER_SGPR: 6
; COMPUTE_PGM_RSRC2:TRAP_HANDLER: 0
; COMPUTE_PGM_RSRC2:TGID_X_EN: 1
; COMPUTE_PGM_RSRC2:TGID_Y_EN: 0
; COMPUTE_PGM_RSRC2:TGID_Z_EN: 0
; COMPUTE_PGM_RSRC2:TIDIG_COMP_CNT: 0
; COMPUTE_PGM_RSRC3_GFX90A:ACCUM_OFFSET: 5
; COMPUTE_PGM_RSRC3_GFX90A:TG_SPLIT: 0
	.section	.text._ZN9rocsparseL29csrmvn_lrb_medium_rows_kernelILj256ElifdddEEvbT0_PT1_S3_jNS_24const_host_device_scalarIT5_EEPKS1_PKS2_PKT2_PKT3_S6_PT4_21rocsparse_index_base_b,"axG",@progbits,_ZN9rocsparseL29csrmvn_lrb_medium_rows_kernelILj256ElifdddEEvbT0_PT1_S3_jNS_24const_host_device_scalarIT5_EEPKS1_PKS2_PKT2_PKT3_S6_PT4_21rocsparse_index_base_b,comdat
	.globl	_ZN9rocsparseL29csrmvn_lrb_medium_rows_kernelILj256ElifdddEEvbT0_PT1_S3_jNS_24const_host_device_scalarIT5_EEPKS1_PKS2_PKT2_PKT3_S6_PT4_21rocsparse_index_base_b ; -- Begin function _ZN9rocsparseL29csrmvn_lrb_medium_rows_kernelILj256ElifdddEEvbT0_PT1_S3_jNS_24const_host_device_scalarIT5_EEPKS1_PKS2_PKT2_PKT3_S6_PT4_21rocsparse_index_base_b
	.p2align	8
	.type	_ZN9rocsparseL29csrmvn_lrb_medium_rows_kernelILj256ElifdddEEvbT0_PT1_S3_jNS_24const_host_device_scalarIT5_EEPKS1_PKS2_PKT2_PKT3_S6_PT4_21rocsparse_index_base_b,@function
_ZN9rocsparseL29csrmvn_lrb_medium_rows_kernelILj256ElifdddEEvbT0_PT1_S3_jNS_24const_host_device_scalarIT5_EEPKS1_PKS2_PKT2_PKT3_S6_PT4_21rocsparse_index_base_b: ; @_ZN9rocsparseL29csrmvn_lrb_medium_rows_kernelILj256ElifdddEEvbT0_PT1_S3_jNS_24const_host_device_scalarIT5_EEPKS1_PKS2_PKT2_PKT3_S6_PT4_21rocsparse_index_base_b
; %bb.0:
	s_load_dwordx2 s[8:9], s[4:5], 0x60
	s_load_dwordx2 s[10:11], s[4:5], 0x28
	s_load_dwordx2 s[0:1], s[4:5], 0x50
	s_waitcnt lgkmcnt(0)
	s_bitcmp1_b32 s9, 0
	s_cselect_b64 s[12:13], -1, 0
	s_xor_b64 s[2:3], s[12:13], -1
	s_and_b64 vcc, exec, s[12:13]
	v_pk_mov_b32 v[4:5], s[10:11], s[10:11] op_sel:[0,1]
	s_cbranch_vccnz .LBB180_2
; %bb.1:
	v_pk_mov_b32 v[2:3], s[10:11], s[10:11] op_sel:[0,1]
	flat_load_dwordx2 v[4:5], v[2:3]
.LBB180_2:
	s_andn2_b64 vcc, exec, s[2:3]
	v_pk_mov_b32 v[2:3], s[0:1], s[0:1] op_sel:[0,1]
	s_cbranch_vccnz .LBB180_4
; %bb.3:
	v_pk_mov_b32 v[2:3], s[0:1], s[0:1] op_sel:[0,1]
	flat_load_dwordx2 v[2:3], v[2:3]
.LBB180_4:
	s_waitcnt vmcnt(0) lgkmcnt(0)
	v_cmp_neq_f64_e32 vcc, 0, v[4:5]
	v_cmp_neq_f64_e64 s[0:1], 1.0, v[2:3]
	s_or_b64 s[0:1], vcc, s[0:1]
	s_and_saveexec_b64 s[2:3], s[0:1]
	s_cbranch_execz .LBB180_29
; %bb.5:
	s_load_dword s10, s[4:5], 0x20
	s_load_dwordx4 s[0:3], s[4:5], 0x10
	s_mov_b32 s11, 0
	v_subrev_co_u32_e32 v1, vcc, s8, v0
	s_waitcnt lgkmcnt(0)
	s_lshl_b64 s[10:11], s[10:11], 2
	s_add_u32 s2, s2, s10
	s_addc_u32 s3, s3, s11
	s_load_dword s2, s[2:3], 0x0
	s_waitcnt lgkmcnt(0)
	s_add_i32 s2, s2, s6
	s_ashr_i32 s3, s2, 31
	s_lshl_b64 s[2:3], s[2:3], 2
	s_add_u32 s0, s0, s2
	s_addc_u32 s1, s1, s3
	s_load_dword s6, s[0:1], 0x0
	s_load_dwordx2 s[10:11], s[4:5], 0x30
	s_load_dwordx2 s[2:3], s[4:5], 0x58
	s_waitcnt lgkmcnt(0)
	s_ashr_i32 s7, s6, 31
	s_lshl_b64 s[6:7], s[6:7], 3
	s_add_u32 s0, s10, s6
	s_addc_u32 s1, s11, s7
	s_load_dwordx4 s[12:15], s[0:1], 0x0
	v_subb_co_u32_e64 v7, s[0:1], 0, 0, vcc
	s_waitcnt lgkmcnt(0)
	s_sub_u32 s10, s14, s8
	v_mov_b32_e32 v8, s13
	v_add_co_u32_e32 v6, vcc, s12, v1
	s_subb_u32 s11, s15, 0
	v_addc_co_u32_e32 v7, vcc, v8, v7, vcc
	v_cmp_gt_i64_e32 vcc, s[10:11], v[6:7]
	v_pk_mov_b32 v[8:9], 0, 0
	s_and_saveexec_b64 s[12:13], vcc
	s_cbranch_execz .LBB180_9
; %bb.6:
	s_load_dwordx4 s[16:19], s[4:5], 0x38
	s_load_dwordx2 s[14:15], s[4:5], 0x48
	v_lshlrev_b64 v[8:9], 2, v[6:7]
	s_mov_b64 s[4:5], 0
	s_movk_i32 s9, 0x100
	s_waitcnt lgkmcnt(0)
	v_mov_b32_e32 v1, s19
	v_add_co_u32_e32 v10, vcc, s18, v8
	v_addc_co_u32_e32 v11, vcc, v1, v9, vcc
	v_mov_b32_e32 v1, s17
	v_add_co_u32_e32 v12, vcc, s16, v8
	v_addc_co_u32_e32 v13, vcc, v1, v9, vcc
	v_pk_mov_b32 v[8:9], 0, 0
	v_mov_b32_e32 v1, s15
.LBB180_7:                              ; =>This Inner Loop Header: Depth=1
	global_load_dword v14, v[12:13], off
	global_load_dword v16, v[10:11], off
	s_waitcnt vmcnt(1)
	v_subrev_u32_e32 v14, s8, v14
	v_ashrrev_i32_e32 v15, 31, v14
	v_lshlrev_b64 v[14:15], 3, v[14:15]
	v_add_co_u32_e32 v14, vcc, s14, v14
	v_addc_co_u32_e32 v15, vcc, v1, v15, vcc
	global_load_dwordx2 v[14:15], v[14:15], off
	v_add_co_u32_e32 v6, vcc, s9, v6
	v_addc_co_u32_e32 v7, vcc, 0, v7, vcc
	v_add_co_u32_e32 v10, vcc, 0x400, v10
	v_addc_co_u32_e32 v11, vcc, 0, v11, vcc
	s_waitcnt vmcnt(1)
	v_cvt_f64_f32_e32 v[16:17], v16
	v_add_co_u32_e32 v12, vcc, 0x400, v12
	v_cmp_le_i64_e64 s[0:1], s[10:11], v[6:7]
	v_mul_f64 v[16:17], v[4:5], v[16:17]
	v_addc_co_u32_e32 v13, vcc, 0, v13, vcc
	s_or_b64 s[4:5], s[0:1], s[4:5]
	s_waitcnt vmcnt(0)
	v_fmac_f64_e32 v[8:9], v[16:17], v[14:15]
	s_andn2_b64 exec, exec, s[4:5]
	s_cbranch_execnz .LBB180_7
; %bb.8:
	s_or_b64 exec, exec, s[4:5]
.LBB180_9:
	s_or_b64 exec, exec, s[12:13]
	s_movk_i32 s0, 0x80
	v_lshlrev_b32_e32 v1, 3, v0
	v_cmp_gt_u32_e32 vcc, s0, v0
	ds_write_b64 v1, v[8:9]
	s_waitcnt lgkmcnt(0)
	s_barrier
	s_and_saveexec_b64 s[0:1], vcc
	s_cbranch_execz .LBB180_11
; %bb.10:
	ds_read2st64_b64 v[4:7], v1 offset1:2
	s_waitcnt lgkmcnt(0)
	v_add_f64 v[4:5], v[4:5], v[6:7]
	ds_write_b64 v1, v[4:5]
.LBB180_11:
	s_or_b64 exec, exec, s[0:1]
	v_cmp_gt_u32_e32 vcc, 64, v0
	s_waitcnt lgkmcnt(0)
	s_barrier
	s_and_saveexec_b64 s[0:1], vcc
	s_cbranch_execz .LBB180_13
; %bb.12:
	ds_read2st64_b64 v[4:7], v1 offset1:1
	s_waitcnt lgkmcnt(0)
	v_add_f64 v[4:5], v[4:5], v[6:7]
	ds_write_b64 v1, v[4:5]
.LBB180_13:
	s_or_b64 exec, exec, s[0:1]
	v_cmp_gt_u32_e32 vcc, 32, v0
	s_waitcnt lgkmcnt(0)
	s_barrier
	s_and_saveexec_b64 s[0:1], vcc
	s_cbranch_execz .LBB180_15
; %bb.14:
	ds_read2_b64 v[4:7], v1 offset1:32
	s_waitcnt lgkmcnt(0)
	v_add_f64 v[4:5], v[4:5], v[6:7]
	ds_write_b64 v1, v[4:5]
.LBB180_15:
	s_or_b64 exec, exec, s[0:1]
	v_cmp_gt_u32_e32 vcc, 16, v0
	s_waitcnt lgkmcnt(0)
	s_barrier
	s_and_saveexec_b64 s[0:1], vcc
	s_cbranch_execz .LBB180_17
; %bb.16:
	ds_read2_b64 v[4:7], v1 offset1:16
	s_waitcnt lgkmcnt(0)
	v_add_f64 v[4:5], v[4:5], v[6:7]
	ds_write_b64 v1, v[4:5]
.LBB180_17:
	;; [unrolled: 12-line block ×5, first 2 shown]
	s_or_b64 exec, exec, s[0:1]
	v_cmp_eq_u32_e32 vcc, 0, v0
	s_waitcnt lgkmcnt(0)
	s_barrier
	s_and_saveexec_b64 s[0:1], vcc
	s_cbranch_execz .LBB180_25
; %bb.24:
	v_mov_b32_e32 v8, 0
	ds_read_b128 v[4:7], v8
	s_waitcnt lgkmcnt(0)
	v_add_f64 v[0:1], v[4:5], v[6:7]
	ds_write_b64 v8, v[0:1]
.LBB180_25:
	s_or_b64 exec, exec, s[0:1]
	s_waitcnt lgkmcnt(0)
	s_barrier
	s_and_b64 exec, exec, vcc
	s_cbranch_execz .LBB180_29
; %bb.26:
	v_mov_b32_e32 v4, 0
	ds_read_b64 v[0:1], v4
	v_cmp_neq_f64_e32 vcc, 0, v[2:3]
	s_and_saveexec_b64 s[0:1], vcc
	s_cbranch_execz .LBB180_28
; %bb.27:
	s_add_u32 s4, s2, s6
	s_addc_u32 s5, s3, s7
	s_load_dwordx2 s[4:5], s[4:5], 0x0
	s_waitcnt lgkmcnt(0)
	v_fmac_f64_e32 v[0:1], s[4:5], v[2:3]
.LBB180_28:
	s_or_b64 exec, exec, s[0:1]
	s_add_u32 s0, s2, s6
	s_addc_u32 s1, s3, s7
	s_waitcnt lgkmcnt(0)
	global_store_dwordx2 v4, v[0:1], s[0:1]
.LBB180_29:
	s_endpgm
	.section	.rodata,"a",@progbits
	.p2align	6, 0x0
	.amdhsa_kernel _ZN9rocsparseL29csrmvn_lrb_medium_rows_kernelILj256ElifdddEEvbT0_PT1_S3_jNS_24const_host_device_scalarIT5_EEPKS1_PKS2_PKT2_PKT3_S6_PT4_21rocsparse_index_base_b
		.amdhsa_group_segment_fixed_size 2048
		.amdhsa_private_segment_fixed_size 0
		.amdhsa_kernarg_size 104
		.amdhsa_user_sgpr_count 6
		.amdhsa_user_sgpr_private_segment_buffer 1
		.amdhsa_user_sgpr_dispatch_ptr 0
		.amdhsa_user_sgpr_queue_ptr 0
		.amdhsa_user_sgpr_kernarg_segment_ptr 1
		.amdhsa_user_sgpr_dispatch_id 0
		.amdhsa_user_sgpr_flat_scratch_init 0
		.amdhsa_user_sgpr_kernarg_preload_length 0
		.amdhsa_user_sgpr_kernarg_preload_offset 0
		.amdhsa_user_sgpr_private_segment_size 0
		.amdhsa_uses_dynamic_stack 0
		.amdhsa_system_sgpr_private_segment_wavefront_offset 0
		.amdhsa_system_sgpr_workgroup_id_x 1
		.amdhsa_system_sgpr_workgroup_id_y 0
		.amdhsa_system_sgpr_workgroup_id_z 0
		.amdhsa_system_sgpr_workgroup_info 0
		.amdhsa_system_vgpr_workitem_id 0
		.amdhsa_next_free_vgpr 18
		.amdhsa_next_free_sgpr 20
		.amdhsa_accum_offset 20
		.amdhsa_reserve_vcc 1
		.amdhsa_reserve_flat_scratch 0
		.amdhsa_float_round_mode_32 0
		.amdhsa_float_round_mode_16_64 0
		.amdhsa_float_denorm_mode_32 3
		.amdhsa_float_denorm_mode_16_64 3
		.amdhsa_dx10_clamp 1
		.amdhsa_ieee_mode 1
		.amdhsa_fp16_overflow 0
		.amdhsa_tg_split 0
		.amdhsa_exception_fp_ieee_invalid_op 0
		.amdhsa_exception_fp_denorm_src 0
		.amdhsa_exception_fp_ieee_div_zero 0
		.amdhsa_exception_fp_ieee_overflow 0
		.amdhsa_exception_fp_ieee_underflow 0
		.amdhsa_exception_fp_ieee_inexact 0
		.amdhsa_exception_int_div_zero 0
	.end_amdhsa_kernel
	.section	.text._ZN9rocsparseL29csrmvn_lrb_medium_rows_kernelILj256ElifdddEEvbT0_PT1_S3_jNS_24const_host_device_scalarIT5_EEPKS1_PKS2_PKT2_PKT3_S6_PT4_21rocsparse_index_base_b,"axG",@progbits,_ZN9rocsparseL29csrmvn_lrb_medium_rows_kernelILj256ElifdddEEvbT0_PT1_S3_jNS_24const_host_device_scalarIT5_EEPKS1_PKS2_PKT2_PKT3_S6_PT4_21rocsparse_index_base_b,comdat
.Lfunc_end180:
	.size	_ZN9rocsparseL29csrmvn_lrb_medium_rows_kernelILj256ElifdddEEvbT0_PT1_S3_jNS_24const_host_device_scalarIT5_EEPKS1_PKS2_PKT2_PKT3_S6_PT4_21rocsparse_index_base_b, .Lfunc_end180-_ZN9rocsparseL29csrmvn_lrb_medium_rows_kernelILj256ElifdddEEvbT0_PT1_S3_jNS_24const_host_device_scalarIT5_EEPKS1_PKS2_PKT2_PKT3_S6_PT4_21rocsparse_index_base_b
                                        ; -- End function
	.section	.AMDGPU.csdata,"",@progbits
; Kernel info:
; codeLenInByte = 1044
; NumSgprs: 24
; NumVgprs: 18
; NumAgprs: 0
; TotalNumVgprs: 18
; ScratchSize: 0
; MemoryBound: 0
; FloatMode: 240
; IeeeMode: 1
; LDSByteSize: 2048 bytes/workgroup (compile time only)
; SGPRBlocks: 2
; VGPRBlocks: 2
; NumSGPRsForWavesPerEU: 24
; NumVGPRsForWavesPerEU: 18
; AccumOffset: 20
; Occupancy: 8
; WaveLimiterHint : 1
; COMPUTE_PGM_RSRC2:SCRATCH_EN: 0
; COMPUTE_PGM_RSRC2:USER_SGPR: 6
; COMPUTE_PGM_RSRC2:TRAP_HANDLER: 0
; COMPUTE_PGM_RSRC2:TGID_X_EN: 1
; COMPUTE_PGM_RSRC2:TGID_Y_EN: 0
; COMPUTE_PGM_RSRC2:TGID_Z_EN: 0
; COMPUTE_PGM_RSRC2:TIDIG_COMP_CNT: 0
; COMPUTE_PGM_RSRC3_GFX90A:ACCUM_OFFSET: 4
; COMPUTE_PGM_RSRC3_GFX90A:TG_SPLIT: 0
	.section	.text._ZN9rocsparseL27csrmvn_lrb_long_rows_kernelIlifdddEEvbT_PjPT0_S4_jNS_24const_host_device_scalarIT4_EEPKS1_PKS3_PKT1_PKT2_S7_PT3_21rocsparse_index_base_b,"axG",@progbits,_ZN9rocsparseL27csrmvn_lrb_long_rows_kernelIlifdddEEvbT_PjPT0_S4_jNS_24const_host_device_scalarIT4_EEPKS1_PKS3_PKT1_PKT2_S7_PT3_21rocsparse_index_base_b,comdat
	.globl	_ZN9rocsparseL27csrmvn_lrb_long_rows_kernelIlifdddEEvbT_PjPT0_S4_jNS_24const_host_device_scalarIT4_EEPKS1_PKS3_PKT1_PKT2_S7_PT3_21rocsparse_index_base_b ; -- Begin function _ZN9rocsparseL27csrmvn_lrb_long_rows_kernelIlifdddEEvbT_PjPT0_S4_jNS_24const_host_device_scalarIT4_EEPKS1_PKS3_PKT1_PKT2_S7_PT3_21rocsparse_index_base_b
	.p2align	8
	.type	_ZN9rocsparseL27csrmvn_lrb_long_rows_kernelIlifdddEEvbT_PjPT0_S4_jNS_24const_host_device_scalarIT4_EEPKS1_PKS3_PKT1_PKT2_S7_PT3_21rocsparse_index_base_b,@function
_ZN9rocsparseL27csrmvn_lrb_long_rows_kernelIlifdddEEvbT_PjPT0_S4_jNS_24const_host_device_scalarIT4_EEPKS1_PKS3_PKT1_PKT2_S7_PT3_21rocsparse_index_base_b: ; @_ZN9rocsparseL27csrmvn_lrb_long_rows_kernelIlifdddEEvbT_PjPT0_S4_jNS_24const_host_device_scalarIT4_EEPKS1_PKS3_PKT1_PKT2_S7_PT3_21rocsparse_index_base_b
; %bb.0:
	s_load_dwordx2 s[16:17], s[4:5], 0x68
	s_load_dwordx2 s[8:9], s[4:5], 0x30
	;; [unrolled: 1-line block ×3, first 2 shown]
	s_waitcnt lgkmcnt(0)
	s_bitcmp1_b32 s17, 0
	s_cselect_b64 s[10:11], -1, 0
	s_xor_b64 s[2:3], s[10:11], -1
	s_and_b64 vcc, exec, s[10:11]
	v_pk_mov_b32 v[2:3], s[8:9], s[8:9] op_sel:[0,1]
	s_cbranch_vccnz .LBB181_2
; %bb.1:
	v_pk_mov_b32 v[2:3], s[8:9], s[8:9] op_sel:[0,1]
	flat_load_dwordx2 v[2:3], v[2:3]
.LBB181_2:
	s_andn2_b64 vcc, exec, s[2:3]
	v_pk_mov_b32 v[6:7], s[0:1], s[0:1] op_sel:[0,1]
	s_cbranch_vccnz .LBB181_4
; %bb.3:
	v_pk_mov_b32 v[4:5], s[0:1], s[0:1] op_sel:[0,1]
	flat_load_dwordx2 v[6:7], v[4:5]
.LBB181_4:
	s_waitcnt vmcnt(0) lgkmcnt(0)
	v_cmp_neq_f64_e32 vcc, 0, v[2:3]
	v_cmp_neq_f64_e64 s[0:1], 1.0, v[6:7]
	s_or_b64 s[0:1], vcc, s[0:1]
	s_and_saveexec_b64 s[2:3], s[0:1]
	s_cbranch_execz .LBB181_39
; %bb.5:
	s_load_dword s18, s[4:5], 0x28
	s_load_dwordx2 s[0:1], s[4:5], 0x20
	s_mov_b32 s19, 0
	v_pk_mov_b32 v[4:5], 0, 0
	s_waitcnt lgkmcnt(0)
	s_lshl_b64 s[2:3], s[18:19], 2
	s_add_u32 s0, s0, s2
	s_addc_u32 s1, s1, s3
	s_lshl_b32 s2, -1, s18
	s_not_b32 s2, s2
	s_mul_hi_u32 s2, s2, 0x2aaaaaab
	s_lshr_b32 s2, s2, 7
	s_add_i32 s3, s2, 1
	v_cvt_f32_u32_e32 v1, s3
	s_load_dwordx4 s[8:11], s[4:5], 0x10
	s_load_dword s7, s[0:1], 0x0
	s_not_b32 s0, s2
	v_rcp_iflag_f32_e32 v1, v1
	v_mul_f32_e32 v1, 0x4f7ffffe, v1
	v_cvt_u32_f32_e32 v1, v1
	v_readfirstlane_b32 s1, v1
	s_mul_i32 s0, s0, s1
	s_mul_hi_u32 s0, s1, s0
	s_add_i32 s1, s1, s0
	s_mul_hi_u32 s0, s6, s1
	s_mul_i32 s1, s0, s3
	s_sub_i32 s1, s6, s1
	s_add_i32 s2, s0, 1
	s_sub_i32 s12, s1, s3
	s_cmp_ge_u32 s1, s3
	s_cselect_b32 s0, s2, s0
	s_cselect_b32 s1, s12, s1
	s_add_i32 s2, s0, 1
	s_cmp_ge_u32 s1, s3
	s_cselect_b32 s0, s2, s0
	s_mul_i32 s14, s0, s3
	s_waitcnt lgkmcnt(0)
	s_add_i32 s0, s0, s7
	s_ashr_i32 s1, s0, 31
	s_sub_i32 s28, s6, s14
	s_lshl_b64 s[0:1], s[0:1], 2
	s_add_u32 s0, s10, s0
	s_addc_u32 s1, s11, s1
	s_load_dword s2, s[0:1], 0x0
	s_load_dwordx2 s[20:21], s[4:5], 0x38
	s_load_dwordx2 s[10:11], s[4:5], 0x60
	v_or_b32_e32 v1, s28, v0
	v_cmp_eq_u32_e32 vcc, 0, v1
	s_waitcnt lgkmcnt(0)
	s_ashr_i32 s3, s2, 31
	s_lshl_b64 s[12:13], s[2:3], 3
	s_add_u32 s0, s20, s12
	s_addc_u32 s1, s21, s13
	s_ashr_i32 s7, s6, 31
	s_lshl_b64 s[6:7], s[6:7], 2
	s_add_u32 s6, s8, s6
	s_addc_u32 s7, s9, s7
	s_load_dwordx4 s[0:3], s[0:1], 0x0
	s_nop 0
	s_load_dword s17, s[6:7], 0x0
	s_and_saveexec_b64 s[20:21], vcc
	s_cbranch_execz .LBB181_9
; %bb.6:
	s_add_u32 s22, s10, s12
	s_addc_u32 s23, s11, s13
	s_load_dwordx2 s[22:23], s[22:23], 0x0
	s_mov_b64 s[24:25], exec
	v_mbcnt_lo_u32_b32 v1, s24, 0
	v_mbcnt_hi_u32_b32 v1, s25, v1
	v_add_f64 v[4:5], v[6:7], -1.0
	v_cmp_eq_u32_e32 vcc, 0, v1
	s_waitcnt vmcnt(0) expcnt(0) lgkmcnt(0)
	s_and_saveexec_b64 s[26:27], vcc
	s_cbranch_execz .LBB181_8
; %bb.7:
	s_ashr_i32 s15, s14, 31
	s_lshl_b64 s[30:31], s[14:15], 2
	s_add_u32 s30, s8, s30
	s_addc_u32 s31, s9, s31
	s_bcnt1_i32_b64 s15, s[24:25]
	s_and_b32 s15, s15, 1
	v_mov_b32_e32 v1, 0
	v_mov_b32_e32 v6, s15
	global_atomic_xor v1, v6, s[30:31]
.LBB181_8:
	s_or_b64 exec, exec, s[26:27]
	v_mul_f64 v[4:5], v[4:5], s[22:23]
.LBB181_9:
	s_or_b64 exec, exec, s[20:21]
	s_mul_i32 s18, s28, 3
	s_lshl_b64 s[18:19], s[18:19], 8
	s_waitcnt lgkmcnt(0)
	s_sub_u32 s0, s0, s16
	s_subb_u32 s1, s1, 0
	s_add_u32 s15, s0, s18
	s_addc_u32 s20, s1, s19
	s_sub_u32 s0, s2, s16
	s_subb_u32 s1, s3, 0
	s_add_u32 s2, s15, 0x300
	s_addc_u32 s3, s20, 0
	v_pk_mov_b32 v[6:7], s[0:1], s[0:1] op_sel:[0,1]
	v_cmp_lt_i64_e32 vcc, s[2:3], v[6:7]
	s_and_b64 s[18:19], vcc, exec
	v_mov_b32_e32 v1, s20
	v_add_co_u32_e32 v6, vcc, s15, v0
	s_cselect_b32 s3, s3, s1
	s_cselect_b32 s2, s2, s0
	v_addc_co_u32_e32 v7, vcc, 0, v1, vcc
	v_cmp_gt_i64_e32 vcc, s[2:3], v[6:7]
	s_and_saveexec_b64 s[18:19], vcc
	s_cbranch_execz .LBB181_13
; %bb.10:
	s_load_dwordx4 s[24:27], s[4:5], 0x40
	s_load_dwordx2 s[20:21], s[4:5], 0x50
	v_lshlrev_b64 v[10:11], 2, v[6:7]
	s_mov_b64 s[4:5], 0
	s_movk_i32 s15, 0x100
	s_waitcnt lgkmcnt(0)
	v_mov_b32_e32 v1, s27
	v_add_co_u32_e32 v8, vcc, s26, v10
	v_addc_co_u32_e32 v9, vcc, v1, v11, vcc
	v_mov_b32_e32 v1, s25
	v_add_co_u32_e32 v10, vcc, s24, v10
	v_addc_co_u32_e32 v11, vcc, v1, v11, vcc
	v_mov_b32_e32 v1, s21
.LBB181_11:                             ; =>This Inner Loop Header: Depth=1
	global_load_dword v12, v[10:11], off
	global_load_dword v14, v[8:9], off
	s_waitcnt vmcnt(1)
	v_subrev_u32_e32 v12, s16, v12
	v_ashrrev_i32_e32 v13, 31, v12
	v_lshlrev_b64 v[12:13], 3, v[12:13]
	v_add_co_u32_e32 v12, vcc, s20, v12
	v_addc_co_u32_e32 v13, vcc, v1, v13, vcc
	global_load_dwordx2 v[12:13], v[12:13], off
	v_add_co_u32_e32 v6, vcc, s15, v6
	v_addc_co_u32_e32 v7, vcc, 0, v7, vcc
	v_add_co_u32_e32 v8, vcc, 0x400, v8
	v_addc_co_u32_e32 v9, vcc, 0, v9, vcc
	s_waitcnt vmcnt(1)
	v_cvt_f64_f32_e32 v[14:15], v14
	v_add_co_u32_e32 v10, vcc, 0x400, v10
	v_cmp_le_i64_e64 s[0:1], s[2:3], v[6:7]
	v_mul_f64 v[14:15], v[2:3], v[14:15]
	v_addc_co_u32_e32 v11, vcc, 0, v11, vcc
	s_or_b64 s[4:5], s[0:1], s[4:5]
	s_waitcnt vmcnt(0)
	v_fmac_f64_e32 v[4:5], v[14:15], v[12:13]
	s_andn2_b64 exec, exec, s[4:5]
	s_cbranch_execnz .LBB181_11
; %bb.12:
	s_or_b64 exec, exec, s[4:5]
.LBB181_13:
	s_or_b64 exec, exec, s[18:19]
	s_movk_i32 s0, 0x80
	v_lshlrev_b32_e32 v1, 3, v0
	v_cmp_gt_u32_e32 vcc, s0, v0
	ds_write_b64 v1, v[4:5]
	s_waitcnt lgkmcnt(0)
	s_barrier
	s_and_saveexec_b64 s[0:1], vcc
	s_cbranch_execz .LBB181_15
; %bb.14:
	ds_read2st64_b64 v[2:5], v1 offset1:2
	s_waitcnt lgkmcnt(0)
	v_add_f64 v[2:3], v[2:3], v[4:5]
	ds_write_b64 v1, v[2:3]
.LBB181_15:
	s_or_b64 exec, exec, s[0:1]
	v_cmp_gt_u32_e32 vcc, 64, v0
	s_waitcnt lgkmcnt(0)
	s_barrier
	s_and_saveexec_b64 s[0:1], vcc
	s_cbranch_execz .LBB181_17
; %bb.16:
	ds_read2st64_b64 v[2:5], v1 offset1:1
	s_waitcnt lgkmcnt(0)
	v_add_f64 v[2:3], v[2:3], v[4:5]
	ds_write_b64 v1, v[2:3]
.LBB181_17:
	s_or_b64 exec, exec, s[0:1]
	v_cmp_gt_u32_e32 vcc, 32, v0
	s_waitcnt lgkmcnt(0)
	s_barrier
	s_and_saveexec_b64 s[0:1], vcc
	s_cbranch_execz .LBB181_19
; %bb.18:
	ds_read2_b64 v[2:5], v1 offset1:32
	s_waitcnt lgkmcnt(0)
	v_add_f64 v[2:3], v[2:3], v[4:5]
	ds_write_b64 v1, v[2:3]
.LBB181_19:
	s_or_b64 exec, exec, s[0:1]
	v_cmp_gt_u32_e32 vcc, 16, v0
	s_waitcnt lgkmcnt(0)
	s_barrier
	s_and_saveexec_b64 s[0:1], vcc
	s_cbranch_execz .LBB181_21
; %bb.20:
	ds_read2_b64 v[2:5], v1 offset1:16
	s_waitcnt lgkmcnt(0)
	v_add_f64 v[2:3], v[2:3], v[4:5]
	ds_write_b64 v1, v[2:3]
.LBB181_21:
	;; [unrolled: 12-line block ×5, first 2 shown]
	s_or_b64 exec, exec, s[0:1]
	v_cmp_eq_u32_e32 vcc, 0, v0
	s_waitcnt lgkmcnt(0)
	s_barrier
	s_and_saveexec_b64 s[0:1], vcc
	s_cbranch_execz .LBB181_29
; %bb.28:
	v_mov_b32_e32 v4, 0
	ds_read_b128 v[0:3], v4
	s_waitcnt lgkmcnt(0)
	v_add_f64 v[0:1], v[0:1], v[2:3]
	ds_write_b64 v4, v[0:1]
.LBB181_29:
	s_or_b64 exec, exec, s[0:1]
	s_waitcnt lgkmcnt(0)
	s_barrier
	s_and_b64 exec, exec, vcc
	s_cbranch_execz .LBB181_39
; %bb.30:
	s_cmp_eq_u32 s28, 0
	s_cbranch_scc1 .LBB181_36
; %bb.31:
	s_ashr_i32 s15, s14, 31
	s_lshl_b64 s[0:1], s[14:15], 2
	s_add_u32 s0, s8, s0
	s_addc_u32 s1, s9, s1
	v_mov_b32_e32 v0, 0
	s_branch .LBB181_33
.LBB181_32:                             ;   in Loop: Header=BB181_33 Depth=1
	s_or_b64 exec, exec, s[2:3]
	s_waitcnt vmcnt(0)
	v_readfirstlane_b32 s2, v1
	s_cmp_eq_u32 s2, s17
	s_cbranch_scc0 .LBB181_35
.LBB181_33:                             ; =>This Inner Loop Header: Depth=1
	v_mbcnt_lo_u32_b32 v1, exec_lo, 0
	v_mbcnt_hi_u32_b32 v1, exec_hi, v1
	v_cmp_eq_u32_e32 vcc, 0, v1
                                        ; implicit-def: $vgpr1
	s_and_saveexec_b64 s[2:3], vcc
	s_cbranch_execz .LBB181_32
; %bb.34:                               ;   in Loop: Header=BB181_33 Depth=1
	global_load_dword v1, v0, s[0:1] glc
	s_branch .LBB181_32
.LBB181_35:
	v_mov_b32_e32 v0, 0
	global_load_dword v1, v0, s[6:7]
	s_waitcnt vmcnt(0)
	v_xor_b32_e32 v1, 1, v1
	global_store_dword v0, v1, s[6:7]
.LBB181_36:
	s_mov_b64 s[2:3], exec
	v_mbcnt_lo_u32_b32 v0, s2, 0
	v_mbcnt_hi_u32_b32 v0, s3, v0
	v_cmp_eq_u32_e32 vcc, 0, v0
	s_and_b64 s[0:1], exec, vcc
	s_mov_b64 exec, s[0:1]
	s_cbranch_execz .LBB181_39
; %bb.37:
	s_add_u32 s0, s10, s12
	s_addc_u32 s1, s11, s13
	v_mov_b32_e32 v6, 0
	global_load_dwordx2 v[2:3], v6, s[0:1]
	ds_read_b64 v[0:1], v6
	s_bcnt1_i32_b64 s2, s[2:3]
	v_cvt_f64_u32_e32 v[4:5], s2
	s_mov_b64 s[2:3], 0
	s_waitcnt lgkmcnt(0)
	v_mul_f64 v[4:5], v[0:1], v[4:5]
.LBB181_38:                             ; =>This Inner Loop Header: Depth=1
	s_waitcnt vmcnt(0)
	v_add_f64 v[0:1], v[2:3], v[4:5]
	global_atomic_cmpswap_x2 v[0:1], v6, v[0:3], s[0:1] glc
	s_waitcnt vmcnt(0)
	v_cmp_eq_u64_e32 vcc, v[0:1], v[2:3]
	s_or_b64 s[2:3], vcc, s[2:3]
	v_pk_mov_b32 v[2:3], v[0:1], v[0:1] op_sel:[0,1]
	s_andn2_b64 exec, exec, s[2:3]
	s_cbranch_execnz .LBB181_38
.LBB181_39:
	s_endpgm
	.section	.rodata,"a",@progbits
	.p2align	6, 0x0
	.amdhsa_kernel _ZN9rocsparseL27csrmvn_lrb_long_rows_kernelIlifdddEEvbT_PjPT0_S4_jNS_24const_host_device_scalarIT4_EEPKS1_PKS3_PKT1_PKT2_S7_PT3_21rocsparse_index_base_b
		.amdhsa_group_segment_fixed_size 2048
		.amdhsa_private_segment_fixed_size 0
		.amdhsa_kernarg_size 112
		.amdhsa_user_sgpr_count 6
		.amdhsa_user_sgpr_private_segment_buffer 1
		.amdhsa_user_sgpr_dispatch_ptr 0
		.amdhsa_user_sgpr_queue_ptr 0
		.amdhsa_user_sgpr_kernarg_segment_ptr 1
		.amdhsa_user_sgpr_dispatch_id 0
		.amdhsa_user_sgpr_flat_scratch_init 0
		.amdhsa_user_sgpr_kernarg_preload_length 0
		.amdhsa_user_sgpr_kernarg_preload_offset 0
		.amdhsa_user_sgpr_private_segment_size 0
		.amdhsa_uses_dynamic_stack 0
		.amdhsa_system_sgpr_private_segment_wavefront_offset 0
		.amdhsa_system_sgpr_workgroup_id_x 1
		.amdhsa_system_sgpr_workgroup_id_y 0
		.amdhsa_system_sgpr_workgroup_id_z 0
		.amdhsa_system_sgpr_workgroup_info 0
		.amdhsa_system_vgpr_workitem_id 0
		.amdhsa_next_free_vgpr 16
		.amdhsa_next_free_sgpr 32
		.amdhsa_accum_offset 16
		.amdhsa_reserve_vcc 1
		.amdhsa_reserve_flat_scratch 0
		.amdhsa_float_round_mode_32 0
		.amdhsa_float_round_mode_16_64 0
		.amdhsa_float_denorm_mode_32 3
		.amdhsa_float_denorm_mode_16_64 3
		.amdhsa_dx10_clamp 1
		.amdhsa_ieee_mode 1
		.amdhsa_fp16_overflow 0
		.amdhsa_tg_split 0
		.amdhsa_exception_fp_ieee_invalid_op 0
		.amdhsa_exception_fp_denorm_src 0
		.amdhsa_exception_fp_ieee_div_zero 0
		.amdhsa_exception_fp_ieee_overflow 0
		.amdhsa_exception_fp_ieee_underflow 0
		.amdhsa_exception_fp_ieee_inexact 0
		.amdhsa_exception_int_div_zero 0
	.end_amdhsa_kernel
	.section	.text._ZN9rocsparseL27csrmvn_lrb_long_rows_kernelIlifdddEEvbT_PjPT0_S4_jNS_24const_host_device_scalarIT4_EEPKS1_PKS3_PKT1_PKT2_S7_PT3_21rocsparse_index_base_b,"axG",@progbits,_ZN9rocsparseL27csrmvn_lrb_long_rows_kernelIlifdddEEvbT_PjPT0_S4_jNS_24const_host_device_scalarIT4_EEPKS1_PKS3_PKT1_PKT2_S7_PT3_21rocsparse_index_base_b,comdat
.Lfunc_end181:
	.size	_ZN9rocsparseL27csrmvn_lrb_long_rows_kernelIlifdddEEvbT_PjPT0_S4_jNS_24const_host_device_scalarIT4_EEPKS1_PKS3_PKT1_PKT2_S7_PT3_21rocsparse_index_base_b, .Lfunc_end181-_ZN9rocsparseL27csrmvn_lrb_long_rows_kernelIlifdddEEvbT_PjPT0_S4_jNS_24const_host_device_scalarIT4_EEPKS1_PKS3_PKT1_PKT2_S7_PT3_21rocsparse_index_base_b
                                        ; -- End function
	.section	.AMDGPU.csdata,"",@progbits
; Kernel info:
; codeLenInByte = 1552
; NumSgprs: 36
; NumVgprs: 16
; NumAgprs: 0
; TotalNumVgprs: 16
; ScratchSize: 0
; MemoryBound: 0
; FloatMode: 240
; IeeeMode: 1
; LDSByteSize: 2048 bytes/workgroup (compile time only)
; SGPRBlocks: 4
; VGPRBlocks: 1
; NumSGPRsForWavesPerEU: 36
; NumVGPRsForWavesPerEU: 16
; AccumOffset: 16
; Occupancy: 8
; WaveLimiterHint : 1
; COMPUTE_PGM_RSRC2:SCRATCH_EN: 0
; COMPUTE_PGM_RSRC2:USER_SGPR: 6
; COMPUTE_PGM_RSRC2:TRAP_HANDLER: 0
; COMPUTE_PGM_RSRC2:TGID_X_EN: 1
; COMPUTE_PGM_RSRC2:TGID_Y_EN: 0
; COMPUTE_PGM_RSRC2:TGID_Z_EN: 0
; COMPUTE_PGM_RSRC2:TIDIG_COMP_CNT: 0
; COMPUTE_PGM_RSRC3_GFX90A:ACCUM_OFFSET: 3
; COMPUTE_PGM_RSRC3_GFX90A:TG_SPLIT: 0
	.section	.text._ZN9rocsparseL28csrmvn_lrb_short_rows_kernelIllfdddEEvbT_PT0_S3_jNS_24const_host_device_scalarIT4_EEPKS1_PKS2_PKT1_PKT2_S6_PT3_21rocsparse_index_base_b,"axG",@progbits,_ZN9rocsparseL28csrmvn_lrb_short_rows_kernelIllfdddEEvbT_PT0_S3_jNS_24const_host_device_scalarIT4_EEPKS1_PKS2_PKT1_PKT2_S6_PT3_21rocsparse_index_base_b,comdat
	.globl	_ZN9rocsparseL28csrmvn_lrb_short_rows_kernelIllfdddEEvbT_PT0_S3_jNS_24const_host_device_scalarIT4_EEPKS1_PKS2_PKT1_PKT2_S6_PT3_21rocsparse_index_base_b ; -- Begin function _ZN9rocsparseL28csrmvn_lrb_short_rows_kernelIllfdddEEvbT_PT0_S3_jNS_24const_host_device_scalarIT4_EEPKS1_PKS2_PKT1_PKT2_S6_PT3_21rocsparse_index_base_b
	.p2align	8
	.type	_ZN9rocsparseL28csrmvn_lrb_short_rows_kernelIllfdddEEvbT_PT0_S3_jNS_24const_host_device_scalarIT4_EEPKS1_PKS2_PKT1_PKT2_S6_PT3_21rocsparse_index_base_b,@function
_ZN9rocsparseL28csrmvn_lrb_short_rows_kernelIllfdddEEvbT_PT0_S3_jNS_24const_host_device_scalarIT4_EEPKS1_PKS2_PKT1_PKT2_S6_PT3_21rocsparse_index_base_b: ; @_ZN9rocsparseL28csrmvn_lrb_short_rows_kernelIllfdddEEvbT_PT0_S3_jNS_24const_host_device_scalarIT4_EEPKS1_PKS2_PKT1_PKT2_S6_PT3_21rocsparse_index_base_b
; %bb.0:
	s_load_dwordx2 s[18:19], s[4:5], 0x60
	s_load_dwordx2 s[8:9], s[4:5], 0x28
	s_load_dwordx2 s[0:1], s[4:5], 0x50
	s_waitcnt lgkmcnt(0)
	s_bitcmp1_b32 s19, 0
	s_cselect_b64 s[10:11], -1, 0
	s_xor_b64 s[2:3], s[10:11], -1
	s_and_b64 vcc, exec, s[10:11]
	v_pk_mov_b32 v[8:9], s[8:9], s[8:9] op_sel:[0,1]
	s_cbranch_vccnz .LBB182_2
; %bb.1:
	v_pk_mov_b32 v[2:3], s[8:9], s[8:9] op_sel:[0,1]
	flat_load_dwordx2 v[8:9], v[2:3]
.LBB182_2:
	s_andn2_b64 vcc, exec, s[2:3]
	v_pk_mov_b32 v[6:7], s[0:1], s[0:1] op_sel:[0,1]
	s_cbranch_vccnz .LBB182_4
; %bb.3:
	v_pk_mov_b32 v[2:3], s[0:1], s[0:1] op_sel:[0,1]
	flat_load_dwordx2 v[6:7], v[2:3]
.LBB182_4:
	s_waitcnt vmcnt(0) lgkmcnt(0)
	v_cmp_neq_f64_e32 vcc, 0, v[8:9]
	v_cmp_neq_f64_e64 s[0:1], 1.0, v[6:7]
	s_or_b64 s[0:1], vcc, s[0:1]
	s_and_saveexec_b64 s[2:3], s[0:1]
	s_cbranch_execz .LBB182_18
; %bb.5:
	s_load_dword s16, s[4:5], 0x20
	s_load_dwordx4 s[0:3], s[4:5], 0x10
	s_mov_b32 s7, 0
	s_mov_b32 s17, s7
	;; [unrolled: 1-line block ×3, first 2 shown]
	s_waitcnt lgkmcnt(0)
	s_lshl_b64 s[8:9], s[16:17], 3
	s_add_u32 s8, s2, s8
	s_addc_u32 s9, s3, s9
	s_add_i32 s10, s16, 1
	s_lshl_b64 s[10:11], s[10:11], 3
	s_add_u32 s10, s2, s10
	s_addc_u32 s11, s3, s11
	s_load_dwordx2 s[2:3], s[8:9], 0x0
	s_load_dword s12, s[10:11], 0x0
	s_lshl_b32 s6, s6, 8
	s_add_i32 s9, s6, 0x100
	s_waitcnt lgkmcnt(0)
	s_sub_i32 s8, s12, s2
	s_min_u32 s17, s8, s9
	s_cmp_gt_u32 s16, 23
	s_cbranch_scc1 .LBB182_12
; %bb.6:
	s_load_dwordx8 s[8:15], s[4:5], 0x30
	s_lshl_b32 s19, 0x100, s16
	s_lshl_b64 s[20:21], s[2:3], 3
	s_add_u32 s24, s0, s20
	v_mov_b32_e32 v13, 0
	s_addc_u32 s25, s1, s21
	v_bfe_u32 v10, v0, 0, s16
	v_mov_b32_e32 v11, v13
	v_lshl_add_u32 v1, v0, 3, 0
	s_mov_b32 s26, s7
	s_branch .LBB182_9
.LBB182_7:                              ;   in Loop: Header=BB182_9 Depth=1
	s_or_b64 exec, exec, s[22:23]
	ds_write_b64 v1, v[4:5]
.LBB182_8:                              ;   in Loop: Header=BB182_9 Depth=1
	s_or_b64 exec, exec, s[20:21]
	s_addk_i32 s26, 0x100
	s_cmp_ge_u32 s26, s19
	v_add_u32_e32 v1, 0x800, v1
	s_cbranch_scc1 .LBB182_12
.LBB182_9:                              ; =>This Inner Loop Header: Depth=1
	v_add_u32_e32 v2, s26, v0
	v_lshrrev_b32_e32 v2, s16, v2
	v_add_u32_e32 v12, s6, v2
	v_cmp_gt_u32_e32 vcc, s17, v12
	s_and_saveexec_b64 s[20:21], vcc
	s_cbranch_execz .LBB182_8
; %bb.10:                               ;   in Loop: Header=BB182_9 Depth=1
	v_lshlrev_b64 v[2:3], 3, v[12:13]
	v_mov_b32_e32 v4, s25
	v_add_co_u32_e32 v2, vcc, s24, v2
	v_addc_co_u32_e32 v3, vcc, v4, v3, vcc
	global_load_dwordx2 v[2:3], v[2:3], off
	s_waitcnt lgkmcnt(0)
	v_mov_b32_e32 v4, s9
	s_waitcnt vmcnt(0)
	v_lshlrev_b64 v[2:3], 3, v[2:3]
	v_add_co_u32_e32 v2, vcc, s8, v2
	v_addc_co_u32_e32 v3, vcc, v4, v3, vcc
	global_load_dwordx4 v[2:5], v[2:3], off
	s_waitcnt vmcnt(0)
	v_sub_co_u32_e32 v4, vcc, v4, v2
	v_subb_co_u32_e32 v5, vcc, v5, v3, vcc
	v_cmp_gt_i64_e32 vcc, v[4:5], v[10:11]
	v_pk_mov_b32 v[4:5], 0, 0
	s_and_saveexec_b64 s[22:23], vcc
	s_cbranch_execz .LBB182_7
; %bb.11:                               ;   in Loop: Header=BB182_9 Depth=1
	v_mov_b32_e32 v12, s7
	v_subrev_co_u32_e32 v2, vcc, s18, v2
	v_subb_co_u32_e32 v3, vcc, v3, v12, vcc
	v_add_co_u32_e32 v2, vcc, v2, v10
	v_addc_co_u32_e32 v3, vcc, 0, v3, vcc
	v_lshlrev_b64 v[4:5], 3, v[2:3]
	v_mov_b32_e32 v14, s11
	v_add_co_u32_e32 v4, vcc, s10, v4
	v_addc_co_u32_e32 v5, vcc, v14, v5, vcc
	global_load_dwordx2 v[4:5], v[4:5], off
	v_lshlrev_b64 v[2:3], 2, v[2:3]
	v_mov_b32_e32 v14, s13
	v_add_co_u32_e32 v2, vcc, s12, v2
	v_addc_co_u32_e32 v3, vcc, v14, v3, vcc
	global_load_dword v14, v[2:3], off
	v_mov_b32_e32 v15, s15
	s_waitcnt vmcnt(1)
	v_subrev_co_u32_e32 v2, vcc, s18, v4
	v_subb_co_u32_e32 v3, vcc, v5, v12, vcc
	v_lshlrev_b64 v[2:3], 3, v[2:3]
	v_add_co_u32_e32 v2, vcc, s14, v2
	v_addc_co_u32_e32 v3, vcc, v15, v3, vcc
	global_load_dwordx2 v[2:3], v[2:3], off
	s_waitcnt vmcnt(1)
	v_cvt_f64_f32_e32 v[4:5], v14
	v_mul_f64 v[4:5], v[8:9], v[4:5]
	s_waitcnt vmcnt(0)
	v_mul_f64 v[4:5], v[4:5], v[2:3]
	s_branch .LBB182_7
.LBB182_12:
	s_sub_i32 s7, s17, s6
	v_cmp_gt_u32_e32 vcc, s7, v0
	s_waitcnt lgkmcnt(0)
	s_barrier
	s_and_b64 exec, exec, vcc
	s_cbranch_execz .LBB182_18
; %bb.13:
	s_lshl_b64 s[2:3], s[2:3], 3
	s_mov_b32 s7, 0
	s_add_u32 s2, s0, s2
	s_addc_u32 s3, s1, s3
	s_lshl_b64 s[0:1], s[6:7], 3
	s_add_u32 s0, s2, s0
	s_addc_u32 s1, s3, s1
	v_lshlrev_b32_e32 v1, 3, v0
	global_load_dwordx2 v[2:3], v1, s[0:1]
	s_load_dwordx2 s[0:1], s[4:5], 0x58
	v_lshlrev_b32_e32 v0, s16, v0
	v_lshl_add_u32 v4, v0, 3, 0
	s_mov_b32 s2, 1
	v_pk_mov_b32 v[0:1], 0, 0
.LBB182_14:                             ; =>This Inner Loop Header: Depth=1
	ds_read_b64 v[8:9], v4
	s_lshr_b32 s3, s2, s16
	s_add_i32 s2, s2, 1
	v_add_u32_e32 v4, 8, v4
	s_cmp_lg_u32 s3, 0
	s_waitcnt lgkmcnt(0)
	v_add_f64 v[0:1], v[0:1], v[8:9]
	s_cbranch_scc0 .LBB182_14
; %bb.15:
	v_cmp_neq_f64_e32 vcc, 0, v[6:7]
	s_waitcnt vmcnt(0)
	v_lshlrev_b64 v[2:3], 3, v[2:3]
	s_and_saveexec_b64 s[2:3], vcc
	s_cbranch_execz .LBB182_17
; %bb.16:
	v_mov_b32_e32 v5, s1
	v_add_co_u32_e32 v4, vcc, s0, v2
	v_addc_co_u32_e32 v5, vcc, v5, v3, vcc
	global_load_dwordx2 v[4:5], v[4:5], off
	s_waitcnt vmcnt(0)
	v_fmac_f64_e32 v[0:1], v[6:7], v[4:5]
.LBB182_17:
	s_or_b64 exec, exec, s[2:3]
	v_mov_b32_e32 v4, s1
	v_add_co_u32_e32 v2, vcc, s0, v2
	v_addc_co_u32_e32 v3, vcc, v4, v3, vcc
	global_store_dwordx2 v[2:3], v[0:1], off
.LBB182_18:
	s_endpgm
	.section	.rodata,"a",@progbits
	.p2align	6, 0x0
	.amdhsa_kernel _ZN9rocsparseL28csrmvn_lrb_short_rows_kernelIllfdddEEvbT_PT0_S3_jNS_24const_host_device_scalarIT4_EEPKS1_PKS2_PKT1_PKT2_S6_PT3_21rocsparse_index_base_b
		.amdhsa_group_segment_fixed_size 0
		.amdhsa_private_segment_fixed_size 0
		.amdhsa_kernarg_size 104
		.amdhsa_user_sgpr_count 6
		.amdhsa_user_sgpr_private_segment_buffer 1
		.amdhsa_user_sgpr_dispatch_ptr 0
		.amdhsa_user_sgpr_queue_ptr 0
		.amdhsa_user_sgpr_kernarg_segment_ptr 1
		.amdhsa_user_sgpr_dispatch_id 0
		.amdhsa_user_sgpr_flat_scratch_init 0
		.amdhsa_user_sgpr_kernarg_preload_length 0
		.amdhsa_user_sgpr_kernarg_preload_offset 0
		.amdhsa_user_sgpr_private_segment_size 0
		.amdhsa_uses_dynamic_stack 0
		.amdhsa_system_sgpr_private_segment_wavefront_offset 0
		.amdhsa_system_sgpr_workgroup_id_x 1
		.amdhsa_system_sgpr_workgroup_id_y 0
		.amdhsa_system_sgpr_workgroup_id_z 0
		.amdhsa_system_sgpr_workgroup_info 0
		.amdhsa_system_vgpr_workitem_id 0
		.amdhsa_next_free_vgpr 16
		.amdhsa_next_free_sgpr 27
		.amdhsa_accum_offset 16
		.amdhsa_reserve_vcc 1
		.amdhsa_reserve_flat_scratch 0
		.amdhsa_float_round_mode_32 0
		.amdhsa_float_round_mode_16_64 0
		.amdhsa_float_denorm_mode_32 3
		.amdhsa_float_denorm_mode_16_64 3
		.amdhsa_dx10_clamp 1
		.amdhsa_ieee_mode 1
		.amdhsa_fp16_overflow 0
		.amdhsa_tg_split 0
		.amdhsa_exception_fp_ieee_invalid_op 0
		.amdhsa_exception_fp_denorm_src 0
		.amdhsa_exception_fp_ieee_div_zero 0
		.amdhsa_exception_fp_ieee_overflow 0
		.amdhsa_exception_fp_ieee_underflow 0
		.amdhsa_exception_fp_ieee_inexact 0
		.amdhsa_exception_int_div_zero 0
	.end_amdhsa_kernel
	.section	.text._ZN9rocsparseL28csrmvn_lrb_short_rows_kernelIllfdddEEvbT_PT0_S3_jNS_24const_host_device_scalarIT4_EEPKS1_PKS2_PKT1_PKT2_S6_PT3_21rocsparse_index_base_b,"axG",@progbits,_ZN9rocsparseL28csrmvn_lrb_short_rows_kernelIllfdddEEvbT_PT0_S3_jNS_24const_host_device_scalarIT4_EEPKS1_PKS2_PKT1_PKT2_S6_PT3_21rocsparse_index_base_b,comdat
.Lfunc_end182:
	.size	_ZN9rocsparseL28csrmvn_lrb_short_rows_kernelIllfdddEEvbT_PT0_S3_jNS_24const_host_device_scalarIT4_EEPKS1_PKS2_PKT1_PKT2_S6_PT3_21rocsparse_index_base_b, .Lfunc_end182-_ZN9rocsparseL28csrmvn_lrb_short_rows_kernelIllfdddEEvbT_PT0_S3_jNS_24const_host_device_scalarIT4_EEPKS1_PKS2_PKT1_PKT2_S6_PT3_21rocsparse_index_base_b
                                        ; -- End function
	.section	.AMDGPU.csdata,"",@progbits
; Kernel info:
; codeLenInByte = 820
; NumSgprs: 31
; NumVgprs: 16
; NumAgprs: 0
; TotalNumVgprs: 16
; ScratchSize: 0
; MemoryBound: 0
; FloatMode: 240
; IeeeMode: 1
; LDSByteSize: 0 bytes/workgroup (compile time only)
; SGPRBlocks: 3
; VGPRBlocks: 1
; NumSGPRsForWavesPerEU: 31
; NumVGPRsForWavesPerEU: 16
; AccumOffset: 16
; Occupancy: 8
; WaveLimiterHint : 1
; COMPUTE_PGM_RSRC2:SCRATCH_EN: 0
; COMPUTE_PGM_RSRC2:USER_SGPR: 6
; COMPUTE_PGM_RSRC2:TRAP_HANDLER: 0
; COMPUTE_PGM_RSRC2:TGID_X_EN: 1
; COMPUTE_PGM_RSRC2:TGID_Y_EN: 0
; COMPUTE_PGM_RSRC2:TGID_Z_EN: 0
; COMPUTE_PGM_RSRC2:TIDIG_COMP_CNT: 0
; COMPUTE_PGM_RSRC3_GFX90A:ACCUM_OFFSET: 3
; COMPUTE_PGM_RSRC3_GFX90A:TG_SPLIT: 0
	.section	.text._ZN9rocsparseL30csrmvn_lrb_short_rows_2_kernelIllfdddEEvbT_PT0_S3_jNS_24const_host_device_scalarIT4_EEPKS1_PKS2_PKT1_PKT2_S6_PT3_21rocsparse_index_base_b,"axG",@progbits,_ZN9rocsparseL30csrmvn_lrb_short_rows_2_kernelIllfdddEEvbT_PT0_S3_jNS_24const_host_device_scalarIT4_EEPKS1_PKS2_PKT1_PKT2_S6_PT3_21rocsparse_index_base_b,comdat
	.globl	_ZN9rocsparseL30csrmvn_lrb_short_rows_2_kernelIllfdddEEvbT_PT0_S3_jNS_24const_host_device_scalarIT4_EEPKS1_PKS2_PKT1_PKT2_S6_PT3_21rocsparse_index_base_b ; -- Begin function _ZN9rocsparseL30csrmvn_lrb_short_rows_2_kernelIllfdddEEvbT_PT0_S3_jNS_24const_host_device_scalarIT4_EEPKS1_PKS2_PKT1_PKT2_S6_PT3_21rocsparse_index_base_b
	.p2align	8
	.type	_ZN9rocsparseL30csrmvn_lrb_short_rows_2_kernelIllfdddEEvbT_PT0_S3_jNS_24const_host_device_scalarIT4_EEPKS1_PKS2_PKT1_PKT2_S6_PT3_21rocsparse_index_base_b,@function
_ZN9rocsparseL30csrmvn_lrb_short_rows_2_kernelIllfdddEEvbT_PT0_S3_jNS_24const_host_device_scalarIT4_EEPKS1_PKS2_PKT1_PKT2_S6_PT3_21rocsparse_index_base_b: ; @_ZN9rocsparseL30csrmvn_lrb_short_rows_2_kernelIllfdddEEvbT_PT0_S3_jNS_24const_host_device_scalarIT4_EEPKS1_PKS2_PKT1_PKT2_S6_PT3_21rocsparse_index_base_b
; %bb.0:
	s_load_dwordx2 s[18:19], s[4:5], 0x60
	s_load_dwordx2 s[8:9], s[4:5], 0x28
	;; [unrolled: 1-line block ×3, first 2 shown]
	s_waitcnt lgkmcnt(0)
	s_bitcmp1_b32 s19, 0
	s_cselect_b64 s[10:11], -1, 0
	s_xor_b64 s[2:3], s[10:11], -1
	s_and_b64 vcc, exec, s[10:11]
	v_pk_mov_b32 v[8:9], s[8:9], s[8:9] op_sel:[0,1]
	s_cbranch_vccnz .LBB183_2
; %bb.1:
	v_pk_mov_b32 v[2:3], s[8:9], s[8:9] op_sel:[0,1]
	flat_load_dwordx2 v[8:9], v[2:3]
.LBB183_2:
	s_andn2_b64 vcc, exec, s[2:3]
	v_pk_mov_b32 v[6:7], s[0:1], s[0:1] op_sel:[0,1]
	s_cbranch_vccnz .LBB183_4
; %bb.3:
	v_pk_mov_b32 v[2:3], s[0:1], s[0:1] op_sel:[0,1]
	flat_load_dwordx2 v[6:7], v[2:3]
.LBB183_4:
	s_waitcnt vmcnt(0) lgkmcnt(0)
	v_cmp_neq_f64_e32 vcc, 0, v[8:9]
	v_cmp_neq_f64_e64 s[0:1], 1.0, v[6:7]
	s_or_b64 s[0:1], vcc, s[0:1]
	s_and_saveexec_b64 s[2:3], s[0:1]
	s_cbranch_execz .LBB183_30
; %bb.5:
	s_load_dword s2, s[4:5], 0x20
	s_load_dwordx4 s[20:23], s[4:5], 0x10
	s_mov_b32 s3, 0
	s_mov_b32 s1, s3
	v_mov_b32_e32 v11, 0
	s_waitcnt lgkmcnt(0)
	s_lshl_b64 s[8:9], s[2:3], 3
	s_add_u32 s24, s22, s8
	s_addc_u32 s25, s23, s9
	s_add_i32 s0, s2, 1
	s_lshl_b64 s[0:1], s[0:1], 3
	s_add_u32 s0, s22, s0
	s_addc_u32 s1, s23, s1
	s_load_dwordx2 s[22:23], s[24:25], 0x0
	s_load_dword s7, s[0:1], 0x0
	s_load_dwordx2 s[16:17], s[4:5], 0x58
	s_load_dwordx8 s[8:15], s[4:5], 0x30
	s_lshr_b32 s3, 0x400, s2
	s_mul_i32 s4, s3, s6
	s_waitcnt lgkmcnt(0)
	s_sub_i32 s0, s7, s22
	s_add_i32 s1, s4, s3
	s_min_u32 s5, s0, s1
	s_lshl_b64 s[0:1], s[22:23], 3
	v_lshrrev_b32_e32 v1, s2, v0
	s_add_u32 s19, s20, s0
	v_add_u32_e32 v2, s4, v1
	s_addc_u32 s20, s21, s1
	v_bfe_u32 v10, v0, 0, s2
	v_cmp_gt_u32_e32 vcc, s5, v2
	s_and_saveexec_b64 s[0:1], vcc
	s_cbranch_execz .LBB183_9
; %bb.6:
	v_mov_b32_e32 v3, v11
	v_lshlrev_b64 v[2:3], 3, v[2:3]
	v_mov_b32_e32 v1, s20
	v_add_co_u32_e32 v2, vcc, s19, v2
	v_addc_co_u32_e32 v3, vcc, v1, v3, vcc
	global_load_dwordx2 v[2:3], v[2:3], off
	v_mov_b32_e32 v1, s9
	s_waitcnt vmcnt(0)
	v_lshlrev_b64 v[2:3], 3, v[2:3]
	v_add_co_u32_e32 v2, vcc, s8, v2
	v_addc_co_u32_e32 v3, vcc, v1, v3, vcc
	global_load_dwordx4 v[2:5], v[2:3], off
	s_waitcnt vmcnt(0)
	v_sub_co_u32_e32 v4, vcc, v4, v2
	v_subb_co_u32_e32 v5, vcc, v5, v3, vcc
	v_cmp_gt_i64_e32 vcc, v[4:5], v[10:11]
	v_pk_mov_b32 v[4:5], 0, 0
	s_and_saveexec_b64 s[6:7], vcc
	s_cbranch_execz .LBB183_8
; %bb.7:
	v_subrev_co_u32_e32 v1, vcc, s18, v2
	v_subbrev_co_u32_e32 v3, vcc, 0, v3, vcc
	v_add_co_u32_e32 v2, vcc, v1, v10
	v_addc_co_u32_e32 v3, vcc, 0, v3, vcc
	v_lshlrev_b64 v[4:5], 3, v[2:3]
	v_mov_b32_e32 v1, s11
	v_add_co_u32_e32 v4, vcc, s10, v4
	v_addc_co_u32_e32 v5, vcc, v1, v5, vcc
	global_load_dwordx2 v[4:5], v[4:5], off
	v_lshlrev_b64 v[2:3], 2, v[2:3]
	v_mov_b32_e32 v1, s13
	v_add_co_u32_e32 v2, vcc, s12, v2
	v_addc_co_u32_e32 v3, vcc, v1, v3, vcc
	global_load_dword v1, v[2:3], off
	v_mov_b32_e32 v12, s15
	s_waitcnt vmcnt(1)
	v_subrev_co_u32_e32 v2, vcc, s18, v4
	v_subbrev_co_u32_e32 v3, vcc, 0, v5, vcc
	v_lshlrev_b64 v[2:3], 3, v[2:3]
	v_add_co_u32_e32 v2, vcc, s14, v2
	v_addc_co_u32_e32 v3, vcc, v12, v3, vcc
	global_load_dwordx2 v[2:3], v[2:3], off
	s_waitcnt vmcnt(1)
	v_cvt_f64_f32_e32 v[4:5], v1
	v_mul_f64 v[4:5], v[8:9], v[4:5]
	s_waitcnt vmcnt(0)
	v_mul_f64 v[4:5], v[4:5], v[2:3]
.LBB183_8:
	s_or_b64 exec, exec, s[6:7]
	v_lshlrev_b32_e32 v1, 3, v0
	ds_write_b64 v1, v[4:5]
.LBB183_9:
	s_or_b64 exec, exec, s[0:1]
	v_or_b32_e32 v1, 0x100, v0
	v_lshrrev_b32_e32 v1, s2, v1
	v_add_u32_e32 v2, s4, v1
	v_cmp_gt_u32_e32 vcc, s5, v2
	s_and_saveexec_b64 s[0:1], vcc
	s_cbranch_execz .LBB183_13
; %bb.10:
	v_mov_b32_e32 v3, 0
	v_lshlrev_b64 v[2:3], 3, v[2:3]
	v_mov_b32_e32 v1, s20
	v_add_co_u32_e32 v2, vcc, s19, v2
	v_addc_co_u32_e32 v3, vcc, v1, v3, vcc
	global_load_dwordx2 v[2:3], v[2:3], off
	v_mov_b32_e32 v1, s9
	s_waitcnt vmcnt(0)
	v_lshlrev_b64 v[2:3], 3, v[2:3]
	v_add_co_u32_e32 v2, vcc, s8, v2
	v_addc_co_u32_e32 v3, vcc, v1, v3, vcc
	global_load_dwordx4 v[2:5], v[2:3], off
	s_waitcnt vmcnt(0)
	v_sub_co_u32_e32 v4, vcc, v4, v2
	v_subb_co_u32_e32 v5, vcc, v5, v3, vcc
	v_cmp_gt_i64_e32 vcc, v[4:5], v[10:11]
	v_pk_mov_b32 v[4:5], 0, 0
	s_and_saveexec_b64 s[6:7], vcc
	s_cbranch_execz .LBB183_12
; %bb.11:
	v_subrev_co_u32_e32 v1, vcc, s18, v2
	v_subbrev_co_u32_e32 v3, vcc, 0, v3, vcc
	v_add_co_u32_e32 v2, vcc, v1, v10
	v_addc_co_u32_e32 v3, vcc, 0, v3, vcc
	v_lshlrev_b64 v[4:5], 3, v[2:3]
	v_mov_b32_e32 v1, s11
	v_add_co_u32_e32 v4, vcc, s10, v4
	v_addc_co_u32_e32 v5, vcc, v1, v5, vcc
	global_load_dwordx2 v[4:5], v[4:5], off
	v_lshlrev_b64 v[2:3], 2, v[2:3]
	v_mov_b32_e32 v1, s13
	v_add_co_u32_e32 v2, vcc, s12, v2
	v_addc_co_u32_e32 v3, vcc, v1, v3, vcc
	global_load_dword v1, v[2:3], off
	v_mov_b32_e32 v12, s15
	s_waitcnt vmcnt(1)
	v_subrev_co_u32_e32 v2, vcc, s18, v4
	v_subbrev_co_u32_e32 v3, vcc, 0, v5, vcc
	v_lshlrev_b64 v[2:3], 3, v[2:3]
	v_add_co_u32_e32 v2, vcc, s14, v2
	v_addc_co_u32_e32 v3, vcc, v12, v3, vcc
	global_load_dwordx2 v[2:3], v[2:3], off
	s_waitcnt vmcnt(1)
	v_cvt_f64_f32_e32 v[4:5], v1
	v_mul_f64 v[4:5], v[8:9], v[4:5]
	s_waitcnt vmcnt(0)
	v_mul_f64 v[4:5], v[4:5], v[2:3]
.LBB183_12:
	s_or_b64 exec, exec, s[6:7]
	v_lshlrev_b32_e32 v1, 3, v0
	ds_write_b64 v1, v[4:5] offset:2048
.LBB183_13:
	s_or_b64 exec, exec, s[0:1]
	v_or_b32_e32 v1, 0x200, v0
	v_lshrrev_b32_e32 v1, s2, v1
	v_add_u32_e32 v2, s4, v1
	v_cmp_gt_u32_e32 vcc, s5, v2
	s_and_saveexec_b64 s[0:1], vcc
	s_cbranch_execz .LBB183_17
; %bb.14:
	v_mov_b32_e32 v3, 0
	v_lshlrev_b64 v[2:3], 3, v[2:3]
	v_mov_b32_e32 v1, s20
	v_add_co_u32_e32 v2, vcc, s19, v2
	v_addc_co_u32_e32 v3, vcc, v1, v3, vcc
	global_load_dwordx2 v[2:3], v[2:3], off
	v_mov_b32_e32 v1, s9
	s_waitcnt vmcnt(0)
	v_lshlrev_b64 v[2:3], 3, v[2:3]
	v_add_co_u32_e32 v2, vcc, s8, v2
	v_addc_co_u32_e32 v3, vcc, v1, v3, vcc
	global_load_dwordx4 v[2:5], v[2:3], off
	s_waitcnt vmcnt(0)
	v_sub_co_u32_e32 v4, vcc, v4, v2
	v_subb_co_u32_e32 v5, vcc, v5, v3, vcc
	v_cmp_gt_i64_e32 vcc, v[4:5], v[10:11]
	v_pk_mov_b32 v[4:5], 0, 0
	s_and_saveexec_b64 s[6:7], vcc
	s_cbranch_execz .LBB183_16
; %bb.15:
	v_subrev_co_u32_e32 v1, vcc, s18, v2
	v_subbrev_co_u32_e32 v3, vcc, 0, v3, vcc
	v_add_co_u32_e32 v2, vcc, v1, v10
	v_addc_co_u32_e32 v3, vcc, 0, v3, vcc
	v_lshlrev_b64 v[4:5], 3, v[2:3]
	v_mov_b32_e32 v1, s11
	v_add_co_u32_e32 v4, vcc, s10, v4
	v_addc_co_u32_e32 v5, vcc, v1, v5, vcc
	global_load_dwordx2 v[4:5], v[4:5], off
	v_lshlrev_b64 v[2:3], 2, v[2:3]
	v_mov_b32_e32 v1, s13
	v_add_co_u32_e32 v2, vcc, s12, v2
	v_addc_co_u32_e32 v3, vcc, v1, v3, vcc
	global_load_dword v1, v[2:3], off
	v_mov_b32_e32 v12, s15
	s_waitcnt vmcnt(1)
	v_subrev_co_u32_e32 v2, vcc, s18, v4
	v_subbrev_co_u32_e32 v3, vcc, 0, v5, vcc
	v_lshlrev_b64 v[2:3], 3, v[2:3]
	v_add_co_u32_e32 v2, vcc, s14, v2
	v_addc_co_u32_e32 v3, vcc, v12, v3, vcc
	global_load_dwordx2 v[2:3], v[2:3], off
	s_waitcnt vmcnt(1)
	v_cvt_f64_f32_e32 v[4:5], v1
	v_mul_f64 v[4:5], v[8:9], v[4:5]
	s_waitcnt vmcnt(0)
	v_mul_f64 v[4:5], v[4:5], v[2:3]
.LBB183_16:
	s_or_b64 exec, exec, s[6:7]
	v_lshlrev_b32_e32 v1, 3, v0
	ds_write_b64 v1, v[4:5] offset:4096
.LBB183_17:
	;; [unrolled: 60-line block ×3, first 2 shown]
	s_or_b64 exec, exec, s[0:1]
	s_cmp_lt_u32 s2, 11
	s_waitcnt lgkmcnt(0)
	s_barrier
	s_cbranch_scc0 .LBB183_30
; %bb.22:
	s_sub_i32 s10, s5, s4
	s_mov_b32 s5, 0
	s_lshl_b64 s[0:1], s[4:5], 3
	s_add_u32 s4, s19, s0
	s_addc_u32 s11, s20, s1
	v_cmp_neq_f64_e32 vcc, 0, v[6:7]
	v_mov_b32_e32 v3, 0
	s_branch .LBB183_25
.LBB183_23:                             ;   in Loop: Header=BB183_25 Depth=1
	s_or_b64 exec, exec, s[8:9]
	v_mov_b32_e32 v1, s17
	v_add_co_u32_e64 v8, s[0:1], s16, v8
	v_addc_co_u32_e64 v9, s[0:1], v1, v9, s[0:1]
	global_store_dwordx2 v[8:9], v[4:5], off
.LBB183_24:                             ;   in Loop: Header=BB183_25 Depth=1
	s_or_b64 exec, exec, s[6:7]
	s_addk_i32 s5, 0x100
	s_cmp_lt_u32 s5, s3
	s_cbranch_scc0 .LBB183_30
.LBB183_25:                             ; =>This Loop Header: Depth=1
                                        ;     Child Loop BB183_27 Depth 2
	v_add_u32_e32 v2, s5, v0
	v_cmp_gt_u32_e64 s[0:1], s10, v2
	s_and_saveexec_b64 s[6:7], s[0:1]
	s_cbranch_execz .LBB183_24
; %bb.26:                               ;   in Loop: Header=BB183_25 Depth=1
	v_lshlrev_b64 v[4:5], 3, v[2:3]
	v_mov_b32_e32 v1, s11
	v_add_co_u32_e64 v4, s[0:1], s4, v4
	v_addc_co_u32_e64 v5, s[0:1], v1, v5, s[0:1]
	global_load_dwordx2 v[8:9], v[4:5], off
	v_lshlrev_b32_e32 v1, s2, v2
	v_lshlrev_b32_e32 v1, 3, v1
	s_mov_b32 s0, 1
	v_pk_mov_b32 v[4:5], 0, 0
.LBB183_27:                             ;   Parent Loop BB183_25 Depth=1
                                        ; =>  This Inner Loop Header: Depth=2
	ds_read_b64 v[10:11], v1
	s_lshr_b32 s1, s0, s2
	s_add_i32 s0, s0, 1
	v_add_u32_e32 v1, 8, v1
	s_cmp_lg_u32 s1, 0
	s_waitcnt lgkmcnt(0)
	v_add_f64 v[4:5], v[4:5], v[10:11]
	s_cbranch_scc0 .LBB183_27
; %bb.28:                               ;   in Loop: Header=BB183_25 Depth=1
	s_waitcnt vmcnt(0)
	v_lshlrev_b64 v[8:9], 3, v[8:9]
	s_and_saveexec_b64 s[8:9], vcc
	s_cbranch_execz .LBB183_23
; %bb.29:                               ;   in Loop: Header=BB183_25 Depth=1
	v_mov_b32_e32 v1, s17
	v_add_co_u32_e64 v10, s[0:1], s16, v8
	v_addc_co_u32_e64 v11, s[0:1], v1, v9, s[0:1]
	global_load_dwordx2 v[10:11], v[10:11], off
	s_waitcnt vmcnt(0)
	v_fmac_f64_e32 v[4:5], v[6:7], v[10:11]
	s_branch .LBB183_23
.LBB183_30:
	s_endpgm
	.section	.rodata,"a",@progbits
	.p2align	6, 0x0
	.amdhsa_kernel _ZN9rocsparseL30csrmvn_lrb_short_rows_2_kernelIllfdddEEvbT_PT0_S3_jNS_24const_host_device_scalarIT4_EEPKS1_PKS2_PKT1_PKT2_S6_PT3_21rocsparse_index_base_b
		.amdhsa_group_segment_fixed_size 8192
		.amdhsa_private_segment_fixed_size 0
		.amdhsa_kernarg_size 104
		.amdhsa_user_sgpr_count 6
		.amdhsa_user_sgpr_private_segment_buffer 1
		.amdhsa_user_sgpr_dispatch_ptr 0
		.amdhsa_user_sgpr_queue_ptr 0
		.amdhsa_user_sgpr_kernarg_segment_ptr 1
		.amdhsa_user_sgpr_dispatch_id 0
		.amdhsa_user_sgpr_flat_scratch_init 0
		.amdhsa_user_sgpr_kernarg_preload_length 0
		.amdhsa_user_sgpr_kernarg_preload_offset 0
		.amdhsa_user_sgpr_private_segment_size 0
		.amdhsa_uses_dynamic_stack 0
		.amdhsa_system_sgpr_private_segment_wavefront_offset 0
		.amdhsa_system_sgpr_workgroup_id_x 1
		.amdhsa_system_sgpr_workgroup_id_y 0
		.amdhsa_system_sgpr_workgroup_id_z 0
		.amdhsa_system_sgpr_workgroup_info 0
		.amdhsa_system_vgpr_workitem_id 0
		.amdhsa_next_free_vgpr 13
		.amdhsa_next_free_sgpr 26
		.amdhsa_accum_offset 16
		.amdhsa_reserve_vcc 1
		.amdhsa_reserve_flat_scratch 0
		.amdhsa_float_round_mode_32 0
		.amdhsa_float_round_mode_16_64 0
		.amdhsa_float_denorm_mode_32 3
		.amdhsa_float_denorm_mode_16_64 3
		.amdhsa_dx10_clamp 1
		.amdhsa_ieee_mode 1
		.amdhsa_fp16_overflow 0
		.amdhsa_tg_split 0
		.amdhsa_exception_fp_ieee_invalid_op 0
		.amdhsa_exception_fp_denorm_src 0
		.amdhsa_exception_fp_ieee_div_zero 0
		.amdhsa_exception_fp_ieee_overflow 0
		.amdhsa_exception_fp_ieee_underflow 0
		.amdhsa_exception_fp_ieee_inexact 0
		.amdhsa_exception_int_div_zero 0
	.end_amdhsa_kernel
	.section	.text._ZN9rocsparseL30csrmvn_lrb_short_rows_2_kernelIllfdddEEvbT_PT0_S3_jNS_24const_host_device_scalarIT4_EEPKS1_PKS2_PKT1_PKT2_S6_PT3_21rocsparse_index_base_b,"axG",@progbits,_ZN9rocsparseL30csrmvn_lrb_short_rows_2_kernelIllfdddEEvbT_PT0_S3_jNS_24const_host_device_scalarIT4_EEPKS1_PKS2_PKT1_PKT2_S6_PT3_21rocsparse_index_base_b,comdat
.Lfunc_end183:
	.size	_ZN9rocsparseL30csrmvn_lrb_short_rows_2_kernelIllfdddEEvbT_PT0_S3_jNS_24const_host_device_scalarIT4_EEPKS1_PKS2_PKT1_PKT2_S6_PT3_21rocsparse_index_base_b, .Lfunc_end183-_ZN9rocsparseL30csrmvn_lrb_short_rows_2_kernelIllfdddEEvbT_PT0_S3_jNS_24const_host_device_scalarIT4_EEPKS1_PKS2_PKT1_PKT2_S6_PT3_21rocsparse_index_base_b
                                        ; -- End function
	.section	.AMDGPU.csdata,"",@progbits
; Kernel info:
; codeLenInByte = 1676
; NumSgprs: 30
; NumVgprs: 13
; NumAgprs: 0
; TotalNumVgprs: 13
; ScratchSize: 0
; MemoryBound: 0
; FloatMode: 240
; IeeeMode: 1
; LDSByteSize: 8192 bytes/workgroup (compile time only)
; SGPRBlocks: 3
; VGPRBlocks: 1
; NumSGPRsForWavesPerEU: 30
; NumVGPRsForWavesPerEU: 13
; AccumOffset: 16
; Occupancy: 8
; WaveLimiterHint : 1
; COMPUTE_PGM_RSRC2:SCRATCH_EN: 0
; COMPUTE_PGM_RSRC2:USER_SGPR: 6
; COMPUTE_PGM_RSRC2:TRAP_HANDLER: 0
; COMPUTE_PGM_RSRC2:TGID_X_EN: 1
; COMPUTE_PGM_RSRC2:TGID_Y_EN: 0
; COMPUTE_PGM_RSRC2:TGID_Z_EN: 0
; COMPUTE_PGM_RSRC2:TIDIG_COMP_CNT: 0
; COMPUTE_PGM_RSRC3_GFX90A:ACCUM_OFFSET: 3
; COMPUTE_PGM_RSRC3_GFX90A:TG_SPLIT: 0
	.section	.text._ZN9rocsparseL41csrmvn_lrb_medium_rows_warp_reduce_kernelILj256ELj32EllfdddEEvbT1_lPT2_S3_jNS_24const_host_device_scalarIT6_EEPKS1_PKS2_PKT3_PKT4_S6_PT5_21rocsparse_index_base_b,"axG",@progbits,_ZN9rocsparseL41csrmvn_lrb_medium_rows_warp_reduce_kernelILj256ELj32EllfdddEEvbT1_lPT2_S3_jNS_24const_host_device_scalarIT6_EEPKS1_PKS2_PKT3_PKT4_S6_PT5_21rocsparse_index_base_b,comdat
	.globl	_ZN9rocsparseL41csrmvn_lrb_medium_rows_warp_reduce_kernelILj256ELj32EllfdddEEvbT1_lPT2_S3_jNS_24const_host_device_scalarIT6_EEPKS1_PKS2_PKT3_PKT4_S6_PT5_21rocsparse_index_base_b ; -- Begin function _ZN9rocsparseL41csrmvn_lrb_medium_rows_warp_reduce_kernelILj256ELj32EllfdddEEvbT1_lPT2_S3_jNS_24const_host_device_scalarIT6_EEPKS1_PKS2_PKT3_PKT4_S6_PT5_21rocsparse_index_base_b
	.p2align	8
	.type	_ZN9rocsparseL41csrmvn_lrb_medium_rows_warp_reduce_kernelILj256ELj32EllfdddEEvbT1_lPT2_S3_jNS_24const_host_device_scalarIT6_EEPKS1_PKS2_PKT3_PKT4_S6_PT5_21rocsparse_index_base_b,@function
_ZN9rocsparseL41csrmvn_lrb_medium_rows_warp_reduce_kernelILj256ELj32EllfdddEEvbT1_lPT2_S3_jNS_24const_host_device_scalarIT6_EEPKS1_PKS2_PKT3_PKT4_S6_PT5_21rocsparse_index_base_b: ; @_ZN9rocsparseL41csrmvn_lrb_medium_rows_warp_reduce_kernelILj256ELj32EllfdddEEvbT1_lPT2_S3_jNS_24const_host_device_scalarIT6_EEPKS1_PKS2_PKT3_PKT4_S6_PT5_21rocsparse_index_base_b
; %bb.0:
	s_load_dwordx2 s[2:3], s[4:5], 0x68
	s_load_dwordx2 s[10:11], s[4:5], 0x30
	;; [unrolled: 1-line block ×3, first 2 shown]
	s_waitcnt lgkmcnt(0)
	s_bitcmp1_b32 s3, 0
	s_cselect_b64 s[12:13], -1, 0
	s_xor_b64 s[8:9], s[12:13], -1
	s_and_b64 vcc, exec, s[12:13]
	v_pk_mov_b32 v[4:5], s[10:11], s[10:11] op_sel:[0,1]
	s_cbranch_vccnz .LBB184_2
; %bb.1:
	v_pk_mov_b32 v[2:3], s[10:11], s[10:11] op_sel:[0,1]
	flat_load_dwordx2 v[4:5], v[2:3]
.LBB184_2:
	s_andn2_b64 vcc, exec, s[8:9]
	v_pk_mov_b32 v[2:3], s[0:1], s[0:1] op_sel:[0,1]
	s_cbranch_vccnz .LBB184_4
; %bb.3:
	v_pk_mov_b32 v[2:3], s[0:1], s[0:1] op_sel:[0,1]
	flat_load_dwordx2 v[2:3], v[2:3]
.LBB184_4:
	s_waitcnt vmcnt(0) lgkmcnt(0)
	v_cmp_neq_f64_e32 vcc, 0, v[4:5]
	v_cmp_neq_f64_e64 s[0:1], 1.0, v[2:3]
	s_or_b64 s[0:1], vcc, s[0:1]
	s_and_saveexec_b64 s[8:9], s[0:1]
	s_cbranch_execz .LBB184_14
; %bb.5:
	s_load_dwordx2 s[0:1], s[4:5], 0x10
	v_lshrrev_b32_e32 v1, 5, v0
	v_lshl_or_b32 v6, s6, 3, v1
	v_ashrrev_i32_e32 v7, 31, v6
	s_waitcnt lgkmcnt(0)
	v_cmp_gt_i64_e32 vcc, s[0:1], v[6:7]
	s_and_b64 exec, exec, vcc
	s_cbranch_execz .LBB184_14
; %bb.6:
	s_load_dword s0, s[4:5], 0x28
	s_load_dwordx4 s[8:11], s[4:5], 0x18
	s_mov_b32 s1, 0
	v_lshlrev_b64 v[6:7], 3, v[6:7]
	v_and_b32_e32 v16, 31, v0
	s_waitcnt lgkmcnt(0)
	s_lshl_b64 s[6:7], s[0:1], 3
	s_add_u32 s6, s10, s6
	s_addc_u32 s7, s11, s7
	s_load_dwordx2 s[6:7], s[6:7], 0x0
	s_waitcnt lgkmcnt(0)
	s_lshl_b64 s[6:7], s[6:7], 3
	s_add_u32 s0, s8, s6
	s_addc_u32 s3, s9, s7
	v_mov_b32_e32 v1, s3
	v_add_co_u32_e32 v6, vcc, s0, v6
	v_addc_co_u32_e32 v7, vcc, v1, v7, vcc
	global_load_dwordx2 v[6:7], v[6:7], off
	s_load_dwordx2 s[6:7], s[4:5], 0x38
	s_waitcnt lgkmcnt(0)
	v_mov_b32_e32 v1, s7
	s_waitcnt vmcnt(0)
	v_lshlrev_b64 v[6:7], 3, v[6:7]
	v_add_co_u32_e32 v8, vcc, s6, v6
	v_addc_co_u32_e32 v9, vcc, v1, v7, vcc
	global_load_dwordx4 v[8:11], v[8:9], off
	v_subrev_co_u32_e32 v12, vcc, s2, v16
	s_load_dwordx2 s[6:7], s[4:5], 0x60
	v_subb_co_u32_e64 v13, s[8:9], 0, 0, vcc
	s_waitcnt vmcnt(0)
	v_subrev_co_u32_e32 v0, vcc, s2, v10
	v_subbrev_co_u32_e32 v1, vcc, 0, v11, vcc
	v_add_co_u32_e32 v8, vcc, v8, v12
	v_addc_co_u32_e32 v9, vcc, v9, v13, vcc
	v_cmp_lt_i64_e32 vcc, v[8:9], v[0:1]
	v_pk_mov_b32 v[10:11], 0, 0
	s_and_saveexec_b64 s[8:9], vcc
	s_cbranch_execz .LBB184_10
; %bb.7:
	s_load_dwordx4 s[12:15], s[4:5], 0x40
	s_load_dwordx2 s[10:11], s[4:5], 0x50
	v_lshlrev_b64 v[10:11], 2, v[8:9]
	s_mov_b64 s[4:5], 0
	v_mov_b32_e32 v17, s1
	s_waitcnt lgkmcnt(0)
	v_mov_b32_e32 v13, s15
	v_add_co_u32_e32 v12, vcc, s14, v10
	v_addc_co_u32_e32 v13, vcc, v13, v11, vcc
	v_lshlrev_b64 v[10:11], 3, v[8:9]
	v_mov_b32_e32 v15, s13
	v_add_co_u32_e32 v14, vcc, s12, v10
	v_addc_co_u32_e32 v15, vcc, v15, v11, vcc
	v_pk_mov_b32 v[10:11], 0, 0
	v_mov_b32_e32 v18, s11
.LBB184_8:                              ; =>This Inner Loop Header: Depth=1
	global_load_dwordx2 v[20:21], v[14:15], off
	global_load_dword v19, v[12:13], off
	s_waitcnt vmcnt(1)
	v_subrev_co_u32_e32 v20, vcc, s2, v20
	v_subb_co_u32_e32 v21, vcc, v21, v17, vcc
	v_lshlrev_b64 v[20:21], 3, v[20:21]
	v_add_co_u32_e32 v20, vcc, s10, v20
	v_addc_co_u32_e32 v21, vcc, v18, v21, vcc
	global_load_dwordx2 v[20:21], v[20:21], off
	v_add_co_u32_e32 v8, vcc, 32, v8
	v_addc_co_u32_e32 v9, vcc, 0, v9, vcc
	v_add_co_u32_e32 v12, vcc, 0x80, v12
	v_addc_co_u32_e32 v13, vcc, 0, v13, vcc
	s_waitcnt vmcnt(1)
	v_cvt_f64_f32_e32 v[22:23], v19
	v_add_co_u32_e32 v14, vcc, 0x100, v14
	v_cmp_ge_i64_e64 s[0:1], v[8:9], v[0:1]
	v_mul_f64 v[22:23], v[4:5], v[22:23]
	v_addc_co_u32_e32 v15, vcc, 0, v15, vcc
	s_or_b64 s[4:5], s[0:1], s[4:5]
	s_waitcnt vmcnt(0)
	v_fmac_f64_e32 v[10:11], v[22:23], v[20:21]
	s_andn2_b64 exec, exec, s[4:5]
	s_cbranch_execnz .LBB184_8
; %bb.9:
	s_or_b64 exec, exec, s[4:5]
.LBB184_10:
	s_or_b64 exec, exec, s[8:9]
	v_mov_b32_dpp v0, v10 row_shr:1 row_mask:0xf bank_mask:0xf
	v_mov_b32_dpp v1, v11 row_shr:1 row_mask:0xf bank_mask:0xf
	v_add_f64 v[0:1], v[10:11], v[0:1]
	v_cmp_eq_u32_e32 vcc, 31, v16
	s_nop 0
	v_mov_b32_dpp v4, v0 row_shr:2 row_mask:0xf bank_mask:0xf
	v_mov_b32_dpp v5, v1 row_shr:2 row_mask:0xf bank_mask:0xf
	v_add_f64 v[0:1], v[0:1], v[4:5]
	s_nop 1
	v_mov_b32_dpp v4, v0 row_shr:4 row_mask:0xf bank_mask:0xe
	v_mov_b32_dpp v5, v1 row_shr:4 row_mask:0xf bank_mask:0xe
	v_add_f64 v[0:1], v[0:1], v[4:5]
	;; [unrolled: 4-line block ×3, first 2 shown]
	s_nop 1
	v_mov_b32_dpp v4, v0 row_bcast:15 row_mask:0xa bank_mask:0xf
	v_mov_b32_dpp v5, v1 row_bcast:15 row_mask:0xa bank_mask:0xf
	s_and_b64 exec, exec, vcc
	s_cbranch_execz .LBB184_14
; %bb.11:
	v_add_f64 v[0:1], v[0:1], v[4:5]
	v_cmp_neq_f64_e32 vcc, 0, v[2:3]
	s_and_saveexec_b64 s[0:1], vcc
	s_cbranch_execz .LBB184_13
; %bb.12:
	s_waitcnt lgkmcnt(0)
	v_mov_b32_e32 v5, s7
	v_add_co_u32_e32 v4, vcc, s6, v6
	v_addc_co_u32_e32 v5, vcc, v5, v7, vcc
	global_load_dwordx2 v[4:5], v[4:5], off
	s_waitcnt vmcnt(0)
	v_fmac_f64_e32 v[0:1], v[2:3], v[4:5]
.LBB184_13:
	s_or_b64 exec, exec, s[0:1]
	s_waitcnt lgkmcnt(0)
	v_mov_b32_e32 v3, s7
	v_add_co_u32_e32 v2, vcc, s6, v6
	v_addc_co_u32_e32 v3, vcc, v3, v7, vcc
	global_store_dwordx2 v[2:3], v[0:1], off
.LBB184_14:
	s_endpgm
	.section	.rodata,"a",@progbits
	.p2align	6, 0x0
	.amdhsa_kernel _ZN9rocsparseL41csrmvn_lrb_medium_rows_warp_reduce_kernelILj256ELj32EllfdddEEvbT1_lPT2_S3_jNS_24const_host_device_scalarIT6_EEPKS1_PKS2_PKT3_PKT4_S6_PT5_21rocsparse_index_base_b
		.amdhsa_group_segment_fixed_size 0
		.amdhsa_private_segment_fixed_size 0
		.amdhsa_kernarg_size 112
		.amdhsa_user_sgpr_count 6
		.amdhsa_user_sgpr_private_segment_buffer 1
		.amdhsa_user_sgpr_dispatch_ptr 0
		.amdhsa_user_sgpr_queue_ptr 0
		.amdhsa_user_sgpr_kernarg_segment_ptr 1
		.amdhsa_user_sgpr_dispatch_id 0
		.amdhsa_user_sgpr_flat_scratch_init 0
		.amdhsa_user_sgpr_kernarg_preload_length 0
		.amdhsa_user_sgpr_kernarg_preload_offset 0
		.amdhsa_user_sgpr_private_segment_size 0
		.amdhsa_uses_dynamic_stack 0
		.amdhsa_system_sgpr_private_segment_wavefront_offset 0
		.amdhsa_system_sgpr_workgroup_id_x 1
		.amdhsa_system_sgpr_workgroup_id_y 0
		.amdhsa_system_sgpr_workgroup_id_z 0
		.amdhsa_system_sgpr_workgroup_info 0
		.amdhsa_system_vgpr_workitem_id 0
		.amdhsa_next_free_vgpr 24
		.amdhsa_next_free_sgpr 16
		.amdhsa_accum_offset 24
		.amdhsa_reserve_vcc 1
		.amdhsa_reserve_flat_scratch 0
		.amdhsa_float_round_mode_32 0
		.amdhsa_float_round_mode_16_64 0
		.amdhsa_float_denorm_mode_32 3
		.amdhsa_float_denorm_mode_16_64 3
		.amdhsa_dx10_clamp 1
		.amdhsa_ieee_mode 1
		.amdhsa_fp16_overflow 0
		.amdhsa_tg_split 0
		.amdhsa_exception_fp_ieee_invalid_op 0
		.amdhsa_exception_fp_denorm_src 0
		.amdhsa_exception_fp_ieee_div_zero 0
		.amdhsa_exception_fp_ieee_overflow 0
		.amdhsa_exception_fp_ieee_underflow 0
		.amdhsa_exception_fp_ieee_inexact 0
		.amdhsa_exception_int_div_zero 0
	.end_amdhsa_kernel
	.section	.text._ZN9rocsparseL41csrmvn_lrb_medium_rows_warp_reduce_kernelILj256ELj32EllfdddEEvbT1_lPT2_S3_jNS_24const_host_device_scalarIT6_EEPKS1_PKS2_PKT3_PKT4_S6_PT5_21rocsparse_index_base_b,"axG",@progbits,_ZN9rocsparseL41csrmvn_lrb_medium_rows_warp_reduce_kernelILj256ELj32EllfdddEEvbT1_lPT2_S3_jNS_24const_host_device_scalarIT6_EEPKS1_PKS2_PKT3_PKT4_S6_PT5_21rocsparse_index_base_b,comdat
.Lfunc_end184:
	.size	_ZN9rocsparseL41csrmvn_lrb_medium_rows_warp_reduce_kernelILj256ELj32EllfdddEEvbT1_lPT2_S3_jNS_24const_host_device_scalarIT6_EEPKS1_PKS2_PKT3_PKT4_S6_PT5_21rocsparse_index_base_b, .Lfunc_end184-_ZN9rocsparseL41csrmvn_lrb_medium_rows_warp_reduce_kernelILj256ELj32EllfdddEEvbT1_lPT2_S3_jNS_24const_host_device_scalarIT6_EEPKS1_PKS2_PKT3_PKT4_S6_PT5_21rocsparse_index_base_b
                                        ; -- End function
	.section	.AMDGPU.csdata,"",@progbits
; Kernel info:
; codeLenInByte = 808
; NumSgprs: 20
; NumVgprs: 24
; NumAgprs: 0
; TotalNumVgprs: 24
; ScratchSize: 0
; MemoryBound: 0
; FloatMode: 240
; IeeeMode: 1
; LDSByteSize: 0 bytes/workgroup (compile time only)
; SGPRBlocks: 2
; VGPRBlocks: 2
; NumSGPRsForWavesPerEU: 20
; NumVGPRsForWavesPerEU: 24
; AccumOffset: 24
; Occupancy: 8
; WaveLimiterHint : 1
; COMPUTE_PGM_RSRC2:SCRATCH_EN: 0
; COMPUTE_PGM_RSRC2:USER_SGPR: 6
; COMPUTE_PGM_RSRC2:TRAP_HANDLER: 0
; COMPUTE_PGM_RSRC2:TGID_X_EN: 1
; COMPUTE_PGM_RSRC2:TGID_Y_EN: 0
; COMPUTE_PGM_RSRC2:TGID_Z_EN: 0
; COMPUTE_PGM_RSRC2:TIDIG_COMP_CNT: 0
; COMPUTE_PGM_RSRC3_GFX90A:ACCUM_OFFSET: 5
; COMPUTE_PGM_RSRC3_GFX90A:TG_SPLIT: 0
	.section	.text._ZN9rocsparseL41csrmvn_lrb_medium_rows_warp_reduce_kernelILj256ELj64EllfdddEEvbT1_lPT2_S3_jNS_24const_host_device_scalarIT6_EEPKS1_PKS2_PKT3_PKT4_S6_PT5_21rocsparse_index_base_b,"axG",@progbits,_ZN9rocsparseL41csrmvn_lrb_medium_rows_warp_reduce_kernelILj256ELj64EllfdddEEvbT1_lPT2_S3_jNS_24const_host_device_scalarIT6_EEPKS1_PKS2_PKT3_PKT4_S6_PT5_21rocsparse_index_base_b,comdat
	.globl	_ZN9rocsparseL41csrmvn_lrb_medium_rows_warp_reduce_kernelILj256ELj64EllfdddEEvbT1_lPT2_S3_jNS_24const_host_device_scalarIT6_EEPKS1_PKS2_PKT3_PKT4_S6_PT5_21rocsparse_index_base_b ; -- Begin function _ZN9rocsparseL41csrmvn_lrb_medium_rows_warp_reduce_kernelILj256ELj64EllfdddEEvbT1_lPT2_S3_jNS_24const_host_device_scalarIT6_EEPKS1_PKS2_PKT3_PKT4_S6_PT5_21rocsparse_index_base_b
	.p2align	8
	.type	_ZN9rocsparseL41csrmvn_lrb_medium_rows_warp_reduce_kernelILj256ELj64EllfdddEEvbT1_lPT2_S3_jNS_24const_host_device_scalarIT6_EEPKS1_PKS2_PKT3_PKT4_S6_PT5_21rocsparse_index_base_b,@function
_ZN9rocsparseL41csrmvn_lrb_medium_rows_warp_reduce_kernelILj256ELj64EllfdddEEvbT1_lPT2_S3_jNS_24const_host_device_scalarIT6_EEPKS1_PKS2_PKT3_PKT4_S6_PT5_21rocsparse_index_base_b: ; @_ZN9rocsparseL41csrmvn_lrb_medium_rows_warp_reduce_kernelILj256ELj64EllfdddEEvbT1_lPT2_S3_jNS_24const_host_device_scalarIT6_EEPKS1_PKS2_PKT3_PKT4_S6_PT5_21rocsparse_index_base_b
; %bb.0:
	s_load_dwordx2 s[2:3], s[4:5], 0x68
	s_load_dwordx2 s[10:11], s[4:5], 0x30
	;; [unrolled: 1-line block ×3, first 2 shown]
	s_waitcnt lgkmcnt(0)
	s_bitcmp1_b32 s3, 0
	s_cselect_b64 s[12:13], -1, 0
	s_xor_b64 s[8:9], s[12:13], -1
	s_and_b64 vcc, exec, s[12:13]
	v_pk_mov_b32 v[4:5], s[10:11], s[10:11] op_sel:[0,1]
	s_cbranch_vccnz .LBB185_2
; %bb.1:
	v_pk_mov_b32 v[2:3], s[10:11], s[10:11] op_sel:[0,1]
	flat_load_dwordx2 v[4:5], v[2:3]
.LBB185_2:
	s_andn2_b64 vcc, exec, s[8:9]
	v_pk_mov_b32 v[2:3], s[0:1], s[0:1] op_sel:[0,1]
	s_cbranch_vccnz .LBB185_4
; %bb.3:
	v_pk_mov_b32 v[2:3], s[0:1], s[0:1] op_sel:[0,1]
	flat_load_dwordx2 v[2:3], v[2:3]
.LBB185_4:
	s_waitcnt vmcnt(0) lgkmcnt(0)
	v_cmp_neq_f64_e32 vcc, 0, v[4:5]
	v_cmp_neq_f64_e64 s[0:1], 1.0, v[2:3]
	s_or_b64 s[0:1], vcc, s[0:1]
	s_and_saveexec_b64 s[8:9], s[0:1]
	s_cbranch_execz .LBB185_14
; %bb.5:
	s_load_dwordx2 s[0:1], s[4:5], 0x10
	v_lshrrev_b32_e32 v1, 6, v0
	v_lshl_or_b32 v6, s6, 2, v1
	v_ashrrev_i32_e32 v7, 31, v6
	s_waitcnt lgkmcnt(0)
	v_cmp_gt_i64_e32 vcc, s[0:1], v[6:7]
	s_and_b64 exec, exec, vcc
	s_cbranch_execz .LBB185_14
; %bb.6:
	s_load_dword s0, s[4:5], 0x28
	s_load_dwordx4 s[8:11], s[4:5], 0x18
	s_mov_b32 s1, 0
	v_lshlrev_b64 v[6:7], 3, v[6:7]
	v_and_b32_e32 v16, 63, v0
	s_waitcnt lgkmcnt(0)
	s_lshl_b64 s[6:7], s[0:1], 3
	s_add_u32 s6, s10, s6
	s_addc_u32 s7, s11, s7
	s_load_dwordx2 s[6:7], s[6:7], 0x0
	s_waitcnt lgkmcnt(0)
	s_lshl_b64 s[6:7], s[6:7], 3
	s_add_u32 s0, s8, s6
	s_addc_u32 s3, s9, s7
	v_mov_b32_e32 v1, s3
	v_add_co_u32_e32 v6, vcc, s0, v6
	v_addc_co_u32_e32 v7, vcc, v1, v7, vcc
	global_load_dwordx2 v[6:7], v[6:7], off
	s_load_dwordx2 s[6:7], s[4:5], 0x38
	s_waitcnt lgkmcnt(0)
	v_mov_b32_e32 v1, s7
	s_waitcnt vmcnt(0)
	v_lshlrev_b64 v[6:7], 3, v[6:7]
	v_add_co_u32_e32 v8, vcc, s6, v6
	v_addc_co_u32_e32 v9, vcc, v1, v7, vcc
	global_load_dwordx4 v[8:11], v[8:9], off
	v_subrev_co_u32_e32 v12, vcc, s2, v16
	s_load_dwordx2 s[6:7], s[4:5], 0x60
	v_subb_co_u32_e64 v13, s[8:9], 0, 0, vcc
	s_waitcnt vmcnt(0)
	v_subrev_co_u32_e32 v0, vcc, s2, v10
	v_subbrev_co_u32_e32 v1, vcc, 0, v11, vcc
	v_add_co_u32_e32 v8, vcc, v8, v12
	v_addc_co_u32_e32 v9, vcc, v9, v13, vcc
	v_cmp_lt_i64_e32 vcc, v[8:9], v[0:1]
	v_pk_mov_b32 v[10:11], 0, 0
	s_and_saveexec_b64 s[8:9], vcc
	s_cbranch_execz .LBB185_10
; %bb.7:
	s_load_dwordx4 s[12:15], s[4:5], 0x40
	s_load_dwordx2 s[10:11], s[4:5], 0x50
	v_lshlrev_b64 v[10:11], 2, v[8:9]
	s_mov_b64 s[4:5], 0
	v_mov_b32_e32 v17, s1
	s_waitcnt lgkmcnt(0)
	v_mov_b32_e32 v13, s15
	v_add_co_u32_e32 v12, vcc, s14, v10
	v_addc_co_u32_e32 v13, vcc, v13, v11, vcc
	v_lshlrev_b64 v[10:11], 3, v[8:9]
	v_mov_b32_e32 v15, s13
	v_add_co_u32_e32 v14, vcc, s12, v10
	v_addc_co_u32_e32 v15, vcc, v15, v11, vcc
	v_pk_mov_b32 v[10:11], 0, 0
	v_mov_b32_e32 v18, s11
.LBB185_8:                              ; =>This Inner Loop Header: Depth=1
	global_load_dwordx2 v[20:21], v[14:15], off
	global_load_dword v19, v[12:13], off
	s_waitcnt vmcnt(1)
	v_subrev_co_u32_e32 v20, vcc, s2, v20
	v_subb_co_u32_e32 v21, vcc, v21, v17, vcc
	v_lshlrev_b64 v[20:21], 3, v[20:21]
	v_add_co_u32_e32 v20, vcc, s10, v20
	v_addc_co_u32_e32 v21, vcc, v18, v21, vcc
	global_load_dwordx2 v[20:21], v[20:21], off
	v_add_co_u32_e32 v8, vcc, 64, v8
	v_addc_co_u32_e32 v9, vcc, 0, v9, vcc
	v_add_co_u32_e32 v12, vcc, 0x100, v12
	v_addc_co_u32_e32 v13, vcc, 0, v13, vcc
	s_waitcnt vmcnt(1)
	v_cvt_f64_f32_e32 v[22:23], v19
	v_add_co_u32_e32 v14, vcc, 0x200, v14
	v_cmp_ge_i64_e64 s[0:1], v[8:9], v[0:1]
	v_mul_f64 v[22:23], v[4:5], v[22:23]
	v_addc_co_u32_e32 v15, vcc, 0, v15, vcc
	s_or_b64 s[4:5], s[0:1], s[4:5]
	s_waitcnt vmcnt(0)
	v_fmac_f64_e32 v[10:11], v[22:23], v[20:21]
	s_andn2_b64 exec, exec, s[4:5]
	s_cbranch_execnz .LBB185_8
; %bb.9:
	s_or_b64 exec, exec, s[4:5]
.LBB185_10:
	s_or_b64 exec, exec, s[8:9]
	v_mov_b32_dpp v0, v10 row_shr:1 row_mask:0xf bank_mask:0xf
	v_mov_b32_dpp v1, v11 row_shr:1 row_mask:0xf bank_mask:0xf
	v_add_f64 v[0:1], v[10:11], v[0:1]
	v_cmp_eq_u32_e32 vcc, 63, v16
	s_nop 0
	v_mov_b32_dpp v4, v0 row_shr:2 row_mask:0xf bank_mask:0xf
	v_mov_b32_dpp v5, v1 row_shr:2 row_mask:0xf bank_mask:0xf
	v_add_f64 v[0:1], v[0:1], v[4:5]
	s_nop 1
	v_mov_b32_dpp v4, v0 row_shr:4 row_mask:0xf bank_mask:0xe
	v_mov_b32_dpp v5, v1 row_shr:4 row_mask:0xf bank_mask:0xe
	v_add_f64 v[0:1], v[0:1], v[4:5]
	s_nop 1
	v_mov_b32_dpp v4, v0 row_shr:8 row_mask:0xf bank_mask:0xc
	v_mov_b32_dpp v5, v1 row_shr:8 row_mask:0xf bank_mask:0xc
	v_add_f64 v[0:1], v[0:1], v[4:5]
	s_nop 1
	v_mov_b32_dpp v4, v0 row_bcast:15 row_mask:0xa bank_mask:0xf
	v_mov_b32_dpp v5, v1 row_bcast:15 row_mask:0xa bank_mask:0xf
	v_add_f64 v[0:1], v[0:1], v[4:5]
	s_nop 1
	v_mov_b32_dpp v4, v0 row_bcast:31 row_mask:0xc bank_mask:0xf
	v_mov_b32_dpp v5, v1 row_bcast:31 row_mask:0xc bank_mask:0xf
	s_and_b64 exec, exec, vcc
	s_cbranch_execz .LBB185_14
; %bb.11:
	v_add_f64 v[0:1], v[0:1], v[4:5]
	v_cmp_neq_f64_e32 vcc, 0, v[2:3]
	s_and_saveexec_b64 s[0:1], vcc
	s_cbranch_execz .LBB185_13
; %bb.12:
	s_waitcnt lgkmcnt(0)
	v_mov_b32_e32 v5, s7
	v_add_co_u32_e32 v4, vcc, s6, v6
	v_addc_co_u32_e32 v5, vcc, v5, v7, vcc
	global_load_dwordx2 v[4:5], v[4:5], off
	s_waitcnt vmcnt(0)
	v_fmac_f64_e32 v[0:1], v[2:3], v[4:5]
.LBB185_13:
	s_or_b64 exec, exec, s[0:1]
	s_waitcnt lgkmcnt(0)
	v_mov_b32_e32 v3, s7
	v_add_co_u32_e32 v2, vcc, s6, v6
	v_addc_co_u32_e32 v3, vcc, v3, v7, vcc
	global_store_dwordx2 v[2:3], v[0:1], off
.LBB185_14:
	s_endpgm
	.section	.rodata,"a",@progbits
	.p2align	6, 0x0
	.amdhsa_kernel _ZN9rocsparseL41csrmvn_lrb_medium_rows_warp_reduce_kernelILj256ELj64EllfdddEEvbT1_lPT2_S3_jNS_24const_host_device_scalarIT6_EEPKS1_PKS2_PKT3_PKT4_S6_PT5_21rocsparse_index_base_b
		.amdhsa_group_segment_fixed_size 0
		.amdhsa_private_segment_fixed_size 0
		.amdhsa_kernarg_size 112
		.amdhsa_user_sgpr_count 6
		.amdhsa_user_sgpr_private_segment_buffer 1
		.amdhsa_user_sgpr_dispatch_ptr 0
		.amdhsa_user_sgpr_queue_ptr 0
		.amdhsa_user_sgpr_kernarg_segment_ptr 1
		.amdhsa_user_sgpr_dispatch_id 0
		.amdhsa_user_sgpr_flat_scratch_init 0
		.amdhsa_user_sgpr_kernarg_preload_length 0
		.amdhsa_user_sgpr_kernarg_preload_offset 0
		.amdhsa_user_sgpr_private_segment_size 0
		.amdhsa_uses_dynamic_stack 0
		.amdhsa_system_sgpr_private_segment_wavefront_offset 0
		.amdhsa_system_sgpr_workgroup_id_x 1
		.amdhsa_system_sgpr_workgroup_id_y 0
		.amdhsa_system_sgpr_workgroup_id_z 0
		.amdhsa_system_sgpr_workgroup_info 0
		.amdhsa_system_vgpr_workitem_id 0
		.amdhsa_next_free_vgpr 24
		.amdhsa_next_free_sgpr 16
		.amdhsa_accum_offset 24
		.amdhsa_reserve_vcc 1
		.amdhsa_reserve_flat_scratch 0
		.amdhsa_float_round_mode_32 0
		.amdhsa_float_round_mode_16_64 0
		.amdhsa_float_denorm_mode_32 3
		.amdhsa_float_denorm_mode_16_64 3
		.amdhsa_dx10_clamp 1
		.amdhsa_ieee_mode 1
		.amdhsa_fp16_overflow 0
		.amdhsa_tg_split 0
		.amdhsa_exception_fp_ieee_invalid_op 0
		.amdhsa_exception_fp_denorm_src 0
		.amdhsa_exception_fp_ieee_div_zero 0
		.amdhsa_exception_fp_ieee_overflow 0
		.amdhsa_exception_fp_ieee_underflow 0
		.amdhsa_exception_fp_ieee_inexact 0
		.amdhsa_exception_int_div_zero 0
	.end_amdhsa_kernel
	.section	.text._ZN9rocsparseL41csrmvn_lrb_medium_rows_warp_reduce_kernelILj256ELj64EllfdddEEvbT1_lPT2_S3_jNS_24const_host_device_scalarIT6_EEPKS1_PKS2_PKT3_PKT4_S6_PT5_21rocsparse_index_base_b,"axG",@progbits,_ZN9rocsparseL41csrmvn_lrb_medium_rows_warp_reduce_kernelILj256ELj64EllfdddEEvbT1_lPT2_S3_jNS_24const_host_device_scalarIT6_EEPKS1_PKS2_PKT3_PKT4_S6_PT5_21rocsparse_index_base_b,comdat
.Lfunc_end185:
	.size	_ZN9rocsparseL41csrmvn_lrb_medium_rows_warp_reduce_kernelILj256ELj64EllfdddEEvbT1_lPT2_S3_jNS_24const_host_device_scalarIT6_EEPKS1_PKS2_PKT3_PKT4_S6_PT5_21rocsparse_index_base_b, .Lfunc_end185-_ZN9rocsparseL41csrmvn_lrb_medium_rows_warp_reduce_kernelILj256ELj64EllfdddEEvbT1_lPT2_S3_jNS_24const_host_device_scalarIT6_EEPKS1_PKS2_PKT3_PKT4_S6_PT5_21rocsparse_index_base_b
                                        ; -- End function
	.section	.AMDGPU.csdata,"",@progbits
; Kernel info:
; codeLenInByte = 836
; NumSgprs: 20
; NumVgprs: 24
; NumAgprs: 0
; TotalNumVgprs: 24
; ScratchSize: 0
; MemoryBound: 0
; FloatMode: 240
; IeeeMode: 1
; LDSByteSize: 0 bytes/workgroup (compile time only)
; SGPRBlocks: 2
; VGPRBlocks: 2
; NumSGPRsForWavesPerEU: 20
; NumVGPRsForWavesPerEU: 24
; AccumOffset: 24
; Occupancy: 8
; WaveLimiterHint : 1
; COMPUTE_PGM_RSRC2:SCRATCH_EN: 0
; COMPUTE_PGM_RSRC2:USER_SGPR: 6
; COMPUTE_PGM_RSRC2:TRAP_HANDLER: 0
; COMPUTE_PGM_RSRC2:TGID_X_EN: 1
; COMPUTE_PGM_RSRC2:TGID_Y_EN: 0
; COMPUTE_PGM_RSRC2:TGID_Z_EN: 0
; COMPUTE_PGM_RSRC2:TIDIG_COMP_CNT: 0
; COMPUTE_PGM_RSRC3_GFX90A:ACCUM_OFFSET: 5
; COMPUTE_PGM_RSRC3_GFX90A:TG_SPLIT: 0
	.section	.text._ZN9rocsparseL29csrmvn_lrb_medium_rows_kernelILj256EllfdddEEvbT0_PT1_S3_jNS_24const_host_device_scalarIT5_EEPKS1_PKS2_PKT2_PKT3_S6_PT4_21rocsparse_index_base_b,"axG",@progbits,_ZN9rocsparseL29csrmvn_lrb_medium_rows_kernelILj256EllfdddEEvbT0_PT1_S3_jNS_24const_host_device_scalarIT5_EEPKS1_PKS2_PKT2_PKT3_S6_PT4_21rocsparse_index_base_b,comdat
	.globl	_ZN9rocsparseL29csrmvn_lrb_medium_rows_kernelILj256EllfdddEEvbT0_PT1_S3_jNS_24const_host_device_scalarIT5_EEPKS1_PKS2_PKT2_PKT3_S6_PT4_21rocsparse_index_base_b ; -- Begin function _ZN9rocsparseL29csrmvn_lrb_medium_rows_kernelILj256EllfdddEEvbT0_PT1_S3_jNS_24const_host_device_scalarIT5_EEPKS1_PKS2_PKT2_PKT3_S6_PT4_21rocsparse_index_base_b
	.p2align	8
	.type	_ZN9rocsparseL29csrmvn_lrb_medium_rows_kernelILj256EllfdddEEvbT0_PT1_S3_jNS_24const_host_device_scalarIT5_EEPKS1_PKS2_PKT2_PKT3_S6_PT4_21rocsparse_index_base_b,@function
_ZN9rocsparseL29csrmvn_lrb_medium_rows_kernelILj256EllfdddEEvbT0_PT1_S3_jNS_24const_host_device_scalarIT5_EEPKS1_PKS2_PKT2_PKT3_S6_PT4_21rocsparse_index_base_b: ; @_ZN9rocsparseL29csrmvn_lrb_medium_rows_kernelILj256EllfdddEEvbT0_PT1_S3_jNS_24const_host_device_scalarIT5_EEPKS1_PKS2_PKT2_PKT3_S6_PT4_21rocsparse_index_base_b
; %bb.0:
	s_load_dwordx2 s[8:9], s[4:5], 0x60
	s_load_dwordx2 s[10:11], s[4:5], 0x28
	s_load_dwordx2 s[0:1], s[4:5], 0x50
	s_waitcnt lgkmcnt(0)
	s_bitcmp1_b32 s9, 0
	s_cselect_b64 s[12:13], -1, 0
	s_xor_b64 s[2:3], s[12:13], -1
	s_and_b64 vcc, exec, s[12:13]
	v_pk_mov_b32 v[4:5], s[10:11], s[10:11] op_sel:[0,1]
	s_cbranch_vccnz .LBB186_2
; %bb.1:
	v_pk_mov_b32 v[2:3], s[10:11], s[10:11] op_sel:[0,1]
	flat_load_dwordx2 v[4:5], v[2:3]
.LBB186_2:
	s_andn2_b64 vcc, exec, s[2:3]
	v_pk_mov_b32 v[2:3], s[0:1], s[0:1] op_sel:[0,1]
	s_cbranch_vccnz .LBB186_4
; %bb.3:
	v_pk_mov_b32 v[2:3], s[0:1], s[0:1] op_sel:[0,1]
	flat_load_dwordx2 v[2:3], v[2:3]
.LBB186_4:
	s_waitcnt vmcnt(0) lgkmcnt(0)
	v_cmp_neq_f64_e32 vcc, 0, v[4:5]
	v_cmp_neq_f64_e64 s[0:1], 1.0, v[2:3]
	s_or_b64 s[0:1], vcc, s[0:1]
	s_and_saveexec_b64 s[2:3], s[0:1]
	s_cbranch_execz .LBB186_29
; %bb.5:
	s_load_dword s10, s[4:5], 0x20
	s_load_dwordx4 s[0:3], s[4:5], 0x10
	s_mov_b32 s11, 0
	v_subrev_co_u32_e32 v1, vcc, s8, v0
	s_waitcnt lgkmcnt(0)
	s_lshl_b64 s[12:13], s[10:11], 3
	s_add_u32 s2, s2, s12
	s_addc_u32 s3, s3, s13
	s_load_dwordx2 s[2:3], s[2:3], 0x0
	s_ashr_i32 s7, s6, 31
	s_waitcnt lgkmcnt(0)
	s_lshl_b64 s[2:3], s[2:3], 3
	s_add_u32 s2, s0, s2
	s_addc_u32 s3, s1, s3
	s_lshl_b64 s[0:1], s[6:7], 3
	s_add_u32 s0, s2, s0
	s_addc_u32 s1, s3, s1
	s_load_dwordx2 s[6:7], s[0:1], 0x0
	s_load_dwordx2 s[12:13], s[4:5], 0x30
	;; [unrolled: 1-line block ×3, first 2 shown]
	s_waitcnt lgkmcnt(0)
	s_lshl_b64 s[6:7], s[6:7], 3
	s_add_u32 s0, s12, s6
	s_addc_u32 s1, s13, s7
	s_load_dwordx4 s[12:15], s[0:1], 0x0
	v_subb_co_u32_e64 v7, s[0:1], 0, 0, vcc
	s_mov_b32 s0, s11
	s_waitcnt lgkmcnt(0)
	s_sub_u32 s10, s14, s8
	v_mov_b32_e32 v8, s13
	v_add_co_u32_e32 v6, vcc, s12, v1
	s_subb_u32 s11, s15, 0
	v_addc_co_u32_e32 v7, vcc, v8, v7, vcc
	v_cmp_gt_i64_e32 vcc, s[10:11], v[6:7]
	v_pk_mov_b32 v[8:9], 0, 0
	s_and_saveexec_b64 s[12:13], vcc
	s_cbranch_execz .LBB186_9
; %bb.6:
	s_load_dwordx4 s[16:19], s[4:5], 0x38
	s_load_dwordx2 s[14:15], s[4:5], 0x48
	v_lshlrev_b64 v[8:9], 2, v[6:7]
	s_mov_b64 s[4:5], 0
	s_movk_i32 s9, 0x100
	s_waitcnt lgkmcnt(0)
	v_mov_b32_e32 v1, s19
	v_add_co_u32_e32 v10, vcc, s18, v8
	v_addc_co_u32_e32 v11, vcc, v1, v9, vcc
	v_lshlrev_b64 v[8:9], 3, v[6:7]
	v_mov_b32_e32 v1, s17
	v_add_co_u32_e32 v12, vcc, s16, v8
	v_addc_co_u32_e32 v13, vcc, v1, v9, vcc
	v_pk_mov_b32 v[8:9], 0, 0
	v_mov_b32_e32 v1, s0
	v_mov_b32_e32 v14, s15
.LBB186_7:                              ; =>This Inner Loop Header: Depth=1
	global_load_dwordx2 v[16:17], v[12:13], off
	global_load_dword v15, v[10:11], off
	s_waitcnt vmcnt(1)
	v_subrev_co_u32_e32 v16, vcc, s8, v16
	v_subb_co_u32_e32 v17, vcc, v17, v1, vcc
	v_lshlrev_b64 v[16:17], 3, v[16:17]
	v_add_co_u32_e32 v16, vcc, s14, v16
	v_addc_co_u32_e32 v17, vcc, v14, v17, vcc
	global_load_dwordx2 v[16:17], v[16:17], off
	v_add_co_u32_e32 v6, vcc, s9, v6
	v_addc_co_u32_e32 v7, vcc, 0, v7, vcc
	v_add_co_u32_e32 v10, vcc, 0x400, v10
	v_addc_co_u32_e32 v11, vcc, 0, v11, vcc
	s_waitcnt vmcnt(1)
	v_cvt_f64_f32_e32 v[18:19], v15
	v_add_co_u32_e32 v12, vcc, 0x800, v12
	v_cmp_le_i64_e64 s[0:1], s[10:11], v[6:7]
	v_mul_f64 v[18:19], v[4:5], v[18:19]
	v_addc_co_u32_e32 v13, vcc, 0, v13, vcc
	s_or_b64 s[4:5], s[0:1], s[4:5]
	s_waitcnt vmcnt(0)
	v_fmac_f64_e32 v[8:9], v[18:19], v[16:17]
	s_andn2_b64 exec, exec, s[4:5]
	s_cbranch_execnz .LBB186_7
; %bb.8:
	s_or_b64 exec, exec, s[4:5]
.LBB186_9:
	s_or_b64 exec, exec, s[12:13]
	s_movk_i32 s0, 0x80
	v_lshlrev_b32_e32 v1, 3, v0
	v_cmp_gt_u32_e32 vcc, s0, v0
	ds_write_b64 v1, v[8:9]
	s_waitcnt lgkmcnt(0)
	s_barrier
	s_and_saveexec_b64 s[0:1], vcc
	s_cbranch_execz .LBB186_11
; %bb.10:
	ds_read2st64_b64 v[4:7], v1 offset1:2
	s_waitcnt lgkmcnt(0)
	v_add_f64 v[4:5], v[4:5], v[6:7]
	ds_write_b64 v1, v[4:5]
.LBB186_11:
	s_or_b64 exec, exec, s[0:1]
	v_cmp_gt_u32_e32 vcc, 64, v0
	s_waitcnt lgkmcnt(0)
	s_barrier
	s_and_saveexec_b64 s[0:1], vcc
	s_cbranch_execz .LBB186_13
; %bb.12:
	ds_read2st64_b64 v[4:7], v1 offset1:1
	s_waitcnt lgkmcnt(0)
	v_add_f64 v[4:5], v[4:5], v[6:7]
	ds_write_b64 v1, v[4:5]
.LBB186_13:
	s_or_b64 exec, exec, s[0:1]
	v_cmp_gt_u32_e32 vcc, 32, v0
	s_waitcnt lgkmcnt(0)
	s_barrier
	s_and_saveexec_b64 s[0:1], vcc
	s_cbranch_execz .LBB186_15
; %bb.14:
	ds_read2_b64 v[4:7], v1 offset1:32
	s_waitcnt lgkmcnt(0)
	v_add_f64 v[4:5], v[4:5], v[6:7]
	ds_write_b64 v1, v[4:5]
.LBB186_15:
	s_or_b64 exec, exec, s[0:1]
	v_cmp_gt_u32_e32 vcc, 16, v0
	s_waitcnt lgkmcnt(0)
	s_barrier
	s_and_saveexec_b64 s[0:1], vcc
	s_cbranch_execz .LBB186_17
; %bb.16:
	ds_read2_b64 v[4:7], v1 offset1:16
	s_waitcnt lgkmcnt(0)
	v_add_f64 v[4:5], v[4:5], v[6:7]
	ds_write_b64 v1, v[4:5]
.LBB186_17:
	;; [unrolled: 12-line block ×5, first 2 shown]
	s_or_b64 exec, exec, s[0:1]
	v_cmp_eq_u32_e32 vcc, 0, v0
	s_waitcnt lgkmcnt(0)
	s_barrier
	s_and_saveexec_b64 s[0:1], vcc
	s_cbranch_execz .LBB186_25
; %bb.24:
	v_mov_b32_e32 v8, 0
	ds_read_b128 v[4:7], v8
	s_waitcnt lgkmcnt(0)
	v_add_f64 v[0:1], v[4:5], v[6:7]
	ds_write_b64 v8, v[0:1]
.LBB186_25:
	s_or_b64 exec, exec, s[0:1]
	s_waitcnt lgkmcnt(0)
	s_barrier
	s_and_b64 exec, exec, vcc
	s_cbranch_execz .LBB186_29
; %bb.26:
	v_mov_b32_e32 v4, 0
	ds_read_b64 v[0:1], v4
	v_cmp_neq_f64_e32 vcc, 0, v[2:3]
	s_and_saveexec_b64 s[0:1], vcc
	s_cbranch_execz .LBB186_28
; %bb.27:
	s_add_u32 s4, s2, s6
	s_addc_u32 s5, s3, s7
	s_load_dwordx2 s[4:5], s[4:5], 0x0
	s_waitcnt lgkmcnt(0)
	v_fmac_f64_e32 v[0:1], s[4:5], v[2:3]
.LBB186_28:
	s_or_b64 exec, exec, s[0:1]
	s_add_u32 s0, s2, s6
	s_addc_u32 s1, s3, s7
	s_waitcnt lgkmcnt(0)
	global_store_dwordx2 v4, v[0:1], s[0:1]
.LBB186_29:
	s_endpgm
	.section	.rodata,"a",@progbits
	.p2align	6, 0x0
	.amdhsa_kernel _ZN9rocsparseL29csrmvn_lrb_medium_rows_kernelILj256EllfdddEEvbT0_PT1_S3_jNS_24const_host_device_scalarIT5_EEPKS1_PKS2_PKT2_PKT3_S6_PT4_21rocsparse_index_base_b
		.amdhsa_group_segment_fixed_size 2048
		.amdhsa_private_segment_fixed_size 0
		.amdhsa_kernarg_size 104
		.amdhsa_user_sgpr_count 6
		.amdhsa_user_sgpr_private_segment_buffer 1
		.amdhsa_user_sgpr_dispatch_ptr 0
		.amdhsa_user_sgpr_queue_ptr 0
		.amdhsa_user_sgpr_kernarg_segment_ptr 1
		.amdhsa_user_sgpr_dispatch_id 0
		.amdhsa_user_sgpr_flat_scratch_init 0
		.amdhsa_user_sgpr_kernarg_preload_length 0
		.amdhsa_user_sgpr_kernarg_preload_offset 0
		.amdhsa_user_sgpr_private_segment_size 0
		.amdhsa_uses_dynamic_stack 0
		.amdhsa_system_sgpr_private_segment_wavefront_offset 0
		.amdhsa_system_sgpr_workgroup_id_x 1
		.amdhsa_system_sgpr_workgroup_id_y 0
		.amdhsa_system_sgpr_workgroup_id_z 0
		.amdhsa_system_sgpr_workgroup_info 0
		.amdhsa_system_vgpr_workitem_id 0
		.amdhsa_next_free_vgpr 20
		.amdhsa_next_free_sgpr 20
		.amdhsa_accum_offset 20
		.amdhsa_reserve_vcc 1
		.amdhsa_reserve_flat_scratch 0
		.amdhsa_float_round_mode_32 0
		.amdhsa_float_round_mode_16_64 0
		.amdhsa_float_denorm_mode_32 3
		.amdhsa_float_denorm_mode_16_64 3
		.amdhsa_dx10_clamp 1
		.amdhsa_ieee_mode 1
		.amdhsa_fp16_overflow 0
		.amdhsa_tg_split 0
		.amdhsa_exception_fp_ieee_invalid_op 0
		.amdhsa_exception_fp_denorm_src 0
		.amdhsa_exception_fp_ieee_div_zero 0
		.amdhsa_exception_fp_ieee_overflow 0
		.amdhsa_exception_fp_ieee_underflow 0
		.amdhsa_exception_fp_ieee_inexact 0
		.amdhsa_exception_int_div_zero 0
	.end_amdhsa_kernel
	.section	.text._ZN9rocsparseL29csrmvn_lrb_medium_rows_kernelILj256EllfdddEEvbT0_PT1_S3_jNS_24const_host_device_scalarIT5_EEPKS1_PKS2_PKT2_PKT3_S6_PT4_21rocsparse_index_base_b,"axG",@progbits,_ZN9rocsparseL29csrmvn_lrb_medium_rows_kernelILj256EllfdddEEvbT0_PT1_S3_jNS_24const_host_device_scalarIT5_EEPKS1_PKS2_PKT2_PKT3_S6_PT4_21rocsparse_index_base_b,comdat
.Lfunc_end186:
	.size	_ZN9rocsparseL29csrmvn_lrb_medium_rows_kernelILj256EllfdddEEvbT0_PT1_S3_jNS_24const_host_device_scalarIT5_EEPKS1_PKS2_PKT2_PKT3_S6_PT4_21rocsparse_index_base_b, .Lfunc_end186-_ZN9rocsparseL29csrmvn_lrb_medium_rows_kernelILj256EllfdddEEvbT0_PT1_S3_jNS_24const_host_device_scalarIT5_EEPKS1_PKS2_PKT2_PKT3_S6_PT4_21rocsparse_index_base_b
                                        ; -- End function
	.section	.AMDGPU.csdata,"",@progbits
; Kernel info:
; codeLenInByte = 1064
; NumSgprs: 24
; NumVgprs: 20
; NumAgprs: 0
; TotalNumVgprs: 20
; ScratchSize: 0
; MemoryBound: 0
; FloatMode: 240
; IeeeMode: 1
; LDSByteSize: 2048 bytes/workgroup (compile time only)
; SGPRBlocks: 2
; VGPRBlocks: 2
; NumSGPRsForWavesPerEU: 24
; NumVGPRsForWavesPerEU: 20
; AccumOffset: 20
; Occupancy: 8
; WaveLimiterHint : 1
; COMPUTE_PGM_RSRC2:SCRATCH_EN: 0
; COMPUTE_PGM_RSRC2:USER_SGPR: 6
; COMPUTE_PGM_RSRC2:TRAP_HANDLER: 0
; COMPUTE_PGM_RSRC2:TGID_X_EN: 1
; COMPUTE_PGM_RSRC2:TGID_Y_EN: 0
; COMPUTE_PGM_RSRC2:TGID_Z_EN: 0
; COMPUTE_PGM_RSRC2:TIDIG_COMP_CNT: 0
; COMPUTE_PGM_RSRC3_GFX90A:ACCUM_OFFSET: 4
; COMPUTE_PGM_RSRC3_GFX90A:TG_SPLIT: 0
	.section	.text._ZN9rocsparseL27csrmvn_lrb_long_rows_kernelIllfdddEEvbT_PjPT0_S4_jNS_24const_host_device_scalarIT4_EEPKS1_PKS3_PKT1_PKT2_S7_PT3_21rocsparse_index_base_b,"axG",@progbits,_ZN9rocsparseL27csrmvn_lrb_long_rows_kernelIllfdddEEvbT_PjPT0_S4_jNS_24const_host_device_scalarIT4_EEPKS1_PKS3_PKT1_PKT2_S7_PT3_21rocsparse_index_base_b,comdat
	.globl	_ZN9rocsparseL27csrmvn_lrb_long_rows_kernelIllfdddEEvbT_PjPT0_S4_jNS_24const_host_device_scalarIT4_EEPKS1_PKS3_PKT1_PKT2_S7_PT3_21rocsparse_index_base_b ; -- Begin function _ZN9rocsparseL27csrmvn_lrb_long_rows_kernelIllfdddEEvbT_PjPT0_S4_jNS_24const_host_device_scalarIT4_EEPKS1_PKS3_PKT1_PKT2_S7_PT3_21rocsparse_index_base_b
	.p2align	8
	.type	_ZN9rocsparseL27csrmvn_lrb_long_rows_kernelIllfdddEEvbT_PjPT0_S4_jNS_24const_host_device_scalarIT4_EEPKS1_PKS3_PKT1_PKT2_S7_PT3_21rocsparse_index_base_b,@function
_ZN9rocsparseL27csrmvn_lrb_long_rows_kernelIllfdddEEvbT_PjPT0_S4_jNS_24const_host_device_scalarIT4_EEPKS1_PKS3_PKT1_PKT2_S7_PT3_21rocsparse_index_base_b: ; @_ZN9rocsparseL27csrmvn_lrb_long_rows_kernelIllfdddEEvbT_PjPT0_S4_jNS_24const_host_device_scalarIT4_EEPKS1_PKS3_PKT1_PKT2_S7_PT3_21rocsparse_index_base_b
; %bb.0:
	s_load_dwordx2 s[16:17], s[4:5], 0x68
	s_load_dwordx2 s[8:9], s[4:5], 0x30
	;; [unrolled: 1-line block ×3, first 2 shown]
	s_waitcnt lgkmcnt(0)
	s_bitcmp1_b32 s17, 0
	s_cselect_b64 s[10:11], -1, 0
	s_xor_b64 s[2:3], s[10:11], -1
	s_and_b64 vcc, exec, s[10:11]
	v_pk_mov_b32 v[2:3], s[8:9], s[8:9] op_sel:[0,1]
	s_cbranch_vccnz .LBB187_2
; %bb.1:
	v_pk_mov_b32 v[2:3], s[8:9], s[8:9] op_sel:[0,1]
	flat_load_dwordx2 v[2:3], v[2:3]
.LBB187_2:
	s_andn2_b64 vcc, exec, s[2:3]
	v_pk_mov_b32 v[6:7], s[0:1], s[0:1] op_sel:[0,1]
	s_cbranch_vccnz .LBB187_4
; %bb.3:
	v_pk_mov_b32 v[4:5], s[0:1], s[0:1] op_sel:[0,1]
	flat_load_dwordx2 v[6:7], v[4:5]
.LBB187_4:
	s_waitcnt vmcnt(0) lgkmcnt(0)
	v_cmp_neq_f64_e32 vcc, 0, v[2:3]
	v_cmp_neq_f64_e64 s[0:1], 1.0, v[6:7]
	s_or_b64 s[0:1], vcc, s[0:1]
	s_and_saveexec_b64 s[2:3], s[0:1]
	s_cbranch_execz .LBB187_39
; %bb.5:
	s_load_dword s0, s[4:5], 0x28
	s_load_dwordx2 s[2:3], s[4:5], 0x20
	s_mov_b32 s27, 0
	s_mov_b32 s1, s27
	v_pk_mov_b32 v[4:5], 0, 0
	s_waitcnt lgkmcnt(0)
	s_lshl_b64 s[8:9], s[0:1], 3
	s_add_u32 s2, s2, s8
	s_addc_u32 s3, s3, s9
	s_lshl_b32 s0, -1, s0
	s_not_b32 s0, s0
	s_mul_hi_u32 s0, s0, 0x2aaaaaab
	s_lshr_b32 s0, s0, 7
	s_add_i32 s7, s0, 1
	v_cvt_f32_u32_e32 v1, s7
	s_not_b32 s0, s0
	s_load_dwordx2 s[2:3], s[2:3], 0x0
	v_rcp_iflag_f32_e32 v1, v1
	s_load_dwordx4 s[8:11], s[4:5], 0x10
	v_mul_f32_e32 v1, 0x4f7ffffe, v1
	v_cvt_u32_f32_e32 v1, v1
	v_readfirstlane_b32 s12, v1
	s_mul_i32 s0, s0, s12
	s_mul_hi_u32 s0, s12, s0
	s_add_i32 s12, s12, s0
	s_mul_hi_u32 s0, s6, s12
	s_mul_i32 s12, s0, s7
	s_sub_i32 s12, s6, s12
	s_add_i32 s13, s0, 1
	s_sub_i32 s14, s12, s7
	s_cmp_ge_u32 s12, s7
	s_cselect_b32 s0, s13, s0
	s_cselect_b32 s12, s14, s12
	s_add_i32 s13, s0, 1
	s_cmp_ge_u32 s12, s7
	s_cselect_b32 s0, s13, s0
	s_mul_i32 s7, s0, s7
	s_waitcnt lgkmcnt(0)
	s_lshl_b64 s[2:3], s[2:3], 3
	s_sub_i32 s17, s6, s7
	s_add_u32 s2, s10, s2
	s_addc_u32 s3, s11, s3
	s_lshl_b64 s[0:1], s[0:1], 3
	s_add_u32 s0, s2, s0
	s_addc_u32 s1, s3, s1
	s_load_dwordx2 s[2:3], s[0:1], 0x0
	s_load_dwordx2 s[14:15], s[4:5], 0x38
	;; [unrolled: 1-line block ×3, first 2 shown]
	v_or_b32_e32 v1, s17, v0
	v_cmp_eq_u32_e32 vcc, 0, v1
	s_waitcnt lgkmcnt(0)
	s_lshl_b64 s[12:13], s[2:3], 3
	s_add_u32 s0, s14, s12
	s_addc_u32 s1, s15, s13
	s_ashr_i32 s7, s6, 31
	s_sub_u32 s14, s6, s17
	s_subb_u32 s15, s7, 0
	s_lshl_b64 s[6:7], s[6:7], 2
	s_add_u32 s6, s8, s6
	s_addc_u32 s7, s9, s7
	s_load_dwordx4 s[0:3], s[0:1], 0x0
	s_nop 0
	s_load_dword s26, s[6:7], 0x0
	s_and_saveexec_b64 s[18:19], vcc
	s_cbranch_execz .LBB187_9
; %bb.6:
	s_add_u32 s20, s10, s12
	s_addc_u32 s21, s11, s13
	s_load_dwordx2 s[20:21], s[20:21], 0x0
	s_mov_b64 s[22:23], exec
	v_mbcnt_lo_u32_b32 v1, s22, 0
	v_mbcnt_hi_u32_b32 v1, s23, v1
	v_add_f64 v[4:5], v[6:7], -1.0
	v_cmp_eq_u32_e32 vcc, 0, v1
	s_waitcnt vmcnt(0) expcnt(0) lgkmcnt(0)
	s_and_saveexec_b64 s[24:25], vcc
	s_cbranch_execz .LBB187_8
; %bb.7:
	s_lshl_b64 s[28:29], s[14:15], 2
	s_add_u32 s28, s8, s28
	s_addc_u32 s29, s9, s29
	s_bcnt1_i32_b64 s22, s[22:23]
	s_and_b32 s22, s22, 1
	v_mov_b32_e32 v1, 0
	v_mov_b32_e32 v6, s22
	global_atomic_xor v1, v6, s[28:29]
.LBB187_8:
	s_or_b64 exec, exec, s[24:25]
	v_mul_f64 v[4:5], v[4:5], s[20:21]
.LBB187_9:
	s_or_b64 exec, exec, s[18:19]
	s_waitcnt lgkmcnt(0)
	s_sub_u32 s0, s0, s16
	s_mul_i32 s19, s17, 0x300
	s_subb_u32 s1, s1, 0
	s_mul_hi_u32 s18, s17, 0x300
	s_add_u32 s20, s0, s19
	s_addc_u32 s21, s1, s18
	s_sub_u32 s0, s2, s16
	s_subb_u32 s1, s3, 0
	s_add_u32 s2, s20, 0x300
	s_addc_u32 s3, s21, 0
	v_pk_mov_b32 v[6:7], s[0:1], s[0:1] op_sel:[0,1]
	v_cmp_lt_i64_e32 vcc, s[2:3], v[6:7]
	s_and_b64 s[18:19], vcc, exec
	v_mov_b32_e32 v1, s21
	v_add_co_u32_e32 v6, vcc, s20, v0
	s_cselect_b32 s3, s3, s1
	s_cselect_b32 s2, s2, s0
	v_addc_co_u32_e32 v7, vcc, 0, v1, vcc
	v_cmp_gt_i64_e32 vcc, s[2:3], v[6:7]
	s_and_saveexec_b64 s[18:19], vcc
	s_cbranch_execz .LBB187_13
; %bb.10:
	s_load_dwordx4 s[28:31], s[4:5], 0x40
	s_load_dwordx2 s[20:21], s[4:5], 0x50
	v_lshlrev_b64 v[8:9], 2, v[6:7]
	v_lshlrev_b64 v[10:11], 3, v[6:7]
	s_mov_b64 s[4:5], 0
	s_waitcnt lgkmcnt(0)
	v_mov_b32_e32 v1, s31
	v_add_co_u32_e32 v8, vcc, s30, v8
	v_addc_co_u32_e32 v9, vcc, v1, v9, vcc
	v_mov_b32_e32 v1, s29
	v_add_co_u32_e32 v10, vcc, s28, v10
	v_addc_co_u32_e32 v11, vcc, v1, v11, vcc
	v_mov_b32_e32 v1, s27
	v_mov_b32_e32 v12, s21
	s_movk_i32 s21, 0x100
.LBB187_11:                             ; =>This Inner Loop Header: Depth=1
	global_load_dwordx2 v[14:15], v[10:11], off
	global_load_dword v13, v[8:9], off
	s_waitcnt vmcnt(1)
	v_subrev_co_u32_e32 v14, vcc, s16, v14
	v_subb_co_u32_e32 v15, vcc, v15, v1, vcc
	v_lshlrev_b64 v[14:15], 3, v[14:15]
	v_add_co_u32_e32 v14, vcc, s20, v14
	v_addc_co_u32_e32 v15, vcc, v12, v15, vcc
	global_load_dwordx2 v[14:15], v[14:15], off
	v_add_co_u32_e32 v6, vcc, s21, v6
	v_addc_co_u32_e32 v7, vcc, 0, v7, vcc
	v_add_co_u32_e32 v8, vcc, 0x400, v8
	v_addc_co_u32_e32 v9, vcc, 0, v9, vcc
	s_waitcnt vmcnt(1)
	v_cvt_f64_f32_e32 v[16:17], v13
	v_add_co_u32_e32 v10, vcc, 0x800, v10
	v_cmp_le_i64_e64 s[0:1], s[2:3], v[6:7]
	v_mul_f64 v[16:17], v[2:3], v[16:17]
	v_addc_co_u32_e32 v11, vcc, 0, v11, vcc
	s_or_b64 s[4:5], s[0:1], s[4:5]
	s_waitcnt vmcnt(0)
	v_fmac_f64_e32 v[4:5], v[16:17], v[14:15]
	s_andn2_b64 exec, exec, s[4:5]
	s_cbranch_execnz .LBB187_11
; %bb.12:
	s_or_b64 exec, exec, s[4:5]
.LBB187_13:
	s_or_b64 exec, exec, s[18:19]
	s_movk_i32 s0, 0x80
	v_lshlrev_b32_e32 v1, 3, v0
	v_cmp_gt_u32_e32 vcc, s0, v0
	ds_write_b64 v1, v[4:5]
	s_waitcnt lgkmcnt(0)
	s_barrier
	s_and_saveexec_b64 s[0:1], vcc
	s_cbranch_execz .LBB187_15
; %bb.14:
	ds_read2st64_b64 v[2:5], v1 offset1:2
	s_waitcnt lgkmcnt(0)
	v_add_f64 v[2:3], v[2:3], v[4:5]
	ds_write_b64 v1, v[2:3]
.LBB187_15:
	s_or_b64 exec, exec, s[0:1]
	v_cmp_gt_u32_e32 vcc, 64, v0
	s_waitcnt lgkmcnt(0)
	s_barrier
	s_and_saveexec_b64 s[0:1], vcc
	s_cbranch_execz .LBB187_17
; %bb.16:
	ds_read2st64_b64 v[2:5], v1 offset1:1
	s_waitcnt lgkmcnt(0)
	v_add_f64 v[2:3], v[2:3], v[4:5]
	ds_write_b64 v1, v[2:3]
.LBB187_17:
	s_or_b64 exec, exec, s[0:1]
	v_cmp_gt_u32_e32 vcc, 32, v0
	s_waitcnt lgkmcnt(0)
	s_barrier
	s_and_saveexec_b64 s[0:1], vcc
	s_cbranch_execz .LBB187_19
; %bb.18:
	ds_read2_b64 v[2:5], v1 offset1:32
	s_waitcnt lgkmcnt(0)
	v_add_f64 v[2:3], v[2:3], v[4:5]
	ds_write_b64 v1, v[2:3]
.LBB187_19:
	s_or_b64 exec, exec, s[0:1]
	v_cmp_gt_u32_e32 vcc, 16, v0
	s_waitcnt lgkmcnt(0)
	s_barrier
	s_and_saveexec_b64 s[0:1], vcc
	s_cbranch_execz .LBB187_21
; %bb.20:
	ds_read2_b64 v[2:5], v1 offset1:16
	s_waitcnt lgkmcnt(0)
	v_add_f64 v[2:3], v[2:3], v[4:5]
	ds_write_b64 v1, v[2:3]
.LBB187_21:
	;; [unrolled: 12-line block ×5, first 2 shown]
	s_or_b64 exec, exec, s[0:1]
	v_cmp_eq_u32_e32 vcc, 0, v0
	s_waitcnt lgkmcnt(0)
	s_barrier
	s_and_saveexec_b64 s[0:1], vcc
	s_cbranch_execz .LBB187_29
; %bb.28:
	v_mov_b32_e32 v4, 0
	ds_read_b128 v[0:3], v4
	s_waitcnt lgkmcnt(0)
	v_add_f64 v[0:1], v[0:1], v[2:3]
	ds_write_b64 v4, v[0:1]
.LBB187_29:
	s_or_b64 exec, exec, s[0:1]
	s_waitcnt lgkmcnt(0)
	s_barrier
	s_and_b64 exec, exec, vcc
	s_cbranch_execz .LBB187_39
; %bb.30:
	s_cmp_eq_u32 s17, 0
	s_cbranch_scc1 .LBB187_36
; %bb.31:
	s_lshl_b64 s[0:1], s[14:15], 2
	s_add_u32 s0, s8, s0
	s_addc_u32 s1, s9, s1
	v_mov_b32_e32 v0, 0
	s_branch .LBB187_33
.LBB187_32:                             ;   in Loop: Header=BB187_33 Depth=1
	s_or_b64 exec, exec, s[2:3]
	s_waitcnt vmcnt(0)
	v_readfirstlane_b32 s2, v1
	s_cmp_eq_u32 s2, s26
	s_cbranch_scc0 .LBB187_35
.LBB187_33:                             ; =>This Inner Loop Header: Depth=1
	v_mbcnt_lo_u32_b32 v1, exec_lo, 0
	v_mbcnt_hi_u32_b32 v1, exec_hi, v1
	v_cmp_eq_u32_e32 vcc, 0, v1
                                        ; implicit-def: $vgpr1
	s_and_saveexec_b64 s[2:3], vcc
	s_cbranch_execz .LBB187_32
; %bb.34:                               ;   in Loop: Header=BB187_33 Depth=1
	global_load_dword v1, v0, s[0:1] glc
	s_branch .LBB187_32
.LBB187_35:
	v_mov_b32_e32 v0, 0
	global_load_dword v1, v0, s[6:7]
	s_waitcnt vmcnt(0)
	v_xor_b32_e32 v1, 1, v1
	global_store_dword v0, v1, s[6:7]
.LBB187_36:
	s_mov_b64 s[2:3], exec
	v_mbcnt_lo_u32_b32 v0, s2, 0
	v_mbcnt_hi_u32_b32 v0, s3, v0
	v_cmp_eq_u32_e32 vcc, 0, v0
	s_and_b64 s[0:1], exec, vcc
	s_mov_b64 exec, s[0:1]
	s_cbranch_execz .LBB187_39
; %bb.37:
	s_add_u32 s0, s10, s12
	s_addc_u32 s1, s11, s13
	v_mov_b32_e32 v6, 0
	global_load_dwordx2 v[2:3], v6, s[0:1]
	ds_read_b64 v[0:1], v6
	s_bcnt1_i32_b64 s2, s[2:3]
	v_cvt_f64_u32_e32 v[4:5], s2
	s_mov_b64 s[2:3], 0
	s_waitcnt lgkmcnt(0)
	v_mul_f64 v[4:5], v[0:1], v[4:5]
.LBB187_38:                             ; =>This Inner Loop Header: Depth=1
	s_waitcnt vmcnt(0)
	v_add_f64 v[0:1], v[2:3], v[4:5]
	global_atomic_cmpswap_x2 v[0:1], v6, v[0:3], s[0:1] glc
	s_waitcnt vmcnt(0)
	v_cmp_eq_u64_e32 vcc, v[0:1], v[2:3]
	s_or_b64 s[2:3], vcc, s[2:3]
	v_pk_mov_b32 v[2:3], v[0:1], v[0:1] op_sel:[0,1]
	s_andn2_b64 exec, exec, s[2:3]
	s_cbranch_execnz .LBB187_38
.LBB187_39:
	s_endpgm
	.section	.rodata,"a",@progbits
	.p2align	6, 0x0
	.amdhsa_kernel _ZN9rocsparseL27csrmvn_lrb_long_rows_kernelIllfdddEEvbT_PjPT0_S4_jNS_24const_host_device_scalarIT4_EEPKS1_PKS3_PKT1_PKT2_S7_PT3_21rocsparse_index_base_b
		.amdhsa_group_segment_fixed_size 2048
		.amdhsa_private_segment_fixed_size 0
		.amdhsa_kernarg_size 112
		.amdhsa_user_sgpr_count 6
		.amdhsa_user_sgpr_private_segment_buffer 1
		.amdhsa_user_sgpr_dispatch_ptr 0
		.amdhsa_user_sgpr_queue_ptr 0
		.amdhsa_user_sgpr_kernarg_segment_ptr 1
		.amdhsa_user_sgpr_dispatch_id 0
		.amdhsa_user_sgpr_flat_scratch_init 0
		.amdhsa_user_sgpr_kernarg_preload_length 0
		.amdhsa_user_sgpr_kernarg_preload_offset 0
		.amdhsa_user_sgpr_private_segment_size 0
		.amdhsa_uses_dynamic_stack 0
		.amdhsa_system_sgpr_private_segment_wavefront_offset 0
		.amdhsa_system_sgpr_workgroup_id_x 1
		.amdhsa_system_sgpr_workgroup_id_y 0
		.amdhsa_system_sgpr_workgroup_id_z 0
		.amdhsa_system_sgpr_workgroup_info 0
		.amdhsa_system_vgpr_workitem_id 0
		.amdhsa_next_free_vgpr 18
		.amdhsa_next_free_sgpr 32
		.amdhsa_accum_offset 20
		.amdhsa_reserve_vcc 1
		.amdhsa_reserve_flat_scratch 0
		.amdhsa_float_round_mode_32 0
		.amdhsa_float_round_mode_16_64 0
		.amdhsa_float_denorm_mode_32 3
		.amdhsa_float_denorm_mode_16_64 3
		.amdhsa_dx10_clamp 1
		.amdhsa_ieee_mode 1
		.amdhsa_fp16_overflow 0
		.amdhsa_tg_split 0
		.amdhsa_exception_fp_ieee_invalid_op 0
		.amdhsa_exception_fp_denorm_src 0
		.amdhsa_exception_fp_ieee_div_zero 0
		.amdhsa_exception_fp_ieee_overflow 0
		.amdhsa_exception_fp_ieee_underflow 0
		.amdhsa_exception_fp_ieee_inexact 0
		.amdhsa_exception_int_div_zero 0
	.end_amdhsa_kernel
	.section	.text._ZN9rocsparseL27csrmvn_lrb_long_rows_kernelIllfdddEEvbT_PjPT0_S4_jNS_24const_host_device_scalarIT4_EEPKS1_PKS3_PKT1_PKT2_S7_PT3_21rocsparse_index_base_b,"axG",@progbits,_ZN9rocsparseL27csrmvn_lrb_long_rows_kernelIllfdddEEvbT_PjPT0_S4_jNS_24const_host_device_scalarIT4_EEPKS1_PKS3_PKT1_PKT2_S7_PT3_21rocsparse_index_base_b,comdat
.Lfunc_end187:
	.size	_ZN9rocsparseL27csrmvn_lrb_long_rows_kernelIllfdddEEvbT_PjPT0_S4_jNS_24const_host_device_scalarIT4_EEPKS1_PKS3_PKT1_PKT2_S7_PT3_21rocsparse_index_base_b, .Lfunc_end187-_ZN9rocsparseL27csrmvn_lrb_long_rows_kernelIllfdddEEvbT_PjPT0_S4_jNS_24const_host_device_scalarIT4_EEPKS1_PKS3_PKT1_PKT2_S7_PT3_21rocsparse_index_base_b
                                        ; -- End function
	.section	.AMDGPU.csdata,"",@progbits
; Kernel info:
; codeLenInByte = 1576
; NumSgprs: 36
; NumVgprs: 18
; NumAgprs: 0
; TotalNumVgprs: 18
; ScratchSize: 0
; MemoryBound: 0
; FloatMode: 240
; IeeeMode: 1
; LDSByteSize: 2048 bytes/workgroup (compile time only)
; SGPRBlocks: 4
; VGPRBlocks: 2
; NumSGPRsForWavesPerEU: 36
; NumVGPRsForWavesPerEU: 18
; AccumOffset: 20
; Occupancy: 8
; WaveLimiterHint : 1
; COMPUTE_PGM_RSRC2:SCRATCH_EN: 0
; COMPUTE_PGM_RSRC2:USER_SGPR: 6
; COMPUTE_PGM_RSRC2:TRAP_HANDLER: 0
; COMPUTE_PGM_RSRC2:TGID_X_EN: 1
; COMPUTE_PGM_RSRC2:TGID_Y_EN: 0
; COMPUTE_PGM_RSRC2:TGID_Z_EN: 0
; COMPUTE_PGM_RSRC2:TIDIG_COMP_CNT: 0
; COMPUTE_PGM_RSRC3_GFX90A:ACCUM_OFFSET: 4
; COMPUTE_PGM_RSRC3_GFX90A:TG_SPLIT: 0
	.section	.text._ZN9rocsparseL28csrmvn_lrb_short_rows_kernelIiid21rocsparse_complex_numIdES2_S2_EEvbT_PT0_S5_jNS_24const_host_device_scalarIT4_EEPKS3_PKS4_PKT1_PKT2_S8_PT3_21rocsparse_index_base_b,"axG",@progbits,_ZN9rocsparseL28csrmvn_lrb_short_rows_kernelIiid21rocsparse_complex_numIdES2_S2_EEvbT_PT0_S5_jNS_24const_host_device_scalarIT4_EEPKS3_PKS4_PKT1_PKT2_S8_PT3_21rocsparse_index_base_b,comdat
	.globl	_ZN9rocsparseL28csrmvn_lrb_short_rows_kernelIiid21rocsparse_complex_numIdES2_S2_EEvbT_PT0_S5_jNS_24const_host_device_scalarIT4_EEPKS3_PKS4_PKT1_PKT2_S8_PT3_21rocsparse_index_base_b ; -- Begin function _ZN9rocsparseL28csrmvn_lrb_short_rows_kernelIiid21rocsparse_complex_numIdES2_S2_EEvbT_PT0_S5_jNS_24const_host_device_scalarIT4_EEPKS3_PKS4_PKT1_PKT2_S8_PT3_21rocsparse_index_base_b
	.p2align	8
	.type	_ZN9rocsparseL28csrmvn_lrb_short_rows_kernelIiid21rocsparse_complex_numIdES2_S2_EEvbT_PT0_S5_jNS_24const_host_device_scalarIT4_EEPKS3_PKS4_PKT1_PKT2_S8_PT3_21rocsparse_index_base_b,@function
_ZN9rocsparseL28csrmvn_lrb_short_rows_kernelIiid21rocsparse_complex_numIdES2_S2_EEvbT_PT0_S5_jNS_24const_host_device_scalarIT4_EEPKS3_PKS4_PKT1_PKT2_S8_PT3_21rocsparse_index_base_b: ; @_ZN9rocsparseL28csrmvn_lrb_short_rows_kernelIiid21rocsparse_complex_numIdES2_S2_EEvbT_PT0_S5_jNS_24const_host_device_scalarIT4_EEPKS3_PKS4_PKT1_PKT2_S8_PT3_21rocsparse_index_base_b
; %bb.0:
	s_add_u32 flat_scratch_lo, s6, s9
	s_load_dwordx2 s[20:21], s[4:5], 0x68
	s_load_dwordx4 s[16:19], s[4:5], 0x20
	s_addc_u32 flat_scratch_hi, s7, 0
	s_add_u32 s0, s0, s9
	s_load_dwordx4 s[12:15], s[4:5], 0x50
	s_addc_u32 s1, s1, 0
	s_waitcnt lgkmcnt(0)
	s_bitcmp1_b32 s21, 0
	v_mov_b32_e32 v1, 0
	v_mov_b32_e32 v3, s16
	s_cselect_b64 s[6:7], -1, 0
	v_cndmask_b32_e64 v2, v3, v1, s[6:7]
	v_mov_b32_e32 v1, s17
	s_mov_b64 s[10:11], src_private_base
	s_and_b64 vcc, s[6:7], exec
	buffer_store_dword v1, off, s[0:3], 0 offset:4
	buffer_store_dword v3, off, s[0:3], 0
	v_mov_b32_e32 v1, s13
	s_cselect_b32 s9, s11, s17
	buffer_store_dword v1, off, s[0:3], 0 offset:12
	v_mov_b32_e32 v1, s12
	buffer_store_dword v1, off, s[0:3], 0 offset:8
	v_mov_b32_e32 v3, s9
	flat_load_dwordx2 v[2:3], v[2:3]
	s_xor_b64 s[22:23], s[6:7], -1
	v_pk_mov_b32 v[8:9], s[18:19], s[18:19] op_sel:[0,1]
	s_cbranch_vccnz .LBB188_2
; %bb.1:
	v_pk_mov_b32 v[4:5], s[16:17], s[16:17] op_sel:[0,1]
	flat_load_dwordx2 v[8:9], v[4:5] offset:8
.LBB188_2:
	s_and_b64 s[16:17], s[6:7], exec
	s_cselect_b32 s9, s11, s13
	v_mov_b32_e32 v1, 8
	v_mov_b32_e32 v4, s12
	v_cndmask_b32_e64 v4, v4, v1, s[6:7]
	v_mov_b32_e32 v5, s9
	flat_load_dwordx2 v[4:5], v[4:5]
	s_andn2_b64 vcc, exec, s[22:23]
	v_pk_mov_b32 v[6:7], s[14:15], s[14:15] op_sel:[0,1]
	s_cbranch_vccnz .LBB188_4
; %bb.3:
	v_pk_mov_b32 v[6:7], s[12:13], s[12:13] op_sel:[0,1]
	flat_load_dwordx2 v[6:7], v[6:7] offset:8
.LBB188_4:
	s_waitcnt vmcnt(0) lgkmcnt(0)
	v_cmp_eq_f64_e32 vcc, 0, v[2:3]
	v_cmp_eq_f64_e64 s[6:7], 0, v[8:9]
	s_and_b64 s[12:13], vcc, s[6:7]
	s_mov_b64 s[6:7], -1
	s_and_saveexec_b64 s[10:11], s[12:13]
; %bb.5:
	v_cmp_neq_f64_e32 vcc, 1.0, v[4:5]
	v_cmp_neq_f64_e64 s[6:7], 0, v[6:7]
	s_or_b64 s[6:7], vcc, s[6:7]
	s_orn2_b64 s[6:7], s[6:7], exec
; %bb.6:
	s_or_b64 exec, exec, s[10:11]
	s_and_saveexec_b64 s[10:11], s[6:7]
	s_cbranch_execz .LBB188_20
; %bb.7:
	s_load_dword s6, s[4:5], 0x18
	s_load_dwordx4 s[16:19], s[4:5], 0x8
	s_mov_b32 s7, 0
	s_mov_b32 s11, s7
	s_waitcnt lgkmcnt(0)
	s_lshl_b64 s[12:13], s[6:7], 2
	s_add_u32 s12, s18, s12
	s_addc_u32 s13, s19, s13
	s_add_i32 s10, s6, 1
	s_lshl_b64 s[10:11], s[10:11], 2
	s_add_u32 s10, s18, s10
	s_addc_u32 s11, s19, s11
	s_load_dword s21, s[12:13], 0x0
	s_load_dword s9, s[10:11], 0x0
	s_lshl_b32 s24, s8, 8
	s_waitcnt lgkmcnt(0)
	s_sub_i32 s8, s9, s21
	s_add_i32 s9, s24, 0x100
	s_min_u32 s25, s8, s9
	s_cmp_gt_u32 s6, 23
	s_cbranch_scc1 .LBB188_14
; %bb.8:
	s_load_dwordx8 s[8:15], s[4:5], 0x30
	s_mov_b32 s18, 0
	v_bfe_u32 v1, v0, 0, s6
	s_brev_b32 s19, 1
	s_lshl_b32 s26, 0x100, s6
	v_subrev_u32_e32 v22, s20, v1
	v_mul_f64 v[10:11], v[8:9], s[18:19]
	v_mul_f64 v[12:13], v[2:3], 0
	v_lshl_add_u32 v23, v0, 4, 0
	v_mov_b32_e32 v15, 0
	s_branch .LBB188_11
.LBB188_9:                              ;   in Loop: Header=BB188_11 Depth=1
	s_or_b64 exec, exec, s[22:23]
	ds_write2_b64 v23, v[16:17], v[18:19] offset1:1
.LBB188_10:                             ;   in Loop: Header=BB188_11 Depth=1
	s_or_b64 exec, exec, s[18:19]
	s_addk_i32 s7, 0x100
	s_cmp_ge_u32 s7, s26
	v_add_u32_e32 v23, 0x1000, v23
	s_cbranch_scc1 .LBB188_14
.LBB188_11:                             ; =>This Inner Loop Header: Depth=1
	v_add_u32_e32 v14, s7, v0
	v_lshrrev_b32_e32 v14, s6, v14
	v_add_u32_e32 v14, s24, v14
	v_cmp_gt_u32_e32 vcc, s25, v14
	s_and_saveexec_b64 s[18:19], vcc
	s_cbranch_execz .LBB188_10
; %bb.12:                               ;   in Loop: Header=BB188_11 Depth=1
	v_add_u32_e32 v14, s21, v14
	v_lshlrev_b64 v[16:17], 2, v[14:15]
	v_mov_b32_e32 v14, s17
	v_add_co_u32_e32 v16, vcc, s16, v16
	v_addc_co_u32_e32 v17, vcc, v14, v17, vcc
	global_load_dword v16, v[16:17], off
	s_waitcnt lgkmcnt(0)
	v_mov_b32_e32 v14, s9
	s_waitcnt vmcnt(0)
	v_ashrrev_i32_e32 v17, 31, v16
	v_lshlrev_b64 v[16:17], 2, v[16:17]
	v_add_co_u32_e32 v16, vcc, s8, v16
	v_addc_co_u32_e32 v17, vcc, v14, v17, vcc
	global_load_dwordx2 v[20:21], v[16:17], off
	v_pk_mov_b32 v[16:17], 0, 0
	v_pk_mov_b32 v[18:19], v[16:17], v[16:17] op_sel:[0,1]
	s_waitcnt vmcnt(0)
	v_sub_u32_e32 v14, v21, v20
	v_cmp_lt_u32_e32 vcc, v1, v14
	s_and_saveexec_b64 s[22:23], vcc
	s_cbranch_execz .LBB188_9
; %bb.13:                               ;   in Loop: Header=BB188_11 Depth=1
	v_add_u32_e32 v14, v22, v20
	v_lshlrev_b64 v[16:17], 2, v[14:15]
	v_mov_b32_e32 v18, s11
	v_add_co_u32_e32 v16, vcc, s10, v16
	v_addc_co_u32_e32 v17, vcc, v18, v17, vcc
	global_load_dword v18, v[16:17], off
	v_lshlrev_b64 v[16:17], 3, v[14:15]
	v_mov_b32_e32 v19, s13
	v_add_co_u32_e32 v16, vcc, s12, v16
	v_addc_co_u32_e32 v17, vcc, v19, v17, vcc
	v_mov_b32_e32 v20, s15
	global_load_dwordx2 v[16:17], v[16:17], off
	s_waitcnt vmcnt(1)
	v_subrev_u32_e32 v18, s20, v18
	v_ashrrev_i32_e32 v19, 31, v18
	v_lshlrev_b64 v[18:19], 4, v[18:19]
	v_add_co_u32_e32 v18, vcc, s14, v18
	v_addc_co_u32_e32 v19, vcc, v20, v19, vcc
	global_load_dwordx4 v[24:27], v[18:19], off
	s_waitcnt vmcnt(1)
	v_fma_f64 v[20:21], v[2:3], v[16:17], v[10:11]
	v_fma_f64 v[28:29], v[8:9], v[16:17], v[12:13]
	s_waitcnt vmcnt(0)
	v_mul_f64 v[16:17], v[26:27], -v[28:29]
	v_mul_f64 v[18:19], v[20:21], v[26:27]
	v_fmac_f64_e32 v[16:17], v[20:21], v[24:25]
	v_fmac_f64_e32 v[18:19], v[28:29], v[24:25]
	s_branch .LBB188_9
.LBB188_14:
	s_sub_i32 s7, s25, s24
	v_cmp_gt_u32_e32 vcc, s7, v0
	s_waitcnt lgkmcnt(0)
	s_barrier
	s_and_b64 exec, exec, vcc
	s_cbranch_execz .LBB188_20
; %bb.15:
	s_add_i32 s21, s21, s24
	v_add_u32_e32 v2, s21, v0
	v_mov_b32_e32 v3, 0
	v_lshlrev_b64 v[2:3], 2, v[2:3]
	v_mov_b32_e32 v1, s17
	v_add_co_u32_e32 v2, vcc, s16, v2
	v_addc_co_u32_e32 v3, vcc, v1, v3, vcc
	global_load_dword v8, v[2:3], off
	s_load_dwordx2 s[8:9], s[4:5], 0x60
	v_lshlrev_b32_e32 v0, s6, v0
	v_pk_mov_b32 v[2:3], 0, 0
	v_lshl_add_u32 v9, v0, 4, 0
	s_mov_b32 s4, 1
	v_pk_mov_b32 v[0:1], v[2:3], v[2:3] op_sel:[0,1]
.LBB188_16:                             ; =>This Inner Loop Header: Depth=1
	ds_read2_b64 v[10:13], v9 offset1:1
	s_lshr_b32 s5, s4, s6
	s_add_i32 s4, s4, 1
	v_add_u32_e32 v9, 16, v9
	s_cmp_lg_u32 s5, 0
	s_waitcnt lgkmcnt(0)
	v_add_f64 v[0:1], v[0:1], v[10:11]
	v_add_f64 v[2:3], v[2:3], v[12:13]
	s_cbranch_scc0 .LBB188_16
; %bb.17:
	v_cmp_neq_f64_e32 vcc, 0, v[4:5]
	v_cmp_neq_f64_e64 s[4:5], 0, v[6:7]
	s_waitcnt vmcnt(0)
	v_ashrrev_i32_e32 v9, 31, v8
	s_or_b64 s[6:7], vcc, s[4:5]
	v_lshlrev_b64 v[8:9], 4, v[8:9]
	s_and_saveexec_b64 s[4:5], s[6:7]
	s_cbranch_execz .LBB188_19
; %bb.18:
	v_mov_b32_e32 v11, s9
	v_add_co_u32_e32 v10, vcc, s8, v8
	v_addc_co_u32_e32 v11, vcc, v11, v9, vcc
	global_load_dwordx4 v[10:13], v[10:11], off
	s_waitcnt vmcnt(0)
	v_fmac_f64_e32 v[0:1], v[4:5], v[10:11]
	v_fmac_f64_e32 v[2:3], v[6:7], v[10:11]
	v_fma_f64 v[0:1], -v[6:7], v[12:13], v[0:1]
	v_fmac_f64_e32 v[2:3], v[4:5], v[12:13]
.LBB188_19:
	s_or_b64 exec, exec, s[4:5]
	v_mov_b32_e32 v5, s9
	v_add_co_u32_e32 v4, vcc, s8, v8
	v_addc_co_u32_e32 v5, vcc, v5, v9, vcc
	global_store_dwordx4 v[4:5], v[0:3], off
.LBB188_20:
	s_endpgm
	.section	.rodata,"a",@progbits
	.p2align	6, 0x0
	.amdhsa_kernel _ZN9rocsparseL28csrmvn_lrb_short_rows_kernelIiid21rocsparse_complex_numIdES2_S2_EEvbT_PT0_S5_jNS_24const_host_device_scalarIT4_EEPKS3_PKS4_PKT1_PKT2_S8_PT3_21rocsparse_index_base_b
		.amdhsa_group_segment_fixed_size 0
		.amdhsa_private_segment_fixed_size 24
		.amdhsa_kernarg_size 112
		.amdhsa_user_sgpr_count 8
		.amdhsa_user_sgpr_private_segment_buffer 1
		.amdhsa_user_sgpr_dispatch_ptr 0
		.amdhsa_user_sgpr_queue_ptr 0
		.amdhsa_user_sgpr_kernarg_segment_ptr 1
		.amdhsa_user_sgpr_dispatch_id 0
		.amdhsa_user_sgpr_flat_scratch_init 1
		.amdhsa_user_sgpr_kernarg_preload_length 0
		.amdhsa_user_sgpr_kernarg_preload_offset 0
		.amdhsa_user_sgpr_private_segment_size 0
		.amdhsa_uses_dynamic_stack 0
		.amdhsa_system_sgpr_private_segment_wavefront_offset 1
		.amdhsa_system_sgpr_workgroup_id_x 1
		.amdhsa_system_sgpr_workgroup_id_y 0
		.amdhsa_system_sgpr_workgroup_id_z 0
		.amdhsa_system_sgpr_workgroup_info 0
		.amdhsa_system_vgpr_workitem_id 0
		.amdhsa_next_free_vgpr 30
		.amdhsa_next_free_sgpr 27
		.amdhsa_accum_offset 32
		.amdhsa_reserve_vcc 1
		.amdhsa_reserve_flat_scratch 1
		.amdhsa_float_round_mode_32 0
		.amdhsa_float_round_mode_16_64 0
		.amdhsa_float_denorm_mode_32 3
		.amdhsa_float_denorm_mode_16_64 3
		.amdhsa_dx10_clamp 1
		.amdhsa_ieee_mode 1
		.amdhsa_fp16_overflow 0
		.amdhsa_tg_split 0
		.amdhsa_exception_fp_ieee_invalid_op 0
		.amdhsa_exception_fp_denorm_src 0
		.amdhsa_exception_fp_ieee_div_zero 0
		.amdhsa_exception_fp_ieee_overflow 0
		.amdhsa_exception_fp_ieee_underflow 0
		.amdhsa_exception_fp_ieee_inexact 0
		.amdhsa_exception_int_div_zero 0
	.end_amdhsa_kernel
	.section	.text._ZN9rocsparseL28csrmvn_lrb_short_rows_kernelIiid21rocsparse_complex_numIdES2_S2_EEvbT_PT0_S5_jNS_24const_host_device_scalarIT4_EEPKS3_PKS4_PKT1_PKT2_S8_PT3_21rocsparse_index_base_b,"axG",@progbits,_ZN9rocsparseL28csrmvn_lrb_short_rows_kernelIiid21rocsparse_complex_numIdES2_S2_EEvbT_PT0_S5_jNS_24const_host_device_scalarIT4_EEPKS3_PKS4_PKT1_PKT2_S8_PT3_21rocsparse_index_base_b,comdat
.Lfunc_end188:
	.size	_ZN9rocsparseL28csrmvn_lrb_short_rows_kernelIiid21rocsparse_complex_numIdES2_S2_EEvbT_PT0_S5_jNS_24const_host_device_scalarIT4_EEPKS3_PKS4_PKT1_PKT2_S8_PT3_21rocsparse_index_base_b, .Lfunc_end188-_ZN9rocsparseL28csrmvn_lrb_short_rows_kernelIiid21rocsparse_complex_numIdES2_S2_EEvbT_PT0_S5_jNS_24const_host_device_scalarIT4_EEPKS3_PKS4_PKT1_PKT2_S8_PT3_21rocsparse_index_base_b
                                        ; -- End function
	.section	.AMDGPU.csdata,"",@progbits
; Kernel info:
; codeLenInByte = 1052
; NumSgprs: 33
; NumVgprs: 30
; NumAgprs: 0
; TotalNumVgprs: 30
; ScratchSize: 24
; MemoryBound: 0
; FloatMode: 240
; IeeeMode: 1
; LDSByteSize: 0 bytes/workgroup (compile time only)
; SGPRBlocks: 4
; VGPRBlocks: 3
; NumSGPRsForWavesPerEU: 33
; NumVGPRsForWavesPerEU: 30
; AccumOffset: 32
; Occupancy: 8
; WaveLimiterHint : 1
; COMPUTE_PGM_RSRC2:SCRATCH_EN: 1
; COMPUTE_PGM_RSRC2:USER_SGPR: 8
; COMPUTE_PGM_RSRC2:TRAP_HANDLER: 0
; COMPUTE_PGM_RSRC2:TGID_X_EN: 1
; COMPUTE_PGM_RSRC2:TGID_Y_EN: 0
; COMPUTE_PGM_RSRC2:TGID_Z_EN: 0
; COMPUTE_PGM_RSRC2:TIDIG_COMP_CNT: 0
; COMPUTE_PGM_RSRC3_GFX90A:ACCUM_OFFSET: 7
; COMPUTE_PGM_RSRC3_GFX90A:TG_SPLIT: 0
	.section	.text._ZN9rocsparseL30csrmvn_lrb_short_rows_2_kernelIiid21rocsparse_complex_numIdES2_S2_EEvbT_PT0_S5_jNS_24const_host_device_scalarIT4_EEPKS3_PKS4_PKT1_PKT2_S8_PT3_21rocsparse_index_base_b,"axG",@progbits,_ZN9rocsparseL30csrmvn_lrb_short_rows_2_kernelIiid21rocsparse_complex_numIdES2_S2_EEvbT_PT0_S5_jNS_24const_host_device_scalarIT4_EEPKS3_PKS4_PKT1_PKT2_S8_PT3_21rocsparse_index_base_b,comdat
	.globl	_ZN9rocsparseL30csrmvn_lrb_short_rows_2_kernelIiid21rocsparse_complex_numIdES2_S2_EEvbT_PT0_S5_jNS_24const_host_device_scalarIT4_EEPKS3_PKS4_PKT1_PKT2_S8_PT3_21rocsparse_index_base_b ; -- Begin function _ZN9rocsparseL30csrmvn_lrb_short_rows_2_kernelIiid21rocsparse_complex_numIdES2_S2_EEvbT_PT0_S5_jNS_24const_host_device_scalarIT4_EEPKS3_PKS4_PKT1_PKT2_S8_PT3_21rocsparse_index_base_b
	.p2align	8
	.type	_ZN9rocsparseL30csrmvn_lrb_short_rows_2_kernelIiid21rocsparse_complex_numIdES2_S2_EEvbT_PT0_S5_jNS_24const_host_device_scalarIT4_EEPKS3_PKS4_PKT1_PKT2_S8_PT3_21rocsparse_index_base_b,@function
_ZN9rocsparseL30csrmvn_lrb_short_rows_2_kernelIiid21rocsparse_complex_numIdES2_S2_EEvbT_PT0_S5_jNS_24const_host_device_scalarIT4_EEPKS3_PKS4_PKT1_PKT2_S8_PT3_21rocsparse_index_base_b: ; @_ZN9rocsparseL30csrmvn_lrb_short_rows_2_kernelIiid21rocsparse_complex_numIdES2_S2_EEvbT_PT0_S5_jNS_24const_host_device_scalarIT4_EEPKS3_PKS4_PKT1_PKT2_S8_PT3_21rocsparse_index_base_b
; %bb.0:
	s_add_u32 flat_scratch_lo, s6, s9
	s_load_dwordx2 s[24:25], s[4:5], 0x68
	s_load_dwordx4 s[16:19], s[4:5], 0x20
	s_addc_u32 flat_scratch_hi, s7, 0
	s_add_u32 s0, s0, s9
	s_load_dwordx4 s[12:15], s[4:5], 0x50
	s_addc_u32 s1, s1, 0
	s_waitcnt lgkmcnt(0)
	s_bitcmp1_b32 s25, 0
	v_mov_b32_e32 v1, 0
	v_mov_b32_e32 v3, s16
	s_cselect_b64 s[6:7], -1, 0
	v_cndmask_b32_e64 v2, v3, v1, s[6:7]
	v_mov_b32_e32 v1, s17
	s_mov_b64 s[10:11], src_private_base
	s_and_b64 vcc, s[6:7], exec
	buffer_store_dword v1, off, s[0:3], 0 offset:4
	buffer_store_dword v3, off, s[0:3], 0
	v_mov_b32_e32 v1, s13
	s_cselect_b32 s9, s11, s17
	buffer_store_dword v1, off, s[0:3], 0 offset:12
	v_mov_b32_e32 v1, s12
	buffer_store_dword v1, off, s[0:3], 0 offset:8
	v_mov_b32_e32 v3, s9
	flat_load_dwordx2 v[10:11], v[2:3]
	s_xor_b64 s[20:21], s[6:7], -1
	v_pk_mov_b32 v[12:13], s[18:19], s[18:19] op_sel:[0,1]
	s_cbranch_vccnz .LBB189_2
; %bb.1:
	v_pk_mov_b32 v[2:3], s[16:17], s[16:17] op_sel:[0,1]
	flat_load_dwordx2 v[12:13], v[2:3] offset:8
.LBB189_2:
	s_and_b64 s[16:17], s[6:7], exec
	s_cselect_b32 s9, s11, s13
	v_mov_b32_e32 v1, 8
	v_mov_b32_e32 v2, s12
	v_cndmask_b32_e64 v2, v2, v1, s[6:7]
	v_mov_b32_e32 v3, s9
	flat_load_dwordx2 v[6:7], v[2:3]
	s_andn2_b64 vcc, exec, s[20:21]
	v_pk_mov_b32 v[8:9], s[14:15], s[14:15] op_sel:[0,1]
	s_cbranch_vccnz .LBB189_4
; %bb.3:
	v_pk_mov_b32 v[2:3], s[12:13], s[12:13] op_sel:[0,1]
	flat_load_dwordx2 v[8:9], v[2:3] offset:8
.LBB189_4:
	s_waitcnt vmcnt(0) lgkmcnt(0)
	v_cmp_eq_f64_e32 vcc, 0, v[10:11]
	v_cmp_eq_f64_e64 s[6:7], 0, v[12:13]
	s_and_b64 s[12:13], vcc, s[6:7]
	s_mov_b64 s[6:7], -1
	s_and_saveexec_b64 s[10:11], s[12:13]
; %bb.5:
	v_cmp_neq_f64_e32 vcc, 1.0, v[6:7]
	v_cmp_neq_f64_e64 s[6:7], 0, v[8:9]
	s_or_b64 s[6:7], vcc, s[6:7]
	s_orn2_b64 s[6:7], s[6:7], exec
; %bb.6:
	s_or_b64 exec, exec, s[10:11]
	s_and_saveexec_b64 s[10:11], s[6:7]
	s_cbranch_execz .LBB189_32
; %bb.7:
	s_load_dword s6, s[4:5], 0x18
	s_load_dwordx4 s[20:23], s[4:5], 0x8
	s_mov_b32 s7, 0
	s_mov_b32 s11, s7
	v_mul_f64 v[14:15], v[10:11], 0
	s_waitcnt lgkmcnt(0)
	s_lshl_b64 s[12:13], s[6:7], 2
	s_add_u32 s26, s22, s12
	s_addc_u32 s27, s23, s13
	s_add_i32 s10, s6, 1
	s_lshl_b64 s[10:11], s[10:11], 2
	s_add_u32 s28, s22, s10
	s_addc_u32 s29, s23, s11
	s_load_dword s22, s[26:27], 0x0
	s_load_dword s9, s[28:29], 0x0
	s_load_dwordx2 s[10:11], s[4:5], 0x60
	s_load_dwordx8 s[12:19], s[4:5], 0x30
	s_lshr_b32 s7, 0x400, s6
	s_mul_i32 s23, s7, s8
	s_waitcnt lgkmcnt(0)
	s_sub_i32 s4, s9, s22
	s_add_i32 s5, s23, s7
	s_min_u32 s25, s4, s5
	s_mov_b32 s4, 0
	v_lshrrev_b32_e32 v2, s6, v0
	v_bfe_u32 v22, v0, 0, s6
	s_brev_b32 s5, 1
	v_add_u32_e32 v2, s23, v2
	v_subrev_u32_e32 v1, s24, v22
	v_mul_f64 v[16:17], v[12:13], s[4:5]
	v_cmp_gt_u32_e32 vcc, s25, v2
	s_and_saveexec_b64 s[4:5], vcc
	s_cbranch_execz .LBB189_11
; %bb.8:
	v_add_u32_e32 v18, s22, v2
	v_mov_b32_e32 v19, 0
	v_lshlrev_b64 v[2:3], 2, v[18:19]
	v_mov_b32_e32 v4, s21
	v_add_co_u32_e32 v2, vcc, s20, v2
	v_addc_co_u32_e32 v3, vcc, v4, v3, vcc
	global_load_dword v2, v[2:3], off
	v_mov_b32_e32 v4, s13
	s_waitcnt vmcnt(0)
	v_ashrrev_i32_e32 v3, 31, v2
	v_lshlrev_b64 v[2:3], 2, v[2:3]
	v_add_co_u32_e32 v2, vcc, s12, v2
	v_addc_co_u32_e32 v3, vcc, v4, v3, vcc
	global_load_dwordx2 v[20:21], v[2:3], off
	v_pk_mov_b32 v[2:3], 0, 0
	s_waitcnt vmcnt(0)
	v_sub_u32_e32 v4, v21, v20
	v_cmp_lt_u32_e32 vcc, v22, v4
	v_pk_mov_b32 v[4:5], v[2:3], v[2:3] op_sel:[0,1]
	s_and_saveexec_b64 s[8:9], vcc
	s_cbranch_execz .LBB189_10
; %bb.9:
	v_add_u32_e32 v18, v20, v1
	v_lshlrev_b64 v[2:3], 2, v[18:19]
	v_mov_b32_e32 v4, s15
	v_add_co_u32_e32 v2, vcc, s14, v2
	v_addc_co_u32_e32 v3, vcc, v4, v3, vcc
	global_load_dword v4, v[2:3], off
	v_lshlrev_b64 v[2:3], 3, v[18:19]
	v_mov_b32_e32 v5, s17
	v_add_co_u32_e32 v2, vcc, s16, v2
	v_addc_co_u32_e32 v3, vcc, v5, v3, vcc
	v_mov_b32_e32 v20, s19
	global_load_dwordx2 v[2:3], v[2:3], off
	s_waitcnt vmcnt(1)
	v_subrev_u32_e32 v4, s24, v4
	v_ashrrev_i32_e32 v5, 31, v4
	v_lshlrev_b64 v[4:5], 4, v[4:5]
	v_add_co_u32_e32 v4, vcc, s18, v4
	v_addc_co_u32_e32 v5, vcc, v20, v5, vcc
	global_load_dwordx4 v[18:21], v[4:5], off
	s_waitcnt vmcnt(1)
	v_fma_f64 v[24:25], v[10:11], v[2:3], v[16:17]
	v_fma_f64 v[26:27], v[12:13], v[2:3], v[14:15]
	s_waitcnt vmcnt(0)
	v_mul_f64 v[2:3], v[20:21], -v[26:27]
	v_mul_f64 v[4:5], v[24:25], v[20:21]
	v_fmac_f64_e32 v[2:3], v[24:25], v[18:19]
	v_fmac_f64_e32 v[4:5], v[26:27], v[18:19]
.LBB189_10:
	s_or_b64 exec, exec, s[8:9]
	v_lshlrev_b32_e32 v18, 4, v0
	ds_write_b128 v18, v[2:5]
.LBB189_11:
	s_or_b64 exec, exec, s[4:5]
	v_or_b32_e32 v2, 0x100, v0
	v_lshrrev_b32_e32 v2, s6, v2
	v_add_u32_e32 v2, s23, v2
	v_cmp_gt_u32_e32 vcc, s25, v2
	s_and_saveexec_b64 s[4:5], vcc
	s_cbranch_execz .LBB189_15
; %bb.12:
	v_add_u32_e32 v18, s22, v2
	v_mov_b32_e32 v19, 0
	v_lshlrev_b64 v[2:3], 2, v[18:19]
	v_mov_b32_e32 v4, s21
	v_add_co_u32_e32 v2, vcc, s20, v2
	v_addc_co_u32_e32 v3, vcc, v4, v3, vcc
	global_load_dword v2, v[2:3], off
	v_mov_b32_e32 v4, s13
	s_waitcnt vmcnt(0)
	v_ashrrev_i32_e32 v3, 31, v2
	v_lshlrev_b64 v[2:3], 2, v[2:3]
	v_add_co_u32_e32 v2, vcc, s12, v2
	v_addc_co_u32_e32 v3, vcc, v4, v3, vcc
	global_load_dwordx2 v[20:21], v[2:3], off
	v_pk_mov_b32 v[2:3], 0, 0
	s_waitcnt vmcnt(0)
	v_sub_u32_e32 v4, v21, v20
	v_cmp_lt_u32_e32 vcc, v22, v4
	v_pk_mov_b32 v[4:5], v[2:3], v[2:3] op_sel:[0,1]
	s_and_saveexec_b64 s[8:9], vcc
	s_cbranch_execz .LBB189_14
; %bb.13:
	v_add_u32_e32 v18, v20, v1
	v_lshlrev_b64 v[2:3], 2, v[18:19]
	v_mov_b32_e32 v4, s15
	v_add_co_u32_e32 v2, vcc, s14, v2
	v_addc_co_u32_e32 v3, vcc, v4, v3, vcc
	global_load_dword v4, v[2:3], off
	v_lshlrev_b64 v[2:3], 3, v[18:19]
	v_mov_b32_e32 v5, s17
	v_add_co_u32_e32 v2, vcc, s16, v2
	v_addc_co_u32_e32 v3, vcc, v5, v3, vcc
	v_mov_b32_e32 v20, s19
	global_load_dwordx2 v[2:3], v[2:3], off
	s_waitcnt vmcnt(1)
	v_subrev_u32_e32 v4, s24, v4
	v_ashrrev_i32_e32 v5, 31, v4
	v_lshlrev_b64 v[4:5], 4, v[4:5]
	v_add_co_u32_e32 v4, vcc, s18, v4
	v_addc_co_u32_e32 v5, vcc, v20, v5, vcc
	global_load_dwordx4 v[18:21], v[4:5], off
	s_waitcnt vmcnt(1)
	v_fma_f64 v[24:25], v[10:11], v[2:3], v[16:17]
	v_fma_f64 v[26:27], v[12:13], v[2:3], v[14:15]
	s_waitcnt vmcnt(0)
	v_mul_f64 v[2:3], v[20:21], -v[26:27]
	v_mul_f64 v[4:5], v[24:25], v[20:21]
	v_fmac_f64_e32 v[2:3], v[24:25], v[18:19]
	v_fmac_f64_e32 v[4:5], v[26:27], v[18:19]
.LBB189_14:
	s_or_b64 exec, exec, s[8:9]
	v_lshlrev_b32_e32 v18, 4, v0
	ds_write_b128 v18, v[2:5] offset:4096
.LBB189_15:
	s_or_b64 exec, exec, s[4:5]
	v_or_b32_e32 v2, 0x200, v0
	v_lshrrev_b32_e32 v2, s6, v2
	v_add_u32_e32 v2, s23, v2
	v_cmp_gt_u32_e32 vcc, s25, v2
	s_and_saveexec_b64 s[4:5], vcc
	s_cbranch_execz .LBB189_19
; %bb.16:
	v_add_u32_e32 v18, s22, v2
	v_mov_b32_e32 v19, 0
	v_lshlrev_b64 v[2:3], 2, v[18:19]
	v_mov_b32_e32 v4, s21
	v_add_co_u32_e32 v2, vcc, s20, v2
	v_addc_co_u32_e32 v3, vcc, v4, v3, vcc
	global_load_dword v2, v[2:3], off
	v_mov_b32_e32 v4, s13
	s_waitcnt vmcnt(0)
	v_ashrrev_i32_e32 v3, 31, v2
	v_lshlrev_b64 v[2:3], 2, v[2:3]
	v_add_co_u32_e32 v2, vcc, s12, v2
	v_addc_co_u32_e32 v3, vcc, v4, v3, vcc
	global_load_dwordx2 v[20:21], v[2:3], off
	v_pk_mov_b32 v[2:3], 0, 0
	s_waitcnt vmcnt(0)
	v_sub_u32_e32 v4, v21, v20
	v_cmp_lt_u32_e32 vcc, v22, v4
	v_pk_mov_b32 v[4:5], v[2:3], v[2:3] op_sel:[0,1]
	s_and_saveexec_b64 s[8:9], vcc
	s_cbranch_execz .LBB189_18
; %bb.17:
	v_add_u32_e32 v18, v20, v1
	v_lshlrev_b64 v[2:3], 2, v[18:19]
	v_mov_b32_e32 v4, s15
	v_add_co_u32_e32 v2, vcc, s14, v2
	v_addc_co_u32_e32 v3, vcc, v4, v3, vcc
	global_load_dword v4, v[2:3], off
	v_lshlrev_b64 v[2:3], 3, v[18:19]
	v_mov_b32_e32 v5, s17
	v_add_co_u32_e32 v2, vcc, s16, v2
	v_addc_co_u32_e32 v3, vcc, v5, v3, vcc
	v_mov_b32_e32 v20, s19
	global_load_dwordx2 v[2:3], v[2:3], off
	s_waitcnt vmcnt(1)
	v_subrev_u32_e32 v4, s24, v4
	v_ashrrev_i32_e32 v5, 31, v4
	v_lshlrev_b64 v[4:5], 4, v[4:5]
	v_add_co_u32_e32 v4, vcc, s18, v4
	v_addc_co_u32_e32 v5, vcc, v20, v5, vcc
	global_load_dwordx4 v[18:21], v[4:5], off
	s_waitcnt vmcnt(1)
	v_fma_f64 v[24:25], v[10:11], v[2:3], v[16:17]
	v_fma_f64 v[26:27], v[12:13], v[2:3], v[14:15]
	s_waitcnt vmcnt(0)
	v_mul_f64 v[2:3], v[20:21], -v[26:27]
	v_mul_f64 v[4:5], v[24:25], v[20:21]
	v_fmac_f64_e32 v[2:3], v[24:25], v[18:19]
	v_fmac_f64_e32 v[4:5], v[26:27], v[18:19]
.LBB189_18:
	s_or_b64 exec, exec, s[8:9]
	v_lshlrev_b32_e32 v18, 4, v0
	ds_write_b128 v18, v[2:5] offset:8192
.LBB189_19:
	s_or_b64 exec, exec, s[4:5]
	v_or_b32_e32 v2, 0x300, v0
	v_lshrrev_b32_e32 v2, s6, v2
	v_add_u32_e32 v2, s23, v2
	v_cmp_gt_u32_e32 vcc, s25, v2
	s_and_saveexec_b64 s[4:5], vcc
	s_cbranch_execz .LBB189_23
; %bb.20:
	v_add_u32_e32 v18, s22, v2
	v_mov_b32_e32 v19, 0
	v_lshlrev_b64 v[2:3], 2, v[18:19]
	v_mov_b32_e32 v4, s21
	v_add_co_u32_e32 v2, vcc, s20, v2
	v_addc_co_u32_e32 v3, vcc, v4, v3, vcc
	global_load_dword v2, v[2:3], off
	v_mov_b32_e32 v4, s13
	s_waitcnt vmcnt(0)
	v_ashrrev_i32_e32 v3, 31, v2
	v_lshlrev_b64 v[2:3], 2, v[2:3]
	v_add_co_u32_e32 v2, vcc, s12, v2
	v_addc_co_u32_e32 v3, vcc, v4, v3, vcc
	global_load_dwordx2 v[20:21], v[2:3], off
	v_pk_mov_b32 v[2:3], 0, 0
	s_waitcnt vmcnt(0)
	v_sub_u32_e32 v4, v21, v20
	v_cmp_lt_u32_e32 vcc, v22, v4
	v_pk_mov_b32 v[4:5], v[2:3], v[2:3] op_sel:[0,1]
	s_and_saveexec_b64 s[8:9], vcc
	s_cbranch_execz .LBB189_22
; %bb.21:
	v_add_u32_e32 v18, v20, v1
	v_lshlrev_b64 v[2:3], 2, v[18:19]
	v_mov_b32_e32 v1, s15
	v_add_co_u32_e32 v2, vcc, s14, v2
	v_addc_co_u32_e32 v3, vcc, v1, v3, vcc
	global_load_dword v1, v[2:3], off
	v_lshlrev_b64 v[2:3], 3, v[18:19]
	v_mov_b32_e32 v4, s17
	v_add_co_u32_e32 v2, vcc, s16, v2
	v_addc_co_u32_e32 v3, vcc, v4, v3, vcc
	v_mov_b32_e32 v20, s19
	global_load_dwordx2 v[2:3], v[2:3], off
	s_waitcnt vmcnt(1)
	v_subrev_u32_e32 v4, s24, v1
	v_ashrrev_i32_e32 v5, 31, v4
	v_lshlrev_b64 v[4:5], 4, v[4:5]
	v_add_co_u32_e32 v4, vcc, s18, v4
	v_addc_co_u32_e32 v5, vcc, v20, v5, vcc
	global_load_dwordx4 v[18:21], v[4:5], off
	s_waitcnt vmcnt(1)
	v_fmac_f64_e32 v[16:17], v[10:11], v[2:3]
	v_fmac_f64_e32 v[14:15], v[12:13], v[2:3]
	s_waitcnt vmcnt(0)
	v_mul_f64 v[2:3], v[20:21], -v[14:15]
	v_mul_f64 v[4:5], v[16:17], v[20:21]
	v_fmac_f64_e32 v[2:3], v[16:17], v[18:19]
	v_fmac_f64_e32 v[4:5], v[14:15], v[18:19]
.LBB189_22:
	s_or_b64 exec, exec, s[8:9]
	v_lshlrev_b32_e32 v1, 4, v0
	ds_write_b128 v1, v[2:5] offset:12288
.LBB189_23:
	s_or_b64 exec, exec, s[4:5]
	s_cmp_lt_u32 s6, 11
	s_waitcnt lgkmcnt(0)
	s_barrier
	s_cbranch_scc0 .LBB189_32
; %bb.24:
	v_cmp_neq_f64_e32 vcc, 0, v[6:7]
	v_cmp_neq_f64_e64 s[4:5], 0, v[8:9]
	s_sub_i32 s14, s25, s23
	s_add_i32 s22, s22, s23
	s_or_b64 s[4:5], vcc, s[4:5]
	s_mov_b32 s15, 0
	v_mov_b32_e32 v11, 0
	s_branch .LBB189_27
.LBB189_25:                             ;   in Loop: Header=BB189_27 Depth=1
	s_or_b64 exec, exec, s[12:13]
	v_mov_b32_e32 v1, s11
	v_add_co_u32_e32 v12, vcc, s10, v12
	v_addc_co_u32_e32 v13, vcc, v1, v13, vcc
	global_store_dwordx4 v[12:13], v[2:5], off
.LBB189_26:                             ;   in Loop: Header=BB189_27 Depth=1
	s_or_b64 exec, exec, s[8:9]
	s_addk_i32 s15, 0x100
	s_cmp_lt_u32 s15, s7
	s_cbranch_scc0 .LBB189_32
.LBB189_27:                             ; =>This Loop Header: Depth=1
                                        ;     Child Loop BB189_29 Depth 2
	v_add_u32_e32 v1, s15, v0
	v_cmp_gt_u32_e32 vcc, s14, v1
	s_and_saveexec_b64 s[8:9], vcc
	s_cbranch_execz .LBB189_26
; %bb.28:                               ;   in Loop: Header=BB189_27 Depth=1
	v_add_u32_e32 v10, s22, v1
	v_lshlrev_b64 v[2:3], 2, v[10:11]
	v_mov_b32_e32 v4, s21
	v_add_co_u32_e32 v2, vcc, s20, v2
	v_addc_co_u32_e32 v3, vcc, v4, v3, vcc
	global_load_dword v12, v[2:3], off
	v_lshlrev_b32_e32 v1, s6, v1
	v_pk_mov_b32 v[4:5], 0, 0
	v_lshlrev_b32_e32 v1, 4, v1
	s_mov_b32 s12, 1
	v_pk_mov_b32 v[2:3], v[4:5], v[4:5] op_sel:[0,1]
.LBB189_29:                             ;   Parent Loop BB189_27 Depth=1
                                        ; =>  This Inner Loop Header: Depth=2
	ds_read_b128 v[14:17], v1
	s_lshr_b32 s13, s12, s6
	s_add_i32 s12, s12, 1
	v_add_u32_e32 v1, 16, v1
	s_cmp_lg_u32 s13, 0
	s_waitcnt lgkmcnt(0)
	v_add_f64 v[2:3], v[2:3], v[14:15]
	v_add_f64 v[4:5], v[4:5], v[16:17]
	s_cbranch_scc0 .LBB189_29
; %bb.30:                               ;   in Loop: Header=BB189_27 Depth=1
	s_waitcnt vmcnt(0)
	v_ashrrev_i32_e32 v13, 31, v12
	v_lshlrev_b64 v[12:13], 4, v[12:13]
	s_and_saveexec_b64 s[12:13], s[4:5]
	s_cbranch_execz .LBB189_25
; %bb.31:                               ;   in Loop: Header=BB189_27 Depth=1
	v_mov_b32_e32 v1, s11
	v_add_co_u32_e32 v14, vcc, s10, v12
	v_addc_co_u32_e32 v15, vcc, v1, v13, vcc
	global_load_dwordx4 v[14:17], v[14:15], off
	s_waitcnt vmcnt(0)
	v_fmac_f64_e32 v[2:3], v[6:7], v[14:15]
	v_fmac_f64_e32 v[4:5], v[8:9], v[14:15]
	v_fma_f64 v[2:3], -v[8:9], v[16:17], v[2:3]
	v_fmac_f64_e32 v[4:5], v[6:7], v[16:17]
	s_branch .LBB189_25
.LBB189_32:
	s_endpgm
	.section	.rodata,"a",@progbits
	.p2align	6, 0x0
	.amdhsa_kernel _ZN9rocsparseL30csrmvn_lrb_short_rows_2_kernelIiid21rocsparse_complex_numIdES2_S2_EEvbT_PT0_S5_jNS_24const_host_device_scalarIT4_EEPKS3_PKS4_PKT1_PKT2_S8_PT3_21rocsparse_index_base_b
		.amdhsa_group_segment_fixed_size 16384
		.amdhsa_private_segment_fixed_size 24
		.amdhsa_kernarg_size 112
		.amdhsa_user_sgpr_count 8
		.amdhsa_user_sgpr_private_segment_buffer 1
		.amdhsa_user_sgpr_dispatch_ptr 0
		.amdhsa_user_sgpr_queue_ptr 0
		.amdhsa_user_sgpr_kernarg_segment_ptr 1
		.amdhsa_user_sgpr_dispatch_id 0
		.amdhsa_user_sgpr_flat_scratch_init 1
		.amdhsa_user_sgpr_kernarg_preload_length 0
		.amdhsa_user_sgpr_kernarg_preload_offset 0
		.amdhsa_user_sgpr_private_segment_size 0
		.amdhsa_uses_dynamic_stack 0
		.amdhsa_system_sgpr_private_segment_wavefront_offset 1
		.amdhsa_system_sgpr_workgroup_id_x 1
		.amdhsa_system_sgpr_workgroup_id_y 0
		.amdhsa_system_sgpr_workgroup_id_z 0
		.amdhsa_system_sgpr_workgroup_info 0
		.amdhsa_system_vgpr_workitem_id 0
		.amdhsa_next_free_vgpr 28
		.amdhsa_next_free_sgpr 30
		.amdhsa_accum_offset 28
		.amdhsa_reserve_vcc 1
		.amdhsa_reserve_flat_scratch 1
		.amdhsa_float_round_mode_32 0
		.amdhsa_float_round_mode_16_64 0
		.amdhsa_float_denorm_mode_32 3
		.amdhsa_float_denorm_mode_16_64 3
		.amdhsa_dx10_clamp 1
		.amdhsa_ieee_mode 1
		.amdhsa_fp16_overflow 0
		.amdhsa_tg_split 0
		.amdhsa_exception_fp_ieee_invalid_op 0
		.amdhsa_exception_fp_denorm_src 0
		.amdhsa_exception_fp_ieee_div_zero 0
		.amdhsa_exception_fp_ieee_overflow 0
		.amdhsa_exception_fp_ieee_underflow 0
		.amdhsa_exception_fp_ieee_inexact 0
		.amdhsa_exception_int_div_zero 0
	.end_amdhsa_kernel
	.section	.text._ZN9rocsparseL30csrmvn_lrb_short_rows_2_kernelIiid21rocsparse_complex_numIdES2_S2_EEvbT_PT0_S5_jNS_24const_host_device_scalarIT4_EEPKS3_PKS4_PKT1_PKT2_S8_PT3_21rocsparse_index_base_b,"axG",@progbits,_ZN9rocsparseL30csrmvn_lrb_short_rows_2_kernelIiid21rocsparse_complex_numIdES2_S2_EEvbT_PT0_S5_jNS_24const_host_device_scalarIT4_EEPKS3_PKS4_PKT1_PKT2_S8_PT3_21rocsparse_index_base_b,comdat
.Lfunc_end189:
	.size	_ZN9rocsparseL30csrmvn_lrb_short_rows_2_kernelIiid21rocsparse_complex_numIdES2_S2_EEvbT_PT0_S5_jNS_24const_host_device_scalarIT4_EEPKS3_PKS4_PKT1_PKT2_S8_PT3_21rocsparse_index_base_b, .Lfunc_end189-_ZN9rocsparseL30csrmvn_lrb_short_rows_2_kernelIiid21rocsparse_complex_numIdES2_S2_EEvbT_PT0_S5_jNS_24const_host_device_scalarIT4_EEPKS3_PKS4_PKT1_PKT2_S8_PT3_21rocsparse_index_base_b
                                        ; -- End function
	.section	.AMDGPU.csdata,"",@progbits
; Kernel info:
; codeLenInByte = 1940
; NumSgprs: 36
; NumVgprs: 28
; NumAgprs: 0
; TotalNumVgprs: 28
; ScratchSize: 24
; MemoryBound: 0
; FloatMode: 240
; IeeeMode: 1
; LDSByteSize: 16384 bytes/workgroup (compile time only)
; SGPRBlocks: 4
; VGPRBlocks: 3
; NumSGPRsForWavesPerEU: 36
; NumVGPRsForWavesPerEU: 28
; AccumOffset: 28
; Occupancy: 4
; WaveLimiterHint : 1
; COMPUTE_PGM_RSRC2:SCRATCH_EN: 1
; COMPUTE_PGM_RSRC2:USER_SGPR: 8
; COMPUTE_PGM_RSRC2:TRAP_HANDLER: 0
; COMPUTE_PGM_RSRC2:TGID_X_EN: 1
; COMPUTE_PGM_RSRC2:TGID_Y_EN: 0
; COMPUTE_PGM_RSRC2:TGID_Z_EN: 0
; COMPUTE_PGM_RSRC2:TIDIG_COMP_CNT: 0
; COMPUTE_PGM_RSRC3_GFX90A:ACCUM_OFFSET: 6
; COMPUTE_PGM_RSRC3_GFX90A:TG_SPLIT: 0
	.section	.text._ZN9rocsparseL41csrmvn_lrb_medium_rows_warp_reduce_kernelILj256ELj32Eiid21rocsparse_complex_numIdES2_S2_EEvbT1_lPT2_S5_jNS_24const_host_device_scalarIT6_EEPKS3_PKS4_PKT3_PKT4_S8_PT5_21rocsparse_index_base_b,"axG",@progbits,_ZN9rocsparseL41csrmvn_lrb_medium_rows_warp_reduce_kernelILj256ELj32Eiid21rocsparse_complex_numIdES2_S2_EEvbT1_lPT2_S5_jNS_24const_host_device_scalarIT6_EEPKS3_PKS4_PKT3_PKT4_S8_PT5_21rocsparse_index_base_b,comdat
	.globl	_ZN9rocsparseL41csrmvn_lrb_medium_rows_warp_reduce_kernelILj256ELj32Eiid21rocsparse_complex_numIdES2_S2_EEvbT1_lPT2_S5_jNS_24const_host_device_scalarIT6_EEPKS3_PKS4_PKT3_PKT4_S8_PT5_21rocsparse_index_base_b ; -- Begin function _ZN9rocsparseL41csrmvn_lrb_medium_rows_warp_reduce_kernelILj256ELj32Eiid21rocsparse_complex_numIdES2_S2_EEvbT1_lPT2_S5_jNS_24const_host_device_scalarIT6_EEPKS3_PKS4_PKT3_PKT4_S8_PT5_21rocsparse_index_base_b
	.p2align	8
	.type	_ZN9rocsparseL41csrmvn_lrb_medium_rows_warp_reduce_kernelILj256ELj32Eiid21rocsparse_complex_numIdES2_S2_EEvbT1_lPT2_S5_jNS_24const_host_device_scalarIT6_EEPKS3_PKS4_PKT3_PKT4_S8_PT5_21rocsparse_index_base_b,@function
_ZN9rocsparseL41csrmvn_lrb_medium_rows_warp_reduce_kernelILj256ELj32Eiid21rocsparse_complex_numIdES2_S2_EEvbT1_lPT2_S5_jNS_24const_host_device_scalarIT6_EEPKS3_PKS4_PKT3_PKT4_S8_PT5_21rocsparse_index_base_b: ; @_ZN9rocsparseL41csrmvn_lrb_medium_rows_warp_reduce_kernelILj256ELj32Eiid21rocsparse_complex_numIdES2_S2_EEvbT1_lPT2_S5_jNS_24const_host_device_scalarIT6_EEPKS3_PKS4_PKT3_PKT4_S8_PT5_21rocsparse_index_base_b
; %bb.0:
	s_load_dwordx2 s[10:11], s[6:7], 0x70
	s_load_dwordx4 s[12:15], s[6:7], 0x28
	s_load_dwordx2 s[20:21], s[4:5], 0x4
	s_load_dwordx4 s[16:19], s[6:7], 0x58
	s_mov_b64 s[2:3], src_shared_base
	v_and_b32_e32 v10, 0x3ff, v0
	s_waitcnt lgkmcnt(0)
	s_bitcmp1_b32 s11, 0
	s_cselect_b64 s[0:1], -1, 0
	s_and_b64 vcc, s[0:1], exec
	s_cselect_b32 s2, s3, s13
	s_lshr_b32 s4, s20, 16
	s_mul_i32 s4, s4, s21
	v_mul_lo_u32 v1, s4, v10
	v_bfe_u32 v2, v0, 10, 10
	v_mad_u32_u24 v1, v2, s21, v1
	v_bfe_u32 v0, v0, 20, 10
	v_add_lshl_u32 v4, v1, v0, 3
	v_mov_b32_e32 v5, s12
	v_add_u32_e32 v6, 0x800, v4
	v_pk_mov_b32 v[0:1], s[12:13], s[12:13] op_sel:[0,1]
	v_pk_mov_b32 v[2:3], s[16:17], s[16:17] op_sel:[0,1]
	ds_write2st64_b64 v4, v[2:3], v[0:1] offset1:4
	v_cndmask_b32_e64 v0, v5, v6, s[0:1]
	v_mov_b32_e32 v1, s2
	flat_load_dwordx2 v[0:1], v[0:1]
	s_xor_b64 s[4:5], s[0:1], -1
	v_pk_mov_b32 v[2:3], s[14:15], s[14:15] op_sel:[0,1]
	s_cbranch_vccnz .LBB190_2
; %bb.1:
	v_pk_mov_b32 v[2:3], s[12:13], s[12:13] op_sel:[0,1]
	flat_load_dwordx2 v[2:3], v[2:3] offset:8
.LBB190_2:
	s_and_b64 s[12:13], s[0:1], exec
	s_cselect_b32 s2, s3, s17
	v_mov_b32_e32 v5, s16
	v_cndmask_b32_e64 v4, v5, v4, s[0:1]
	v_mov_b32_e32 v5, s2
	flat_load_dwordx2 v[4:5], v[4:5]
	s_andn2_b64 vcc, exec, s[4:5]
	v_pk_mov_b32 v[6:7], s[18:19], s[18:19] op_sel:[0,1]
	s_cbranch_vccnz .LBB190_4
; %bb.3:
	v_pk_mov_b32 v[6:7], s[16:17], s[16:17] op_sel:[0,1]
	flat_load_dwordx2 v[6:7], v[6:7] offset:8
.LBB190_4:
	s_waitcnt vmcnt(0) lgkmcnt(0)
	v_cmp_eq_f64_e32 vcc, 0, v[0:1]
	v_cmp_eq_f64_e64 s[0:1], 0, v[2:3]
	s_and_b64 s[4:5], vcc, s[0:1]
	s_mov_b64 s[0:1], -1
	s_and_saveexec_b64 s[2:3], s[4:5]
; %bb.5:
	v_cmp_neq_f64_e32 vcc, 1.0, v[4:5]
	v_cmp_neq_f64_e64 s[0:1], 0, v[6:7]
	s_or_b64 s[0:1], vcc, s[0:1]
	s_orn2_b64 s[0:1], s[0:1], exec
; %bb.6:
	s_or_b64 exec, exec, s[2:3]
	s_and_saveexec_b64 s[2:3], s[0:1]
	s_cbranch_execz .LBB190_16
; %bb.7:
	s_load_dwordx2 s[0:1], s[6:7], 0x8
	v_lshrrev_b32_e32 v8, 5, v10
	v_lshl_or_b32 v8, s8, 3, v8
	v_ashrrev_i32_e32 v9, 31, v8
	s_waitcnt lgkmcnt(0)
	v_cmp_gt_i64_e32 vcc, s[0:1], v[8:9]
	s_and_b64 exec, exec, vcc
	s_cbranch_execz .LBB190_16
; %bb.8:
	s_load_dword s4, s[6:7], 0x20
	s_load_dwordx4 s[0:3], s[6:7], 0x10
	s_mov_b32 s5, 0
	v_and_b32_e32 v20, 31, v10
	v_subrev_u32_e32 v14, s10, v20
	s_waitcnt lgkmcnt(0)
	s_lshl_b64 s[4:5], s[4:5], 2
	s_add_u32 s2, s2, s4
	s_addc_u32 s3, s3, s5
	s_load_dword s2, s[2:3], 0x0
	v_mov_b32_e32 v11, s1
	s_mov_b64 s[8:9], 0
	s_load_dwordx2 s[4:5], s[6:7], 0x68
	s_waitcnt lgkmcnt(0)
	v_add_u32_e32 v8, s2, v8
	v_ashrrev_i32_e32 v9, 31, v8
	v_lshlrev_b64 v[8:9], 2, v[8:9]
	v_add_co_u32_e32 v8, vcc, s0, v8
	v_addc_co_u32_e32 v9, vcc, v11, v9, vcc
	global_load_dword v8, v[8:9], off
	s_load_dwordx2 s[0:1], s[6:7], 0x38
	s_waitcnt lgkmcnt(0)
	v_mov_b32_e32 v11, s1
	s_waitcnt vmcnt(0)
	v_ashrrev_i32_e32 v9, 31, v8
	v_lshlrev_b64 v[12:13], 2, v[8:9]
	v_add_co_u32_e32 v12, vcc, s0, v12
	v_addc_co_u32_e32 v13, vcc, v11, v13, vcc
	global_load_dwordx2 v[12:13], v[12:13], off
	v_pk_mov_b32 v[10:11], 0, 0
	s_waitcnt vmcnt(0)
	v_subrev_u32_e32 v21, s10, v13
	v_add_u32_e32 v12, v12, v14
	v_cmp_lt_i32_e32 vcc, v12, v21
	v_pk_mov_b32 v[14:15], v[10:11], v[10:11] op_sel:[0,1]
	s_and_saveexec_b64 s[12:13], vcc
	s_cbranch_execz .LBB190_12
; %bb.9:
	s_load_dwordx2 s[14:15], s[6:7], 0x50
	s_load_dwordx4 s[0:3], s[6:7], 0x40
	s_mov_b32 s6, 0
	s_brev_b32 s7, 1
	v_pk_mov_b32 v[10:11], 0, 0
	v_mul_f64 v[16:17], v[2:3], s[6:7]
	v_mul_f64 v[18:19], v[0:1], 0
	s_waitcnt lgkmcnt(0)
	v_mov_b32_e32 v22, s3
	v_mov_b32_e32 v23, s1
	;; [unrolled: 1-line block ×3, first 2 shown]
	v_pk_mov_b32 v[14:15], v[10:11], v[10:11] op_sel:[0,1]
.LBB190_10:                             ; =>This Inner Loop Header: Depth=1
	v_ashrrev_i32_e32 v13, 31, v12
	v_lshlrev_b64 v[26:27], 2, v[12:13]
	v_add_co_u32_e32 v26, vcc, s0, v26
	v_addc_co_u32_e32 v27, vcc, v23, v27, vcc
	global_load_dword v25, v[26:27], off
	v_lshlrev_b64 v[26:27], 3, v[12:13]
	v_add_co_u32_e32 v26, vcc, s2, v26
	v_addc_co_u32_e32 v27, vcc, v22, v27, vcc
	global_load_dwordx2 v[30:31], v[26:27], off
	v_add_u32_e32 v12, 32, v12
	s_waitcnt vmcnt(1)
	v_subrev_u32_e32 v26, s10, v25
	v_ashrrev_i32_e32 v27, 31, v26
	v_lshlrev_b64 v[26:27], 4, v[26:27]
	v_add_co_u32_e32 v26, vcc, s14, v26
	v_addc_co_u32_e32 v27, vcc, v24, v27, vcc
	global_load_dwordx4 v[26:29], v[26:27], off
	s_waitcnt vmcnt(1)
	v_fma_f64 v[32:33], v[0:1], v[30:31], v[16:17]
	v_fma_f64 v[30:31], v[2:3], v[30:31], v[18:19]
	v_cmp_ge_i32_e32 vcc, v12, v21
	s_or_b64 s[8:9], vcc, s[8:9]
	s_waitcnt vmcnt(0)
	v_fmac_f64_e32 v[14:15], v[32:33], v[26:27]
	v_fmac_f64_e32 v[10:11], v[30:31], v[26:27]
	v_fma_f64 v[14:15], -v[30:31], v[28:29], v[14:15]
	v_fmac_f64_e32 v[10:11], v[32:33], v[28:29]
	s_andn2_b64 exec, exec, s[8:9]
	s_cbranch_execnz .LBB190_10
; %bb.11:
	s_or_b64 exec, exec, s[8:9]
.LBB190_12:
	s_or_b64 exec, exec, s[12:13]
	v_mov_b32_dpp v0, v14 row_shr:1 row_mask:0xf bank_mask:0xf
	v_mov_b32_dpp v1, v15 row_shr:1 row_mask:0xf bank_mask:0xf
	;; [unrolled: 1-line block ×4, first 2 shown]
	v_add_f64 v[0:1], v[14:15], v[0:1]
	v_add_f64 v[10:11], v[10:11], v[12:13]
	v_cmp_eq_u32_e32 vcc, 31, v20
	v_mov_b32_dpp v2, v0 row_shr:2 row_mask:0xf bank_mask:0xf
	v_mov_b32_dpp v3, v1 row_shr:2 row_mask:0xf bank_mask:0xf
	v_mov_b32_dpp v12, v10 row_shr:2 row_mask:0xf bank_mask:0xf
	v_mov_b32_dpp v13, v11 row_shr:2 row_mask:0xf bank_mask:0xf
	v_add_f64 v[0:1], v[0:1], v[2:3]
	v_add_f64 v[10:11], v[10:11], v[12:13]
	s_nop 0
	v_mov_b32_dpp v2, v0 row_shr:4 row_mask:0xf bank_mask:0xe
	v_mov_b32_dpp v3, v1 row_shr:4 row_mask:0xf bank_mask:0xe
	v_mov_b32_dpp v12, v10 row_shr:4 row_mask:0xf bank_mask:0xe
	v_mov_b32_dpp v13, v11 row_shr:4 row_mask:0xf bank_mask:0xe
	v_add_f64 v[0:1], v[0:1], v[2:3]
	v_add_f64 v[10:11], v[10:11], v[12:13]
	s_nop 0
	;; [unrolled: 7-line block ×3, first 2 shown]
	v_mov_b32_dpp v2, v0 row_bcast:15 row_mask:0xa bank_mask:0xf
	v_mov_b32_dpp v3, v1 row_bcast:15 row_mask:0xa bank_mask:0xf
	;; [unrolled: 1-line block ×4, first 2 shown]
	s_and_b64 exec, exec, vcc
	s_cbranch_execz .LBB190_16
; %bb.13:
	v_cmp_neq_f64_e32 vcc, 0, v[4:5]
	v_cmp_neq_f64_e64 s[0:1], 0, v[6:7]
	v_add_f64 v[0:1], v[0:1], v[2:3]
	v_add_f64 v[2:3], v[10:11], v[12:13]
	s_or_b64 s[2:3], vcc, s[0:1]
	v_lshlrev_b64 v[8:9], 4, v[8:9]
	s_and_saveexec_b64 s[0:1], s[2:3]
	s_cbranch_execz .LBB190_15
; %bb.14:
	v_mov_b32_e32 v11, s5
	v_add_co_u32_e32 v10, vcc, s4, v8
	v_addc_co_u32_e32 v11, vcc, v11, v9, vcc
	global_load_dwordx4 v[10:13], v[10:11], off
	s_waitcnt vmcnt(0)
	v_fmac_f64_e32 v[0:1], v[4:5], v[10:11]
	v_fmac_f64_e32 v[2:3], v[6:7], v[10:11]
	v_fma_f64 v[0:1], -v[6:7], v[12:13], v[0:1]
	v_fmac_f64_e32 v[2:3], v[4:5], v[12:13]
.LBB190_15:
	s_or_b64 exec, exec, s[0:1]
	v_mov_b32_e32 v5, s5
	v_add_co_u32_e32 v4, vcc, s4, v8
	v_addc_co_u32_e32 v5, vcc, v5, v9, vcc
	global_store_dwordx4 v[4:5], v[0:3], off
.LBB190_16:
	s_endpgm
	.section	.rodata,"a",@progbits
	.p2align	6, 0x0
	.amdhsa_kernel _ZN9rocsparseL41csrmvn_lrb_medium_rows_warp_reduce_kernelILj256ELj32Eiid21rocsparse_complex_numIdES2_S2_EEvbT1_lPT2_S5_jNS_24const_host_device_scalarIT6_EEPKS3_PKS4_PKT3_PKT4_S8_PT5_21rocsparse_index_base_b
		.amdhsa_group_segment_fixed_size 4096
		.amdhsa_private_segment_fixed_size 0
		.amdhsa_kernarg_size 120
		.amdhsa_user_sgpr_count 8
		.amdhsa_user_sgpr_private_segment_buffer 1
		.amdhsa_user_sgpr_dispatch_ptr 1
		.amdhsa_user_sgpr_queue_ptr 0
		.amdhsa_user_sgpr_kernarg_segment_ptr 1
		.amdhsa_user_sgpr_dispatch_id 0
		.amdhsa_user_sgpr_flat_scratch_init 0
		.amdhsa_user_sgpr_kernarg_preload_length 0
		.amdhsa_user_sgpr_kernarg_preload_offset 0
		.amdhsa_user_sgpr_private_segment_size 0
		.amdhsa_uses_dynamic_stack 0
		.amdhsa_system_sgpr_private_segment_wavefront_offset 0
		.amdhsa_system_sgpr_workgroup_id_x 1
		.amdhsa_system_sgpr_workgroup_id_y 0
		.amdhsa_system_sgpr_workgroup_id_z 0
		.amdhsa_system_sgpr_workgroup_info 0
		.amdhsa_system_vgpr_workitem_id 2
		.amdhsa_next_free_vgpr 34
		.amdhsa_next_free_sgpr 22
		.amdhsa_accum_offset 36
		.amdhsa_reserve_vcc 1
		.amdhsa_reserve_flat_scratch 0
		.amdhsa_float_round_mode_32 0
		.amdhsa_float_round_mode_16_64 0
		.amdhsa_float_denorm_mode_32 3
		.amdhsa_float_denorm_mode_16_64 3
		.amdhsa_dx10_clamp 1
		.amdhsa_ieee_mode 1
		.amdhsa_fp16_overflow 0
		.amdhsa_tg_split 0
		.amdhsa_exception_fp_ieee_invalid_op 0
		.amdhsa_exception_fp_denorm_src 0
		.amdhsa_exception_fp_ieee_div_zero 0
		.amdhsa_exception_fp_ieee_overflow 0
		.amdhsa_exception_fp_ieee_underflow 0
		.amdhsa_exception_fp_ieee_inexact 0
		.amdhsa_exception_int_div_zero 0
	.end_amdhsa_kernel
	.section	.text._ZN9rocsparseL41csrmvn_lrb_medium_rows_warp_reduce_kernelILj256ELj32Eiid21rocsparse_complex_numIdES2_S2_EEvbT1_lPT2_S5_jNS_24const_host_device_scalarIT6_EEPKS3_PKS4_PKT3_PKT4_S8_PT5_21rocsparse_index_base_b,"axG",@progbits,_ZN9rocsparseL41csrmvn_lrb_medium_rows_warp_reduce_kernelILj256ELj32Eiid21rocsparse_complex_numIdES2_S2_EEvbT1_lPT2_S5_jNS_24const_host_device_scalarIT6_EEPKS3_PKS4_PKT3_PKT4_S8_PT5_21rocsparse_index_base_b,comdat
.Lfunc_end190:
	.size	_ZN9rocsparseL41csrmvn_lrb_medium_rows_warp_reduce_kernelILj256ELj32Eiid21rocsparse_complex_numIdES2_S2_EEvbT1_lPT2_S5_jNS_24const_host_device_scalarIT6_EEPKS3_PKS4_PKT3_PKT4_S8_PT5_21rocsparse_index_base_b, .Lfunc_end190-_ZN9rocsparseL41csrmvn_lrb_medium_rows_warp_reduce_kernelILj256ELj32Eiid21rocsparse_complex_numIdES2_S2_EEvbT1_lPT2_S5_jNS_24const_host_device_scalarIT6_EEPKS3_PKS4_PKT3_PKT4_S8_PT5_21rocsparse_index_base_b
                                        ; -- End function
	.section	.AMDGPU.csdata,"",@progbits
; Kernel info:
; codeLenInByte = 1156
; NumSgprs: 26
; NumVgprs: 34
; NumAgprs: 0
; TotalNumVgprs: 34
; ScratchSize: 0
; MemoryBound: 0
; FloatMode: 240
; IeeeMode: 1
; LDSByteSize: 4096 bytes/workgroup (compile time only)
; SGPRBlocks: 3
; VGPRBlocks: 4
; NumSGPRsForWavesPerEU: 26
; NumVGPRsForWavesPerEU: 34
; AccumOffset: 36
; Occupancy: 8
; WaveLimiterHint : 1
; COMPUTE_PGM_RSRC2:SCRATCH_EN: 0
; COMPUTE_PGM_RSRC2:USER_SGPR: 8
; COMPUTE_PGM_RSRC2:TRAP_HANDLER: 0
; COMPUTE_PGM_RSRC2:TGID_X_EN: 1
; COMPUTE_PGM_RSRC2:TGID_Y_EN: 0
; COMPUTE_PGM_RSRC2:TGID_Z_EN: 0
; COMPUTE_PGM_RSRC2:TIDIG_COMP_CNT: 2
; COMPUTE_PGM_RSRC3_GFX90A:ACCUM_OFFSET: 8
; COMPUTE_PGM_RSRC3_GFX90A:TG_SPLIT: 0
	.section	.text._ZN9rocsparseL41csrmvn_lrb_medium_rows_warp_reduce_kernelILj256ELj64Eiid21rocsparse_complex_numIdES2_S2_EEvbT1_lPT2_S5_jNS_24const_host_device_scalarIT6_EEPKS3_PKS4_PKT3_PKT4_S8_PT5_21rocsparse_index_base_b,"axG",@progbits,_ZN9rocsparseL41csrmvn_lrb_medium_rows_warp_reduce_kernelILj256ELj64Eiid21rocsparse_complex_numIdES2_S2_EEvbT1_lPT2_S5_jNS_24const_host_device_scalarIT6_EEPKS3_PKS4_PKT3_PKT4_S8_PT5_21rocsparse_index_base_b,comdat
	.globl	_ZN9rocsparseL41csrmvn_lrb_medium_rows_warp_reduce_kernelILj256ELj64Eiid21rocsparse_complex_numIdES2_S2_EEvbT1_lPT2_S5_jNS_24const_host_device_scalarIT6_EEPKS3_PKS4_PKT3_PKT4_S8_PT5_21rocsparse_index_base_b ; -- Begin function _ZN9rocsparseL41csrmvn_lrb_medium_rows_warp_reduce_kernelILj256ELj64Eiid21rocsparse_complex_numIdES2_S2_EEvbT1_lPT2_S5_jNS_24const_host_device_scalarIT6_EEPKS3_PKS4_PKT3_PKT4_S8_PT5_21rocsparse_index_base_b
	.p2align	8
	.type	_ZN9rocsparseL41csrmvn_lrb_medium_rows_warp_reduce_kernelILj256ELj64Eiid21rocsparse_complex_numIdES2_S2_EEvbT1_lPT2_S5_jNS_24const_host_device_scalarIT6_EEPKS3_PKS4_PKT3_PKT4_S8_PT5_21rocsparse_index_base_b,@function
_ZN9rocsparseL41csrmvn_lrb_medium_rows_warp_reduce_kernelILj256ELj64Eiid21rocsparse_complex_numIdES2_S2_EEvbT1_lPT2_S5_jNS_24const_host_device_scalarIT6_EEPKS3_PKS4_PKT3_PKT4_S8_PT5_21rocsparse_index_base_b: ; @_ZN9rocsparseL41csrmvn_lrb_medium_rows_warp_reduce_kernelILj256ELj64Eiid21rocsparse_complex_numIdES2_S2_EEvbT1_lPT2_S5_jNS_24const_host_device_scalarIT6_EEPKS3_PKS4_PKT3_PKT4_S8_PT5_21rocsparse_index_base_b
; %bb.0:
	s_load_dwordx2 s[10:11], s[6:7], 0x70
	s_load_dwordx4 s[12:15], s[6:7], 0x28
	s_load_dwordx2 s[20:21], s[4:5], 0x4
	s_load_dwordx4 s[16:19], s[6:7], 0x58
	s_mov_b64 s[2:3], src_shared_base
	v_and_b32_e32 v10, 0x3ff, v0
	s_waitcnt lgkmcnt(0)
	s_bitcmp1_b32 s11, 0
	s_cselect_b64 s[0:1], -1, 0
	s_and_b64 vcc, s[0:1], exec
	s_cselect_b32 s2, s3, s13
	s_lshr_b32 s4, s20, 16
	s_mul_i32 s4, s4, s21
	v_mul_lo_u32 v1, s4, v10
	v_bfe_u32 v2, v0, 10, 10
	v_mad_u32_u24 v1, v2, s21, v1
	v_bfe_u32 v0, v0, 20, 10
	v_add_lshl_u32 v4, v1, v0, 3
	v_mov_b32_e32 v5, s12
	v_add_u32_e32 v6, 0x800, v4
	v_pk_mov_b32 v[0:1], s[12:13], s[12:13] op_sel:[0,1]
	v_pk_mov_b32 v[2:3], s[16:17], s[16:17] op_sel:[0,1]
	ds_write2st64_b64 v4, v[2:3], v[0:1] offset1:4
	v_cndmask_b32_e64 v0, v5, v6, s[0:1]
	v_mov_b32_e32 v1, s2
	flat_load_dwordx2 v[0:1], v[0:1]
	s_xor_b64 s[4:5], s[0:1], -1
	v_pk_mov_b32 v[2:3], s[14:15], s[14:15] op_sel:[0,1]
	s_cbranch_vccnz .LBB191_2
; %bb.1:
	v_pk_mov_b32 v[2:3], s[12:13], s[12:13] op_sel:[0,1]
	flat_load_dwordx2 v[2:3], v[2:3] offset:8
.LBB191_2:
	s_and_b64 s[12:13], s[0:1], exec
	s_cselect_b32 s2, s3, s17
	v_mov_b32_e32 v5, s16
	v_cndmask_b32_e64 v4, v5, v4, s[0:1]
	v_mov_b32_e32 v5, s2
	flat_load_dwordx2 v[4:5], v[4:5]
	s_andn2_b64 vcc, exec, s[4:5]
	v_pk_mov_b32 v[6:7], s[18:19], s[18:19] op_sel:[0,1]
	s_cbranch_vccnz .LBB191_4
; %bb.3:
	v_pk_mov_b32 v[6:7], s[16:17], s[16:17] op_sel:[0,1]
	flat_load_dwordx2 v[6:7], v[6:7] offset:8
.LBB191_4:
	s_waitcnt vmcnt(0) lgkmcnt(0)
	v_cmp_eq_f64_e32 vcc, 0, v[0:1]
	v_cmp_eq_f64_e64 s[0:1], 0, v[2:3]
	s_and_b64 s[4:5], vcc, s[0:1]
	s_mov_b64 s[0:1], -1
	s_and_saveexec_b64 s[2:3], s[4:5]
; %bb.5:
	v_cmp_neq_f64_e32 vcc, 1.0, v[4:5]
	v_cmp_neq_f64_e64 s[0:1], 0, v[6:7]
	s_or_b64 s[0:1], vcc, s[0:1]
	s_orn2_b64 s[0:1], s[0:1], exec
; %bb.6:
	s_or_b64 exec, exec, s[2:3]
	s_and_saveexec_b64 s[2:3], s[0:1]
	s_cbranch_execz .LBB191_16
; %bb.7:
	s_load_dwordx2 s[0:1], s[6:7], 0x8
	v_lshrrev_b32_e32 v8, 6, v10
	v_lshl_or_b32 v8, s8, 2, v8
	v_ashrrev_i32_e32 v9, 31, v8
	s_waitcnt lgkmcnt(0)
	v_cmp_gt_i64_e32 vcc, s[0:1], v[8:9]
	s_and_b64 exec, exec, vcc
	s_cbranch_execz .LBB191_16
; %bb.8:
	s_load_dword s4, s[6:7], 0x20
	s_load_dwordx4 s[0:3], s[6:7], 0x10
	s_mov_b32 s5, 0
	v_and_b32_e32 v20, 63, v10
	v_subrev_u32_e32 v14, s10, v20
	s_waitcnt lgkmcnt(0)
	s_lshl_b64 s[4:5], s[4:5], 2
	s_add_u32 s2, s2, s4
	s_addc_u32 s3, s3, s5
	s_load_dword s2, s[2:3], 0x0
	v_mov_b32_e32 v11, s1
	s_mov_b64 s[8:9], 0
	s_load_dwordx2 s[4:5], s[6:7], 0x68
	s_waitcnt lgkmcnt(0)
	v_add_u32_e32 v8, s2, v8
	v_ashrrev_i32_e32 v9, 31, v8
	v_lshlrev_b64 v[8:9], 2, v[8:9]
	v_add_co_u32_e32 v8, vcc, s0, v8
	v_addc_co_u32_e32 v9, vcc, v11, v9, vcc
	global_load_dword v8, v[8:9], off
	s_load_dwordx2 s[0:1], s[6:7], 0x38
	s_waitcnt lgkmcnt(0)
	v_mov_b32_e32 v11, s1
	s_waitcnt vmcnt(0)
	v_ashrrev_i32_e32 v9, 31, v8
	v_lshlrev_b64 v[12:13], 2, v[8:9]
	v_add_co_u32_e32 v12, vcc, s0, v12
	v_addc_co_u32_e32 v13, vcc, v11, v13, vcc
	global_load_dwordx2 v[12:13], v[12:13], off
	v_pk_mov_b32 v[10:11], 0, 0
	s_waitcnt vmcnt(0)
	v_subrev_u32_e32 v21, s10, v13
	v_add_u32_e32 v12, v12, v14
	v_cmp_lt_i32_e32 vcc, v12, v21
	v_pk_mov_b32 v[14:15], v[10:11], v[10:11] op_sel:[0,1]
	s_and_saveexec_b64 s[12:13], vcc
	s_cbranch_execz .LBB191_12
; %bb.9:
	s_load_dwordx2 s[14:15], s[6:7], 0x50
	s_load_dwordx4 s[0:3], s[6:7], 0x40
	s_mov_b32 s6, 0
	s_brev_b32 s7, 1
	v_pk_mov_b32 v[10:11], 0, 0
	v_mul_f64 v[16:17], v[2:3], s[6:7]
	v_mul_f64 v[18:19], v[0:1], 0
	s_waitcnt lgkmcnt(0)
	v_mov_b32_e32 v22, s3
	v_mov_b32_e32 v23, s1
	;; [unrolled: 1-line block ×3, first 2 shown]
	v_pk_mov_b32 v[14:15], v[10:11], v[10:11] op_sel:[0,1]
.LBB191_10:                             ; =>This Inner Loop Header: Depth=1
	v_ashrrev_i32_e32 v13, 31, v12
	v_lshlrev_b64 v[26:27], 2, v[12:13]
	v_add_co_u32_e32 v26, vcc, s0, v26
	v_addc_co_u32_e32 v27, vcc, v23, v27, vcc
	global_load_dword v25, v[26:27], off
	v_lshlrev_b64 v[26:27], 3, v[12:13]
	v_add_co_u32_e32 v26, vcc, s2, v26
	v_addc_co_u32_e32 v27, vcc, v22, v27, vcc
	global_load_dwordx2 v[30:31], v[26:27], off
	v_add_u32_e32 v12, 64, v12
	s_waitcnt vmcnt(1)
	v_subrev_u32_e32 v26, s10, v25
	v_ashrrev_i32_e32 v27, 31, v26
	v_lshlrev_b64 v[26:27], 4, v[26:27]
	v_add_co_u32_e32 v26, vcc, s14, v26
	v_addc_co_u32_e32 v27, vcc, v24, v27, vcc
	global_load_dwordx4 v[26:29], v[26:27], off
	s_waitcnt vmcnt(1)
	v_fma_f64 v[32:33], v[0:1], v[30:31], v[16:17]
	v_fma_f64 v[30:31], v[2:3], v[30:31], v[18:19]
	v_cmp_ge_i32_e32 vcc, v12, v21
	s_or_b64 s[8:9], vcc, s[8:9]
	s_waitcnt vmcnt(0)
	v_fmac_f64_e32 v[14:15], v[32:33], v[26:27]
	v_fmac_f64_e32 v[10:11], v[30:31], v[26:27]
	v_fma_f64 v[14:15], -v[30:31], v[28:29], v[14:15]
	v_fmac_f64_e32 v[10:11], v[32:33], v[28:29]
	s_andn2_b64 exec, exec, s[8:9]
	s_cbranch_execnz .LBB191_10
; %bb.11:
	s_or_b64 exec, exec, s[8:9]
.LBB191_12:
	s_or_b64 exec, exec, s[12:13]
	v_mov_b32_dpp v0, v14 row_shr:1 row_mask:0xf bank_mask:0xf
	v_mov_b32_dpp v1, v15 row_shr:1 row_mask:0xf bank_mask:0xf
	v_mov_b32_dpp v12, v10 row_shr:1 row_mask:0xf bank_mask:0xf
	v_mov_b32_dpp v13, v11 row_shr:1 row_mask:0xf bank_mask:0xf
	v_add_f64 v[0:1], v[14:15], v[0:1]
	v_add_f64 v[10:11], v[10:11], v[12:13]
	v_cmp_eq_u32_e32 vcc, 63, v20
	v_mov_b32_dpp v2, v0 row_shr:2 row_mask:0xf bank_mask:0xf
	v_mov_b32_dpp v3, v1 row_shr:2 row_mask:0xf bank_mask:0xf
	v_mov_b32_dpp v12, v10 row_shr:2 row_mask:0xf bank_mask:0xf
	v_mov_b32_dpp v13, v11 row_shr:2 row_mask:0xf bank_mask:0xf
	v_add_f64 v[0:1], v[0:1], v[2:3]
	v_add_f64 v[10:11], v[10:11], v[12:13]
	s_nop 0
	v_mov_b32_dpp v2, v0 row_shr:4 row_mask:0xf bank_mask:0xe
	v_mov_b32_dpp v3, v1 row_shr:4 row_mask:0xf bank_mask:0xe
	v_mov_b32_dpp v12, v10 row_shr:4 row_mask:0xf bank_mask:0xe
	v_mov_b32_dpp v13, v11 row_shr:4 row_mask:0xf bank_mask:0xe
	v_add_f64 v[0:1], v[0:1], v[2:3]
	v_add_f64 v[10:11], v[10:11], v[12:13]
	s_nop 0
	;; [unrolled: 7-line block ×3, first 2 shown]
	v_mov_b32_dpp v2, v0 row_bcast:15 row_mask:0xa bank_mask:0xf
	v_mov_b32_dpp v3, v1 row_bcast:15 row_mask:0xa bank_mask:0xf
	;; [unrolled: 1-line block ×4, first 2 shown]
	v_add_f64 v[0:1], v[0:1], v[2:3]
	v_add_f64 v[10:11], v[10:11], v[12:13]
	s_nop 0
	v_mov_b32_dpp v2, v0 row_bcast:31 row_mask:0xc bank_mask:0xf
	v_mov_b32_dpp v3, v1 row_bcast:31 row_mask:0xc bank_mask:0xf
	;; [unrolled: 1-line block ×4, first 2 shown]
	s_and_b64 exec, exec, vcc
	s_cbranch_execz .LBB191_16
; %bb.13:
	v_cmp_neq_f64_e32 vcc, 0, v[4:5]
	v_cmp_neq_f64_e64 s[0:1], 0, v[6:7]
	v_add_f64 v[0:1], v[0:1], v[2:3]
	v_add_f64 v[2:3], v[10:11], v[12:13]
	s_or_b64 s[2:3], vcc, s[0:1]
	v_lshlrev_b64 v[8:9], 4, v[8:9]
	s_and_saveexec_b64 s[0:1], s[2:3]
	s_cbranch_execz .LBB191_15
; %bb.14:
	v_mov_b32_e32 v11, s5
	v_add_co_u32_e32 v10, vcc, s4, v8
	v_addc_co_u32_e32 v11, vcc, v11, v9, vcc
	global_load_dwordx4 v[10:13], v[10:11], off
	s_waitcnt vmcnt(0)
	v_fmac_f64_e32 v[0:1], v[4:5], v[10:11]
	v_fmac_f64_e32 v[2:3], v[6:7], v[10:11]
	v_fma_f64 v[0:1], -v[6:7], v[12:13], v[0:1]
	v_fmac_f64_e32 v[2:3], v[4:5], v[12:13]
.LBB191_15:
	s_or_b64 exec, exec, s[0:1]
	v_mov_b32_e32 v5, s5
	v_add_co_u32_e32 v4, vcc, s4, v8
	v_addc_co_u32_e32 v5, vcc, v5, v9, vcc
	global_store_dwordx4 v[4:5], v[0:3], off
.LBB191_16:
	s_endpgm
	.section	.rodata,"a",@progbits
	.p2align	6, 0x0
	.amdhsa_kernel _ZN9rocsparseL41csrmvn_lrb_medium_rows_warp_reduce_kernelILj256ELj64Eiid21rocsparse_complex_numIdES2_S2_EEvbT1_lPT2_S5_jNS_24const_host_device_scalarIT6_EEPKS3_PKS4_PKT3_PKT4_S8_PT5_21rocsparse_index_base_b
		.amdhsa_group_segment_fixed_size 4096
		.amdhsa_private_segment_fixed_size 0
		.amdhsa_kernarg_size 120
		.amdhsa_user_sgpr_count 8
		.amdhsa_user_sgpr_private_segment_buffer 1
		.amdhsa_user_sgpr_dispatch_ptr 1
		.amdhsa_user_sgpr_queue_ptr 0
		.amdhsa_user_sgpr_kernarg_segment_ptr 1
		.amdhsa_user_sgpr_dispatch_id 0
		.amdhsa_user_sgpr_flat_scratch_init 0
		.amdhsa_user_sgpr_kernarg_preload_length 0
		.amdhsa_user_sgpr_kernarg_preload_offset 0
		.amdhsa_user_sgpr_private_segment_size 0
		.amdhsa_uses_dynamic_stack 0
		.amdhsa_system_sgpr_private_segment_wavefront_offset 0
		.amdhsa_system_sgpr_workgroup_id_x 1
		.amdhsa_system_sgpr_workgroup_id_y 0
		.amdhsa_system_sgpr_workgroup_id_z 0
		.amdhsa_system_sgpr_workgroup_info 0
		.amdhsa_system_vgpr_workitem_id 2
		.amdhsa_next_free_vgpr 34
		.amdhsa_next_free_sgpr 22
		.amdhsa_accum_offset 36
		.amdhsa_reserve_vcc 1
		.amdhsa_reserve_flat_scratch 0
		.amdhsa_float_round_mode_32 0
		.amdhsa_float_round_mode_16_64 0
		.amdhsa_float_denorm_mode_32 3
		.amdhsa_float_denorm_mode_16_64 3
		.amdhsa_dx10_clamp 1
		.amdhsa_ieee_mode 1
		.amdhsa_fp16_overflow 0
		.amdhsa_tg_split 0
		.amdhsa_exception_fp_ieee_invalid_op 0
		.amdhsa_exception_fp_denorm_src 0
		.amdhsa_exception_fp_ieee_div_zero 0
		.amdhsa_exception_fp_ieee_overflow 0
		.amdhsa_exception_fp_ieee_underflow 0
		.amdhsa_exception_fp_ieee_inexact 0
		.amdhsa_exception_int_div_zero 0
	.end_amdhsa_kernel
	.section	.text._ZN9rocsparseL41csrmvn_lrb_medium_rows_warp_reduce_kernelILj256ELj64Eiid21rocsparse_complex_numIdES2_S2_EEvbT1_lPT2_S5_jNS_24const_host_device_scalarIT6_EEPKS3_PKS4_PKT3_PKT4_S8_PT5_21rocsparse_index_base_b,"axG",@progbits,_ZN9rocsparseL41csrmvn_lrb_medium_rows_warp_reduce_kernelILj256ELj64Eiid21rocsparse_complex_numIdES2_S2_EEvbT1_lPT2_S5_jNS_24const_host_device_scalarIT6_EEPKS3_PKS4_PKT3_PKT4_S8_PT5_21rocsparse_index_base_b,comdat
.Lfunc_end191:
	.size	_ZN9rocsparseL41csrmvn_lrb_medium_rows_warp_reduce_kernelILj256ELj64Eiid21rocsparse_complex_numIdES2_S2_EEvbT1_lPT2_S5_jNS_24const_host_device_scalarIT6_EEPKS3_PKS4_PKT3_PKT4_S8_PT5_21rocsparse_index_base_b, .Lfunc_end191-_ZN9rocsparseL41csrmvn_lrb_medium_rows_warp_reduce_kernelILj256ELj64Eiid21rocsparse_complex_numIdES2_S2_EEvbT1_lPT2_S5_jNS_24const_host_device_scalarIT6_EEPKS3_PKS4_PKT3_PKT4_S8_PT5_21rocsparse_index_base_b
                                        ; -- End function
	.section	.AMDGPU.csdata,"",@progbits
; Kernel info:
; codeLenInByte = 1208
; NumSgprs: 26
; NumVgprs: 34
; NumAgprs: 0
; TotalNumVgprs: 34
; ScratchSize: 0
; MemoryBound: 0
; FloatMode: 240
; IeeeMode: 1
; LDSByteSize: 4096 bytes/workgroup (compile time only)
; SGPRBlocks: 3
; VGPRBlocks: 4
; NumSGPRsForWavesPerEU: 26
; NumVGPRsForWavesPerEU: 34
; AccumOffset: 36
; Occupancy: 8
; WaveLimiterHint : 1
; COMPUTE_PGM_RSRC2:SCRATCH_EN: 0
; COMPUTE_PGM_RSRC2:USER_SGPR: 8
; COMPUTE_PGM_RSRC2:TRAP_HANDLER: 0
; COMPUTE_PGM_RSRC2:TGID_X_EN: 1
; COMPUTE_PGM_RSRC2:TGID_Y_EN: 0
; COMPUTE_PGM_RSRC2:TGID_Z_EN: 0
; COMPUTE_PGM_RSRC2:TIDIG_COMP_CNT: 2
; COMPUTE_PGM_RSRC3_GFX90A:ACCUM_OFFSET: 8
; COMPUTE_PGM_RSRC3_GFX90A:TG_SPLIT: 0
	.section	.text._ZN9rocsparseL29csrmvn_lrb_medium_rows_kernelILj256Eiid21rocsparse_complex_numIdES2_S2_EEvbT0_PT1_S5_jNS_24const_host_device_scalarIT5_EEPKS3_PKS4_PKT2_PKT3_S8_PT4_21rocsparse_index_base_b,"axG",@progbits,_ZN9rocsparseL29csrmvn_lrb_medium_rows_kernelILj256Eiid21rocsparse_complex_numIdES2_S2_EEvbT0_PT1_S5_jNS_24const_host_device_scalarIT5_EEPKS3_PKS4_PKT2_PKT3_S8_PT4_21rocsparse_index_base_b,comdat
	.globl	_ZN9rocsparseL29csrmvn_lrb_medium_rows_kernelILj256Eiid21rocsparse_complex_numIdES2_S2_EEvbT0_PT1_S5_jNS_24const_host_device_scalarIT5_EEPKS3_PKS4_PKT2_PKT3_S8_PT4_21rocsparse_index_base_b ; -- Begin function _ZN9rocsparseL29csrmvn_lrb_medium_rows_kernelILj256Eiid21rocsparse_complex_numIdES2_S2_EEvbT0_PT1_S5_jNS_24const_host_device_scalarIT5_EEPKS3_PKS4_PKT2_PKT3_S8_PT4_21rocsparse_index_base_b
	.p2align	8
	.type	_ZN9rocsparseL29csrmvn_lrb_medium_rows_kernelILj256Eiid21rocsparse_complex_numIdES2_S2_EEvbT0_PT1_S5_jNS_24const_host_device_scalarIT5_EEPKS3_PKS4_PKT2_PKT3_S8_PT4_21rocsparse_index_base_b,@function
_ZN9rocsparseL29csrmvn_lrb_medium_rows_kernelILj256Eiid21rocsparse_complex_numIdES2_S2_EEvbT0_PT1_S5_jNS_24const_host_device_scalarIT5_EEPKS3_PKS4_PKT2_PKT3_S8_PT4_21rocsparse_index_base_b: ; @_ZN9rocsparseL29csrmvn_lrb_medium_rows_kernelILj256Eiid21rocsparse_complex_numIdES2_S2_EEvbT0_PT1_S5_jNS_24const_host_device_scalarIT5_EEPKS3_PKS4_PKT2_PKT3_S8_PT4_21rocsparse_index_base_b
; %bb.0:
	s_load_dwordx2 s[10:11], s[6:7], 0x68
	s_load_dwordx4 s[12:15], s[6:7], 0x20
	s_load_dwordx2 s[20:21], s[4:5], 0x4
	s_load_dwordx4 s[16:19], s[6:7], 0x50
	s_mov_b64 s[2:3], src_shared_base
	v_and_b32_e32 v18, 0x3ff, v0
	s_waitcnt lgkmcnt(0)
	s_bitcmp1_b32 s11, 0
	s_cselect_b64 s[0:1], -1, 0
	s_and_b64 vcc, s[0:1], exec
	s_cselect_b32 s2, s3, s13
	s_lshr_b32 s4, s20, 16
	s_mul_i32 s4, s4, s21
	v_mul_lo_u32 v1, s4, v18
	v_bfe_u32 v2, v0, 10, 10
	v_mad_u32_u24 v1, v2, s21, v1
	v_bfe_u32 v0, v0, 20, 10
	v_add_lshl_u32 v5, v1, v0, 3
	v_mov_b32_e32 v4, s12
	v_add_u32_e32 v6, 0x1800, v5
	v_pk_mov_b32 v[0:1], s[12:13], s[12:13] op_sel:[0,1]
	v_pk_mov_b32 v[2:3], s[16:17], s[16:17] op_sel:[0,1]
	ds_write2st64_b64 v5, v[2:3], v[0:1] offset0:8 offset1:12
	v_cndmask_b32_e64 v0, v4, v6, s[0:1]
	v_mov_b32_e32 v1, s2
	flat_load_dwordx2 v[8:9], v[0:1]
	s_xor_b64 s[4:5], s[0:1], -1
	v_add_u32_e32 v0, 0x1000, v5
	v_pk_mov_b32 v[10:11], s[14:15], s[14:15] op_sel:[0,1]
	s_cbranch_vccnz .LBB192_2
; %bb.1:
	v_pk_mov_b32 v[2:3], s[12:13], s[12:13] op_sel:[0,1]
	flat_load_dwordx2 v[10:11], v[2:3] offset:8
.LBB192_2:
	s_and_b64 s[12:13], s[0:1], exec
	s_cselect_b32 s2, s3, s17
	v_mov_b32_e32 v1, s16
	v_cndmask_b32_e64 v0, v1, v0, s[0:1]
	v_mov_b32_e32 v1, s2
	flat_load_dwordx2 v[4:5], v[0:1]
	s_andn2_b64 vcc, exec, s[4:5]
	v_pk_mov_b32 v[6:7], s[18:19], s[18:19] op_sel:[0,1]
	s_cbranch_vccnz .LBB192_4
; %bb.3:
	v_pk_mov_b32 v[0:1], s[16:17], s[16:17] op_sel:[0,1]
	flat_load_dwordx2 v[6:7], v[0:1] offset:8
.LBB192_4:
	s_waitcnt vmcnt(0) lgkmcnt(0)
	v_cmp_eq_f64_e32 vcc, 0, v[8:9]
	v_cmp_eq_f64_e64 s[0:1], 0, v[10:11]
	s_and_b64 s[4:5], vcc, s[0:1]
	s_mov_b64 s[0:1], -1
	s_and_saveexec_b64 s[2:3], s[4:5]
; %bb.5:
	v_cmp_neq_f64_e32 vcc, 1.0, v[4:5]
	v_cmp_neq_f64_e64 s[0:1], 0, v[6:7]
	s_or_b64 s[0:1], vcc, s[0:1]
	s_orn2_b64 s[0:1], s[0:1], exec
; %bb.6:
	s_or_b64 exec, exec, s[2:3]
	s_and_saveexec_b64 s[2:3], s[0:1]
	s_cbranch_execz .LBB192_31
; %bb.7:
	s_load_dword s4, s[6:7], 0x18
	s_load_dwordx4 s[0:3], s[6:7], 0x8
	s_mov_b32 s5, 0
	v_subrev_u32_e32 v0, s10, v18
	v_pk_mov_b32 v[2:3], 0, 0
	s_waitcnt lgkmcnt(0)
	s_lshl_b64 s[4:5], s[4:5], 2
	s_add_u32 s2, s2, s4
	s_addc_u32 s3, s3, s5
	s_load_dword s2, s[2:3], 0x0
	s_mov_b64 s[12:13], 0
	s_waitcnt lgkmcnt(0)
	s_add_i32 s2, s2, s8
	s_ashr_i32 s3, s2, 31
	s_lshl_b64 s[2:3], s[2:3], 2
	s_add_u32 s0, s0, s2
	s_addc_u32 s1, s1, s3
	s_load_dword s4, s[0:1], 0x0
	s_load_dwordx2 s[2:3], s[6:7], 0x30
	s_waitcnt lgkmcnt(0)
	s_ashr_i32 s5, s4, 31
	s_lshl_b64 s[0:1], s[4:5], 2
	s_add_u32 s0, s2, s0
	s_addc_u32 s1, s3, s1
	s_load_dwordx2 s[2:3], s[0:1], 0x0
	s_load_dwordx2 s[8:9], s[6:7], 0x60
	s_waitcnt lgkmcnt(0)
	s_sub_i32 s11, s3, s10
	v_add_u32_e32 v12, s2, v0
	v_cmp_gt_i32_e32 vcc, s11, v12
	v_pk_mov_b32 v[0:1], v[2:3], v[2:3] op_sel:[0,1]
	s_and_saveexec_b64 s[14:15], vcc
	s_cbranch_execz .LBB192_11
; %bb.8:
	s_load_dwordx2 s[16:17], s[6:7], 0x48
	s_load_dwordx4 s[0:3], s[6:7], 0x38
	s_mov_b32 s6, 0
	s_brev_b32 s7, 1
	v_pk_mov_b32 v[2:3], 0, 0
	v_mul_f64 v[14:15], v[10:11], s[6:7]
	v_mul_f64 v[16:17], v[8:9], 0
	s_waitcnt lgkmcnt(0)
	v_mov_b32_e32 v19, s3
	v_mov_b32_e32 v20, s1
	;; [unrolled: 1-line block ×3, first 2 shown]
	v_pk_mov_b32 v[0:1], v[2:3], v[2:3] op_sel:[0,1]
.LBB192_9:                              ; =>This Inner Loop Header: Depth=1
	v_ashrrev_i32_e32 v13, 31, v12
	v_lshlrev_b64 v[22:23], 2, v[12:13]
	v_add_co_u32_e32 v22, vcc, s0, v22
	v_addc_co_u32_e32 v23, vcc, v20, v23, vcc
	global_load_dword v24, v[22:23], off
	v_lshlrev_b64 v[22:23], 3, v[12:13]
	v_add_co_u32_e32 v22, vcc, s2, v22
	v_addc_co_u32_e32 v23, vcc, v19, v23, vcc
	global_load_dwordx2 v[26:27], v[22:23], off
	v_add_u32_e32 v12, 0x100, v12
	s_waitcnt vmcnt(1)
	v_subrev_u32_e32 v22, s10, v24
	v_ashrrev_i32_e32 v23, 31, v22
	v_lshlrev_b64 v[22:23], 4, v[22:23]
	v_add_co_u32_e32 v22, vcc, s16, v22
	v_addc_co_u32_e32 v23, vcc, v21, v23, vcc
	global_load_dwordx4 v[22:25], v[22:23], off
	s_waitcnt vmcnt(1)
	v_fma_f64 v[28:29], v[8:9], v[26:27], v[14:15]
	v_fma_f64 v[26:27], v[10:11], v[26:27], v[16:17]
	v_cmp_le_i32_e32 vcc, s11, v12
	s_or_b64 s[12:13], vcc, s[12:13]
	s_waitcnt vmcnt(0)
	v_fmac_f64_e32 v[0:1], v[28:29], v[22:23]
	v_fmac_f64_e32 v[2:3], v[26:27], v[22:23]
	v_fma_f64 v[0:1], -v[26:27], v[24:25], v[0:1]
	v_fmac_f64_e32 v[2:3], v[28:29], v[24:25]
	s_andn2_b64 exec, exec, s[12:13]
	s_cbranch_execnz .LBB192_9
; %bb.10:
	s_or_b64 exec, exec, s[12:13]
.LBB192_11:
	s_or_b64 exec, exec, s[14:15]
	s_movk_i32 s0, 0x80
	v_lshlrev_b32_e32 v8, 4, v18
	v_cmp_gt_u32_e32 vcc, s0, v18
	ds_write_b128 v8, v[0:3]
	s_waitcnt lgkmcnt(0)
	s_barrier
	s_and_saveexec_b64 s[0:1], vcc
	s_cbranch_execz .LBB192_13
; %bb.12:
	ds_read_b128 v[0:3], v8 offset:2048
	ds_read_b128 v[10:13], v8
	s_waitcnt lgkmcnt(0)
	v_add_f64 v[0:1], v[0:1], v[10:11]
	v_add_f64 v[2:3], v[2:3], v[12:13]
	ds_write_b128 v8, v[0:3]
.LBB192_13:
	s_or_b64 exec, exec, s[0:1]
	v_cmp_gt_u32_e32 vcc, 64, v18
	s_waitcnt lgkmcnt(0)
	s_barrier
	s_and_saveexec_b64 s[0:1], vcc
	s_cbranch_execz .LBB192_15
; %bb.14:
	ds_read_b128 v[0:3], v8 offset:1024
	ds_read_b128 v[10:13], v8
	s_waitcnt lgkmcnt(0)
	v_add_f64 v[0:1], v[0:1], v[10:11]
	v_add_f64 v[2:3], v[2:3], v[12:13]
	ds_write_b128 v8, v[0:3]
.LBB192_15:
	s_or_b64 exec, exec, s[0:1]
	v_cmp_gt_u32_e32 vcc, 32, v18
	;; [unrolled: 14-line block ×6, first 2 shown]
	s_waitcnt lgkmcnt(0)
	s_barrier
	s_and_saveexec_b64 s[0:1], vcc
	s_cbranch_execz .LBB192_25
; %bb.24:
	ds_read_b128 v[0:3], v8
	ds_read_b128 v[10:13], v8 offset:32
	s_waitcnt lgkmcnt(0)
	v_add_f64 v[0:1], v[10:11], v[0:1]
	v_add_f64 v[2:3], v[12:13], v[2:3]
	ds_write_b128 v8, v[0:3]
.LBB192_25:
	s_or_b64 exec, exec, s[0:1]
	v_cmp_eq_u32_e32 vcc, 0, v18
	s_waitcnt lgkmcnt(0)
	s_barrier
	s_and_saveexec_b64 s[0:1], vcc
	s_cbranch_execz .LBB192_27
; %bb.26:
	v_mov_b32_e32 v12, 0
	ds_read_b128 v[0:3], v12
	ds_read_b128 v[8:11], v12 offset:16
	s_waitcnt lgkmcnt(0)
	v_add_f64 v[0:1], v[8:9], v[0:1]
	v_add_f64 v[2:3], v[10:11], v[2:3]
	ds_write_b128 v12, v[0:3]
.LBB192_27:
	s_or_b64 exec, exec, s[0:1]
	s_waitcnt lgkmcnt(0)
	s_barrier
	s_and_b64 exec, exec, vcc
	s_cbranch_execz .LBB192_31
; %bb.28:
	v_mov_b32_e32 v8, 0
	ds_read_b128 v[0:3], v8
	v_cmp_neq_f64_e32 vcc, 0, v[4:5]
	v_cmp_neq_f64_e64 s[0:1], 0, v[6:7]
	s_or_b64 s[2:3], vcc, s[0:1]
	s_and_saveexec_b64 s[0:1], s[2:3]
	s_cbranch_execz .LBB192_30
; %bb.29:
	s_lshl_b64 s[2:3], s[4:5], 4
	s_add_u32 s2, s8, s2
	s_addc_u32 s3, s9, s3
	s_load_dwordx4 s[12:15], s[2:3], 0x0
	s_waitcnt lgkmcnt(0)
	v_fmac_f64_e32 v[0:1], s[12:13], v[4:5]
	v_fmac_f64_e32 v[2:3], s[12:13], v[6:7]
	v_fma_f64 v[0:1], -v[6:7], s[14:15], v[0:1]
	v_fmac_f64_e32 v[2:3], s[14:15], v[4:5]
.LBB192_30:
	s_or_b64 exec, exec, s[0:1]
	s_lshl_b64 s[0:1], s[4:5], 4
	s_add_u32 s0, s8, s0
	s_addc_u32 s1, s9, s1
	s_waitcnt lgkmcnt(0)
	global_store_dwordx4 v8, v[0:3], s[0:1]
.LBB192_31:
	s_endpgm
	.section	.rodata,"a",@progbits
	.p2align	6, 0x0
	.amdhsa_kernel _ZN9rocsparseL29csrmvn_lrb_medium_rows_kernelILj256Eiid21rocsparse_complex_numIdES2_S2_EEvbT0_PT1_S5_jNS_24const_host_device_scalarIT5_EEPKS3_PKS4_PKT2_PKT3_S8_PT4_21rocsparse_index_base_b
		.amdhsa_group_segment_fixed_size 8192
		.amdhsa_private_segment_fixed_size 0
		.amdhsa_kernarg_size 112
		.amdhsa_user_sgpr_count 8
		.amdhsa_user_sgpr_private_segment_buffer 1
		.amdhsa_user_sgpr_dispatch_ptr 1
		.amdhsa_user_sgpr_queue_ptr 0
		.amdhsa_user_sgpr_kernarg_segment_ptr 1
		.amdhsa_user_sgpr_dispatch_id 0
		.amdhsa_user_sgpr_flat_scratch_init 0
		.amdhsa_user_sgpr_kernarg_preload_length 0
		.amdhsa_user_sgpr_kernarg_preload_offset 0
		.amdhsa_user_sgpr_private_segment_size 0
		.amdhsa_uses_dynamic_stack 0
		.amdhsa_system_sgpr_private_segment_wavefront_offset 0
		.amdhsa_system_sgpr_workgroup_id_x 1
		.amdhsa_system_sgpr_workgroup_id_y 0
		.amdhsa_system_sgpr_workgroup_id_z 0
		.amdhsa_system_sgpr_workgroup_info 0
		.amdhsa_system_vgpr_workitem_id 2
		.amdhsa_next_free_vgpr 30
		.amdhsa_next_free_sgpr 22
		.amdhsa_accum_offset 32
		.amdhsa_reserve_vcc 1
		.amdhsa_reserve_flat_scratch 0
		.amdhsa_float_round_mode_32 0
		.amdhsa_float_round_mode_16_64 0
		.amdhsa_float_denorm_mode_32 3
		.amdhsa_float_denorm_mode_16_64 3
		.amdhsa_dx10_clamp 1
		.amdhsa_ieee_mode 1
		.amdhsa_fp16_overflow 0
		.amdhsa_tg_split 0
		.amdhsa_exception_fp_ieee_invalid_op 0
		.amdhsa_exception_fp_denorm_src 0
		.amdhsa_exception_fp_ieee_div_zero 0
		.amdhsa_exception_fp_ieee_overflow 0
		.amdhsa_exception_fp_ieee_underflow 0
		.amdhsa_exception_fp_ieee_inexact 0
		.amdhsa_exception_int_div_zero 0
	.end_amdhsa_kernel
	.section	.text._ZN9rocsparseL29csrmvn_lrb_medium_rows_kernelILj256Eiid21rocsparse_complex_numIdES2_S2_EEvbT0_PT1_S5_jNS_24const_host_device_scalarIT5_EEPKS3_PKS4_PKT2_PKT3_S8_PT4_21rocsparse_index_base_b,"axG",@progbits,_ZN9rocsparseL29csrmvn_lrb_medium_rows_kernelILj256Eiid21rocsparse_complex_numIdES2_S2_EEvbT0_PT1_S5_jNS_24const_host_device_scalarIT5_EEPKS3_PKS4_PKT2_PKT3_S8_PT4_21rocsparse_index_base_b,comdat
.Lfunc_end192:
	.size	_ZN9rocsparseL29csrmvn_lrb_medium_rows_kernelILj256Eiid21rocsparse_complex_numIdES2_S2_EEvbT0_PT1_S5_jNS_24const_host_device_scalarIT5_EEPKS3_PKS4_PKT2_PKT3_S8_PT4_21rocsparse_index_base_b, .Lfunc_end192-_ZN9rocsparseL29csrmvn_lrb_medium_rows_kernelILj256Eiid21rocsparse_complex_numIdES2_S2_EEvbT0_PT1_S5_jNS_24const_host_device_scalarIT5_EEPKS3_PKS4_PKT2_PKT3_S8_PT4_21rocsparse_index_base_b
                                        ; -- End function
	.section	.AMDGPU.csdata,"",@progbits
; Kernel info:
; codeLenInByte = 1428
; NumSgprs: 26
; NumVgprs: 30
; NumAgprs: 0
; TotalNumVgprs: 30
; ScratchSize: 0
; MemoryBound: 0
; FloatMode: 240
; IeeeMode: 1
; LDSByteSize: 8192 bytes/workgroup (compile time only)
; SGPRBlocks: 3
; VGPRBlocks: 3
; NumSGPRsForWavesPerEU: 26
; NumVGPRsForWavesPerEU: 30
; AccumOffset: 32
; Occupancy: 8
; WaveLimiterHint : 1
; COMPUTE_PGM_RSRC2:SCRATCH_EN: 0
; COMPUTE_PGM_RSRC2:USER_SGPR: 8
; COMPUTE_PGM_RSRC2:TRAP_HANDLER: 0
; COMPUTE_PGM_RSRC2:TGID_X_EN: 1
; COMPUTE_PGM_RSRC2:TGID_Y_EN: 0
; COMPUTE_PGM_RSRC2:TGID_Z_EN: 0
; COMPUTE_PGM_RSRC2:TIDIG_COMP_CNT: 2
; COMPUTE_PGM_RSRC3_GFX90A:ACCUM_OFFSET: 7
; COMPUTE_PGM_RSRC3_GFX90A:TG_SPLIT: 0
	.section	.text._ZN9rocsparseL27csrmvn_lrb_long_rows_kernelIiid21rocsparse_complex_numIdES2_S2_EEvbT_PjPT0_S6_jNS_24const_host_device_scalarIT4_EEPKS3_PKS5_PKT1_PKT2_S9_PT3_21rocsparse_index_base_b,"axG",@progbits,_ZN9rocsparseL27csrmvn_lrb_long_rows_kernelIiid21rocsparse_complex_numIdES2_S2_EEvbT_PjPT0_S6_jNS_24const_host_device_scalarIT4_EEPKS3_PKS5_PKT1_PKT2_S9_PT3_21rocsparse_index_base_b,comdat
	.globl	_ZN9rocsparseL27csrmvn_lrb_long_rows_kernelIiid21rocsparse_complex_numIdES2_S2_EEvbT_PjPT0_S6_jNS_24const_host_device_scalarIT4_EEPKS3_PKS5_PKT1_PKT2_S9_PT3_21rocsparse_index_base_b ; -- Begin function _ZN9rocsparseL27csrmvn_lrb_long_rows_kernelIiid21rocsparse_complex_numIdES2_S2_EEvbT_PjPT0_S6_jNS_24const_host_device_scalarIT4_EEPKS3_PKS5_PKT1_PKT2_S9_PT3_21rocsparse_index_base_b
	.p2align	8
	.type	_ZN9rocsparseL27csrmvn_lrb_long_rows_kernelIiid21rocsparse_complex_numIdES2_S2_EEvbT_PjPT0_S6_jNS_24const_host_device_scalarIT4_EEPKS3_PKS5_PKT1_PKT2_S9_PT3_21rocsparse_index_base_b,@function
_ZN9rocsparseL27csrmvn_lrb_long_rows_kernelIiid21rocsparse_complex_numIdES2_S2_EEvbT_PjPT0_S6_jNS_24const_host_device_scalarIT4_EEPKS3_PKS5_PKT1_PKT2_S9_PT3_21rocsparse_index_base_b: ; @_ZN9rocsparseL27csrmvn_lrb_long_rows_kernelIiid21rocsparse_complex_numIdES2_S2_EEvbT_PjPT0_S6_jNS_24const_host_device_scalarIT4_EEPKS3_PKS5_PKT1_PKT2_S9_PT3_21rocsparse_index_base_b
; %bb.0:
	s_load_dwordx2 s[20:21], s[6:7], 0x70
	s_load_dwordx4 s[12:15], s[6:7], 0x28
	s_load_dwordx2 s[10:11], s[4:5], 0x4
	s_load_dwordx4 s[16:19], s[6:7], 0x58
	s_mov_b64 s[2:3], src_shared_base
	v_and_b32_e32 v14, 0x3ff, v0
	s_waitcnt lgkmcnt(0)
	s_bitcmp1_b32 s21, 0
	s_cselect_b64 s[0:1], -1, 0
	s_and_b64 vcc, s[0:1], exec
	s_cselect_b32 s2, s3, s13
	s_lshr_b32 s4, s10, 16
	s_mul_i32 s4, s4, s11
	v_mul_lo_u32 v1, s4, v14
	v_bfe_u32 v2, v0, 10, 10
	v_mad_u32_u24 v1, v2, s11, v1
	v_bfe_u32 v0, v0, 20, 10
	v_add_lshl_u32 v6, v1, v0, 3
	v_mov_b32_e32 v4, s12
	v_add_u32_e32 v5, 0x1800, v6
	v_pk_mov_b32 v[0:1], s[12:13], s[12:13] op_sel:[0,1]
	v_pk_mov_b32 v[2:3], s[16:17], s[16:17] op_sel:[0,1]
	ds_write2st64_b64 v6, v[2:3], v[0:1] offset0:8 offset1:12
	v_cndmask_b32_e64 v0, v4, v5, s[0:1]
	v_mov_b32_e32 v1, s2
	flat_load_dwordx2 v[4:5], v[0:1]
	s_xor_b64 s[4:5], s[0:1], -1
	v_add_u32_e32 v0, 0x1000, v6
	v_pk_mov_b32 v[6:7], s[14:15], s[14:15] op_sel:[0,1]
	s_cbranch_vccnz .LBB193_2
; %bb.1:
	v_pk_mov_b32 v[2:3], s[12:13], s[12:13] op_sel:[0,1]
	flat_load_dwordx2 v[6:7], v[2:3] offset:8
.LBB193_2:
	s_and_b64 s[10:11], s[0:1], exec
	s_cselect_b32 s2, s3, s17
	v_mov_b32_e32 v1, s16
	v_cndmask_b32_e64 v0, v1, v0, s[0:1]
	v_mov_b32_e32 v1, s2
	flat_load_dwordx2 v[10:11], v[0:1]
	s_andn2_b64 vcc, exec, s[4:5]
	v_pk_mov_b32 v[8:9], s[18:19], s[18:19] op_sel:[0,1]
	s_cbranch_vccnz .LBB193_4
; %bb.3:
	v_pk_mov_b32 v[0:1], s[16:17], s[16:17] op_sel:[0,1]
	flat_load_dwordx2 v[8:9], v[0:1] offset:8
.LBB193_4:
	s_waitcnt vmcnt(0) lgkmcnt(0)
	v_cmp_eq_f64_e32 vcc, 0, v[4:5]
	v_cmp_eq_f64_e64 s[0:1], 0, v[6:7]
	s_and_b64 s[4:5], vcc, s[0:1]
	s_mov_b64 s[0:1], -1
	s_and_saveexec_b64 s[2:3], s[4:5]
; %bb.5:
	v_cmp_neq_f64_e32 vcc, 1.0, v[10:11]
	v_cmp_neq_f64_e64 s[0:1], 0, v[8:9]
	s_or_b64 s[0:1], vcc, s[0:1]
	s_orn2_b64 s[0:1], s[0:1], exec
; %bb.6:
	s_or_b64 exec, exec, s[2:3]
	s_and_saveexec_b64 s[2:3], s[0:1]
	s_cbranch_execz .LBB193_44
; %bb.7:
	s_load_dword s0, s[6:7], 0x20
	s_load_dwordx2 s[2:3], s[6:7], 0x18
	s_mov_b32 s1, 0
	s_waitcnt lgkmcnt(0)
	s_lshl_b64 s[4:5], s[0:1], 2
	s_add_u32 s4, s2, s4
	s_addc_u32 s5, s3, s5
	s_lshl_b32 s0, -1, s0
	s_not_b32 s0, s0
	s_mul_hi_u32 s0, s0, 0x2aaaaaab
	s_lshr_b32 s9, s0, 7
	s_add_i32 s10, s9, 1
	v_cvt_f32_u32_e32 v0, s10
	s_load_dwordx4 s[0:3], s[6:7], 0x8
	s_load_dword s11, s[4:5], 0x0
	s_not_b32 s4, s9
	v_rcp_iflag_f32_e32 v0, v0
	v_mul_f32_e32 v0, 0x4f7ffffe, v0
	v_cvt_u32_f32_e32 v0, v0
	v_readfirstlane_b32 s5, v0
	s_mul_i32 s4, s4, s5
	s_mul_hi_u32 s4, s5, s4
	s_add_i32 s5, s5, s4
	s_mul_hi_u32 s4, s8, s5
	s_mul_i32 s5, s4, s10
	s_sub_i32 s5, s8, s5
	s_add_i32 s9, s4, 1
	s_sub_i32 s12, s5, s10
	s_cmp_ge_u32 s5, s10
	s_cselect_b32 s4, s9, s4
	s_cselect_b32 s5, s12, s5
	s_add_i32 s9, s4, 1
	s_cmp_ge_u32 s5, s10
	s_cselect_b32 s4, s9, s4
	s_mul_i32 s14, s4, s10
	s_waitcnt lgkmcnt(0)
	s_add_i32 s4, s4, s11
	s_ashr_i32 s5, s4, 31
	s_sub_i32 s24, s8, s14
	s_lshl_b64 s[4:5], s[4:5], 2
	s_add_u32 s10, s2, s4
	s_addc_u32 s11, s3, s5
	s_load_dword s4, s[10:11], 0x0
	s_load_dwordx2 s[12:13], s[6:7], 0x38
	s_load_dwordx2 s[2:3], s[6:7], 0x68
	v_or_b32_e32 v0, s24, v14
	v_cmp_eq_u32_e32 vcc, 0, v0
	s_waitcnt lgkmcnt(0)
	s_ashr_i32 s5, s4, 31
	s_lshl_b64 s[10:11], s[4:5], 2
	s_add_u32 s10, s12, s10
	s_addc_u32 s11, s13, s11
	s_ashr_i32 s9, s8, 31
	s_lshl_b64 s[8:9], s[8:9], 2
	s_add_u32 s12, s0, s8
	s_addc_u32 s13, s1, s9
	s_load_dwordx2 s[16:17], s[10:11], 0x0
	s_load_dword s21, s[12:13], 0x0
	v_pk_mov_b32 v[0:1], 0, 0
	v_pk_mov_b32 v[2:3], v[0:1], v[0:1] op_sel:[0,1]
	s_and_saveexec_b64 s[18:19], vcc
	s_cbranch_execz .LBB193_11
; %bb.8:
	s_lshl_b64 s[8:9], s[4:5], 4
	s_add_u32 s8, s2, s8
	s_addc_u32 s9, s3, s9
	s_load_dwordx4 s[8:11], s[8:9], 0x0
	s_mov_b64 s[22:23], exec
	v_mbcnt_lo_u32_b32 v12, s22, 0
	v_add_f64 v[10:11], v[10:11], -1.0
	v_mbcnt_hi_u32_b32 v12, s23, v12
	s_waitcnt lgkmcnt(0)
	v_mul_f64 v[0:1], s[10:11], -v[8:9]
	v_mul_f64 v[2:3], v[10:11], s[10:11]
	v_cmp_eq_u32_e32 vcc, 0, v12
	s_waitcnt vmcnt(0) expcnt(0) lgkmcnt(0)
	s_and_saveexec_b64 s[10:11], vcc
	s_cbranch_execz .LBB193_10
; %bb.9:
	s_ashr_i32 s15, s14, 31
	s_lshl_b64 s[26:27], s[14:15], 2
	s_add_u32 s26, s0, s26
	s_addc_u32 s27, s1, s27
	s_bcnt1_i32_b64 s15, s[22:23]
	s_and_b32 s15, s15, 1
	v_mov_b32_e32 v12, 0
	v_mov_b32_e32 v13, s15
	global_atomic_xor v12, v13, s[26:27]
.LBB193_10:
	s_or_b64 exec, exec, s[10:11]
	v_fmac_f64_e32 v[0:1], s[8:9], v[10:11]
	v_fmac_f64_e32 v[2:3], s[8:9], v[8:9]
.LBB193_11:
	s_or_b64 exec, exec, s[18:19]
	s_mul_i32 s8, s24, 0x300
	s_sub_i32 s8, s8, s20
	s_waitcnt lgkmcnt(0)
	s_add_i32 s8, s8, s16
	s_sub_i32 s9, s17, s20
	s_add_i32 s10, s8, 0x300
	s_min_i32 s15, s10, s9
	v_add_u32_e32 v8, s8, v14
	v_cmp_gt_i32_e32 vcc, s15, v8
	s_and_saveexec_b64 s[16:17], vcc
	s_cbranch_execz .LBB193_15
; %bb.12:
	s_load_dwordx2 s[18:19], s[6:7], 0x50
	s_load_dwordx4 s[8:11], s[6:7], 0x40
	s_mov_b32 s6, 0
	s_brev_b32 s7, 1
	v_mul_f64 v[10:11], v[6:7], s[6:7]
	s_mov_b64 s[6:7], 0
	v_mul_f64 v[12:13], v[4:5], 0
	s_waitcnt lgkmcnt(0)
	v_mov_b32_e32 v15, s11
	v_mov_b32_e32 v16, s9
	v_mov_b32_e32 v17, s19
.LBB193_13:                             ; =>This Inner Loop Header: Depth=1
	v_ashrrev_i32_e32 v9, 31, v8
	v_lshlrev_b64 v[18:19], 2, v[8:9]
	v_add_co_u32_e32 v18, vcc, s8, v18
	v_addc_co_u32_e32 v19, vcc, v16, v19, vcc
	global_load_dword v20, v[18:19], off
	v_lshlrev_b64 v[18:19], 3, v[8:9]
	v_add_co_u32_e32 v18, vcc, s10, v18
	v_addc_co_u32_e32 v19, vcc, v15, v19, vcc
	global_load_dwordx2 v[22:23], v[18:19], off
	v_add_u32_e32 v8, 0x100, v8
	s_waitcnt vmcnt(1)
	v_subrev_u32_e32 v18, s20, v20
	v_ashrrev_i32_e32 v19, 31, v18
	v_lshlrev_b64 v[18:19], 4, v[18:19]
	v_add_co_u32_e32 v18, vcc, s18, v18
	v_addc_co_u32_e32 v19, vcc, v17, v19, vcc
	global_load_dwordx4 v[18:21], v[18:19], off
	s_waitcnt vmcnt(1)
	v_fma_f64 v[24:25], v[4:5], v[22:23], v[10:11]
	v_fma_f64 v[22:23], v[6:7], v[22:23], v[12:13]
	v_cmp_le_i32_e32 vcc, s15, v8
	s_or_b64 s[6:7], vcc, s[6:7]
	s_waitcnt vmcnt(0)
	v_fmac_f64_e32 v[0:1], v[24:25], v[18:19]
	v_fmac_f64_e32 v[2:3], v[22:23], v[18:19]
	v_fma_f64 v[0:1], -v[22:23], v[20:21], v[0:1]
	v_fmac_f64_e32 v[2:3], v[24:25], v[20:21]
	s_andn2_b64 exec, exec, s[6:7]
	s_cbranch_execnz .LBB193_13
; %bb.14:
	s_or_b64 exec, exec, s[6:7]
.LBB193_15:
	s_or_b64 exec, exec, s[16:17]
	s_movk_i32 s6, 0x80
	v_lshlrev_b32_e32 v4, 4, v14
	v_cmp_gt_u32_e32 vcc, s6, v14
	ds_write_b128 v4, v[0:3]
	s_waitcnt lgkmcnt(0)
	s_barrier
	s_and_saveexec_b64 s[6:7], vcc
	s_cbranch_execz .LBB193_17
; %bb.16:
	ds_read_b128 v[0:3], v4 offset:2048
	ds_read_b128 v[6:9], v4
	s_waitcnt lgkmcnt(0)
	v_add_f64 v[0:1], v[0:1], v[6:7]
	v_add_f64 v[2:3], v[2:3], v[8:9]
	ds_write_b128 v4, v[0:3]
.LBB193_17:
	s_or_b64 exec, exec, s[6:7]
	v_cmp_gt_u32_e32 vcc, 64, v14
	s_waitcnt lgkmcnt(0)
	s_barrier
	s_and_saveexec_b64 s[6:7], vcc
	s_cbranch_execz .LBB193_19
; %bb.18:
	ds_read_b128 v[0:3], v4 offset:1024
	ds_read_b128 v[6:9], v4
	s_waitcnt lgkmcnt(0)
	v_add_f64 v[0:1], v[0:1], v[6:7]
	v_add_f64 v[2:3], v[2:3], v[8:9]
	ds_write_b128 v4, v[0:3]
.LBB193_19:
	s_or_b64 exec, exec, s[6:7]
	v_cmp_gt_u32_e32 vcc, 32, v14
	;; [unrolled: 14-line block ×6, first 2 shown]
	s_waitcnt lgkmcnt(0)
	s_barrier
	s_and_saveexec_b64 s[6:7], vcc
	s_cbranch_execz .LBB193_29
; %bb.28:
	ds_read_b128 v[0:3], v4
	ds_read_b128 v[6:9], v4 offset:32
	s_waitcnt lgkmcnt(0)
	v_add_f64 v[0:1], v[6:7], v[0:1]
	v_add_f64 v[2:3], v[8:9], v[2:3]
	ds_write_b128 v4, v[0:3]
.LBB193_29:
	s_or_b64 exec, exec, s[6:7]
	v_cmp_eq_u32_e32 vcc, 0, v14
	s_waitcnt lgkmcnt(0)
	s_barrier
	s_and_saveexec_b64 s[6:7], vcc
	s_cbranch_execz .LBB193_31
; %bb.30:
	v_mov_b32_e32 v8, 0
	ds_read_b128 v[0:3], v8
	ds_read_b128 v[4:7], v8 offset:16
	s_waitcnt lgkmcnt(0)
	v_add_f64 v[0:1], v[4:5], v[0:1]
	v_add_f64 v[2:3], v[6:7], v[2:3]
	ds_write_b128 v8, v[0:3]
.LBB193_31:
	s_or_b64 exec, exec, s[6:7]
	s_waitcnt lgkmcnt(0)
	s_barrier
	s_and_b64 exec, exec, vcc
	s_cbranch_execz .LBB193_44
; %bb.32:
	s_cmp_eq_u32 s24, 0
	s_cbranch_scc1 .LBB193_38
; %bb.33:
	s_ashr_i32 s15, s14, 31
	s_lshl_b64 s[6:7], s[14:15], 2
	s_add_u32 s0, s0, s6
	s_addc_u32 s1, s1, s7
	v_mov_b32_e32 v0, 0
	s_branch .LBB193_35
.LBB193_34:                             ;   in Loop: Header=BB193_35 Depth=1
	s_or_b64 exec, exec, s[6:7]
	s_waitcnt vmcnt(0)
	v_readfirstlane_b32 s6, v1
	s_cmp_eq_u32 s6, s21
	s_cbranch_scc0 .LBB193_37
.LBB193_35:                             ; =>This Inner Loop Header: Depth=1
	v_mbcnt_lo_u32_b32 v1, exec_lo, 0
	v_mbcnt_hi_u32_b32 v1, exec_hi, v1
	v_cmp_eq_u32_e32 vcc, 0, v1
                                        ; implicit-def: $vgpr1
	s_and_saveexec_b64 s[6:7], vcc
	s_cbranch_execz .LBB193_34
; %bb.36:                               ;   in Loop: Header=BB193_35 Depth=1
	global_load_dword v1, v0, s[0:1] glc
	s_branch .LBB193_34
.LBB193_37:
	v_mov_b32_e32 v0, 0
	global_load_dword v1, v0, s[12:13]
	s_waitcnt vmcnt(0)
	v_xor_b32_e32 v1, 1, v1
	global_store_dword v0, v1, s[12:13]
.LBB193_38:
	v_mov_b32_e32 v8, 0
	ds_read_b128 v[0:3], v8
	s_mov_b64 s[6:7], exec
	s_lshl_b64 s[0:1], s[4:5], 4
	v_mbcnt_lo_u32_b32 v4, s6, 0
	s_add_u32 s0, s2, s0
	v_mbcnt_hi_u32_b32 v4, s7, v4
	s_addc_u32 s1, s3, s1
	v_cmp_eq_u32_e32 vcc, 0, v4
	s_and_saveexec_b64 s[2:3], vcc
	s_cbranch_execz .LBB193_41
; %bb.39:
	global_load_dwordx2 v[6:7], v8, s[0:1]
	s_bcnt1_i32_b64 s4, s[6:7]
	v_cvt_f64_u32_e32 v[4:5], s4
	s_waitcnt lgkmcnt(0)
	v_mul_f64 v[0:1], v[0:1], v[4:5]
	s_mov_b64 s[4:5], 0
.LBB193_40:                             ; =>This Inner Loop Header: Depth=1
	s_waitcnt vmcnt(0)
	v_add_f64 v[4:5], v[6:7], v[0:1]
	global_atomic_cmpswap_x2 v[4:5], v8, v[4:7], s[0:1] glc
	s_waitcnt vmcnt(0)
	v_cmp_eq_u64_e32 vcc, v[4:5], v[6:7]
	s_or_b64 s[4:5], vcc, s[4:5]
	v_pk_mov_b32 v[6:7], v[4:5], v[4:5] op_sel:[0,1]
	s_andn2_b64 exec, exec, s[4:5]
	s_cbranch_execnz .LBB193_40
.LBB193_41:
	s_or_b64 exec, exec, s[2:3]
	s_mov_b64 s[2:3], exec
	s_waitcnt lgkmcnt(0)
	v_mbcnt_lo_u32_b32 v0, s2, 0
	v_mbcnt_hi_u32_b32 v0, s3, v0
	v_cmp_eq_u32_e32 vcc, 0, v0
	s_and_b64 s[4:5], exec, vcc
	s_mov_b64 exec, s[4:5]
	s_cbranch_execz .LBB193_44
; %bb.42:
	v_mov_b32_e32 v6, 0
	global_load_dwordx2 v[4:5], v6, s[0:1] offset:8
	s_bcnt1_i32_b64 s2, s[2:3]
	v_cvt_f64_u32_e32 v[0:1], s2
	v_mul_f64 v[0:1], v[2:3], v[0:1]
	s_mov_b64 s[2:3], 0
.LBB193_43:                             ; =>This Inner Loop Header: Depth=1
	s_waitcnt vmcnt(0)
	v_add_f64 v[2:3], v[4:5], v[0:1]
	global_atomic_cmpswap_x2 v[2:3], v6, v[2:5], s[0:1] offset:8 glc
	s_waitcnt vmcnt(0)
	v_cmp_eq_u64_e32 vcc, v[2:3], v[4:5]
	s_or_b64 s[2:3], vcc, s[2:3]
	v_pk_mov_b32 v[4:5], v[2:3], v[2:3] op_sel:[0,1]
	s_andn2_b64 exec, exec, s[2:3]
	s_cbranch_execnz .LBB193_43
.LBB193_44:
	s_endpgm
	.section	.rodata,"a",@progbits
	.p2align	6, 0x0
	.amdhsa_kernel _ZN9rocsparseL27csrmvn_lrb_long_rows_kernelIiid21rocsparse_complex_numIdES2_S2_EEvbT_PjPT0_S6_jNS_24const_host_device_scalarIT4_EEPKS3_PKS5_PKT1_PKT2_S9_PT3_21rocsparse_index_base_b
		.amdhsa_group_segment_fixed_size 8192
		.amdhsa_private_segment_fixed_size 0
		.amdhsa_kernarg_size 120
		.amdhsa_user_sgpr_count 8
		.amdhsa_user_sgpr_private_segment_buffer 1
		.amdhsa_user_sgpr_dispatch_ptr 1
		.amdhsa_user_sgpr_queue_ptr 0
		.amdhsa_user_sgpr_kernarg_segment_ptr 1
		.amdhsa_user_sgpr_dispatch_id 0
		.amdhsa_user_sgpr_flat_scratch_init 0
		.amdhsa_user_sgpr_kernarg_preload_length 0
		.amdhsa_user_sgpr_kernarg_preload_offset 0
		.amdhsa_user_sgpr_private_segment_size 0
		.amdhsa_uses_dynamic_stack 0
		.amdhsa_system_sgpr_private_segment_wavefront_offset 0
		.amdhsa_system_sgpr_workgroup_id_x 1
		.amdhsa_system_sgpr_workgroup_id_y 0
		.amdhsa_system_sgpr_workgroup_id_z 0
		.amdhsa_system_sgpr_workgroup_info 0
		.amdhsa_system_vgpr_workitem_id 2
		.amdhsa_next_free_vgpr 26
		.amdhsa_next_free_sgpr 28
		.amdhsa_accum_offset 28
		.amdhsa_reserve_vcc 1
		.amdhsa_reserve_flat_scratch 0
		.amdhsa_float_round_mode_32 0
		.amdhsa_float_round_mode_16_64 0
		.amdhsa_float_denorm_mode_32 3
		.amdhsa_float_denorm_mode_16_64 3
		.amdhsa_dx10_clamp 1
		.amdhsa_ieee_mode 1
		.amdhsa_fp16_overflow 0
		.amdhsa_tg_split 0
		.amdhsa_exception_fp_ieee_invalid_op 0
		.amdhsa_exception_fp_denorm_src 0
		.amdhsa_exception_fp_ieee_div_zero 0
		.amdhsa_exception_fp_ieee_overflow 0
		.amdhsa_exception_fp_ieee_underflow 0
		.amdhsa_exception_fp_ieee_inexact 0
		.amdhsa_exception_int_div_zero 0
	.end_amdhsa_kernel
	.section	.text._ZN9rocsparseL27csrmvn_lrb_long_rows_kernelIiid21rocsparse_complex_numIdES2_S2_EEvbT_PjPT0_S6_jNS_24const_host_device_scalarIT4_EEPKS3_PKS5_PKT1_PKT2_S9_PT3_21rocsparse_index_base_b,"axG",@progbits,_ZN9rocsparseL27csrmvn_lrb_long_rows_kernelIiid21rocsparse_complex_numIdES2_S2_EEvbT_PjPT0_S6_jNS_24const_host_device_scalarIT4_EEPKS3_PKS5_PKT1_PKT2_S9_PT3_21rocsparse_index_base_b,comdat
.Lfunc_end193:
	.size	_ZN9rocsparseL27csrmvn_lrb_long_rows_kernelIiid21rocsparse_complex_numIdES2_S2_EEvbT_PjPT0_S6_jNS_24const_host_device_scalarIT4_EEPKS3_PKS5_PKT1_PKT2_S9_PT3_21rocsparse_index_base_b, .Lfunc_end193-_ZN9rocsparseL27csrmvn_lrb_long_rows_kernelIiid21rocsparse_complex_numIdES2_S2_EEvbT_PjPT0_S6_jNS_24const_host_device_scalarIT4_EEPKS3_PKS5_PKT1_PKT2_S9_PT3_21rocsparse_index_base_b
                                        ; -- End function
	.section	.AMDGPU.csdata,"",@progbits
; Kernel info:
; codeLenInByte = 2012
; NumSgprs: 32
; NumVgprs: 26
; NumAgprs: 0
; TotalNumVgprs: 26
; ScratchSize: 0
; MemoryBound: 0
; FloatMode: 240
; IeeeMode: 1
; LDSByteSize: 8192 bytes/workgroup (compile time only)
; SGPRBlocks: 3
; VGPRBlocks: 3
; NumSGPRsForWavesPerEU: 32
; NumVGPRsForWavesPerEU: 26
; AccumOffset: 28
; Occupancy: 8
; WaveLimiterHint : 1
; COMPUTE_PGM_RSRC2:SCRATCH_EN: 0
; COMPUTE_PGM_RSRC2:USER_SGPR: 8
; COMPUTE_PGM_RSRC2:TRAP_HANDLER: 0
; COMPUTE_PGM_RSRC2:TGID_X_EN: 1
; COMPUTE_PGM_RSRC2:TGID_Y_EN: 0
; COMPUTE_PGM_RSRC2:TGID_Z_EN: 0
; COMPUTE_PGM_RSRC2:TIDIG_COMP_CNT: 2
; COMPUTE_PGM_RSRC3_GFX90A:ACCUM_OFFSET: 6
; COMPUTE_PGM_RSRC3_GFX90A:TG_SPLIT: 0
	.section	.text._ZN9rocsparseL28csrmvn_lrb_short_rows_kernelIlid21rocsparse_complex_numIdES2_S2_EEvbT_PT0_S5_jNS_24const_host_device_scalarIT4_EEPKS3_PKS4_PKT1_PKT2_S8_PT3_21rocsparse_index_base_b,"axG",@progbits,_ZN9rocsparseL28csrmvn_lrb_short_rows_kernelIlid21rocsparse_complex_numIdES2_S2_EEvbT_PT0_S5_jNS_24const_host_device_scalarIT4_EEPKS3_PKS4_PKT1_PKT2_S8_PT3_21rocsparse_index_base_b,comdat
	.globl	_ZN9rocsparseL28csrmvn_lrb_short_rows_kernelIlid21rocsparse_complex_numIdES2_S2_EEvbT_PT0_S5_jNS_24const_host_device_scalarIT4_EEPKS3_PKS4_PKT1_PKT2_S8_PT3_21rocsparse_index_base_b ; -- Begin function _ZN9rocsparseL28csrmvn_lrb_short_rows_kernelIlid21rocsparse_complex_numIdES2_S2_EEvbT_PT0_S5_jNS_24const_host_device_scalarIT4_EEPKS3_PKS4_PKT1_PKT2_S8_PT3_21rocsparse_index_base_b
	.p2align	8
	.type	_ZN9rocsparseL28csrmvn_lrb_short_rows_kernelIlid21rocsparse_complex_numIdES2_S2_EEvbT_PT0_S5_jNS_24const_host_device_scalarIT4_EEPKS3_PKS4_PKT1_PKT2_S8_PT3_21rocsparse_index_base_b,@function
_ZN9rocsparseL28csrmvn_lrb_short_rows_kernelIlid21rocsparse_complex_numIdES2_S2_EEvbT_PT0_S5_jNS_24const_host_device_scalarIT4_EEPKS3_PKS4_PKT1_PKT2_S8_PT3_21rocsparse_index_base_b: ; @_ZN9rocsparseL28csrmvn_lrb_short_rows_kernelIlid21rocsparse_complex_numIdES2_S2_EEvbT_PT0_S5_jNS_24const_host_device_scalarIT4_EEPKS3_PKS4_PKT1_PKT2_S8_PT3_21rocsparse_index_base_b
; %bb.0:
	s_add_u32 flat_scratch_lo, s6, s9
	s_load_dwordx2 s[20:21], s[4:5], 0x70
	s_load_dwordx4 s[16:19], s[4:5], 0x28
	s_addc_u32 flat_scratch_hi, s7, 0
	s_add_u32 s0, s0, s9
	s_load_dwordx4 s[12:15], s[4:5], 0x58
	s_addc_u32 s1, s1, 0
	s_waitcnt lgkmcnt(0)
	s_bitcmp1_b32 s21, 0
	v_mov_b32_e32 v1, 0
	v_mov_b32_e32 v3, s16
	s_cselect_b64 s[6:7], -1, 0
	v_cndmask_b32_e64 v2, v3, v1, s[6:7]
	v_mov_b32_e32 v1, s17
	s_mov_b64 s[10:11], src_private_base
	s_and_b64 vcc, s[6:7], exec
	buffer_store_dword v1, off, s[0:3], 0 offset:4
	buffer_store_dword v3, off, s[0:3], 0
	v_mov_b32_e32 v1, s13
	s_cselect_b32 s9, s11, s17
	buffer_store_dword v1, off, s[0:3], 0 offset:12
	v_mov_b32_e32 v1, s12
	buffer_store_dword v1, off, s[0:3], 0 offset:8
	v_mov_b32_e32 v3, s9
	flat_load_dwordx2 v[10:11], v[2:3]
	s_xor_b64 s[22:23], s[6:7], -1
	v_pk_mov_b32 v[12:13], s[18:19], s[18:19] op_sel:[0,1]
	s_cbranch_vccnz .LBB194_2
; %bb.1:
	v_pk_mov_b32 v[2:3], s[16:17], s[16:17] op_sel:[0,1]
	flat_load_dwordx2 v[12:13], v[2:3] offset:8
.LBB194_2:
	s_and_b64 s[16:17], s[6:7], exec
	s_cselect_b32 s9, s11, s13
	v_mov_b32_e32 v1, 8
	v_mov_b32_e32 v2, s12
	v_cndmask_b32_e64 v2, v2, v1, s[6:7]
	v_mov_b32_e32 v3, s9
	flat_load_dwordx2 v[6:7], v[2:3]
	s_andn2_b64 vcc, exec, s[22:23]
	v_pk_mov_b32 v[8:9], s[14:15], s[14:15] op_sel:[0,1]
	s_cbranch_vccnz .LBB194_4
; %bb.3:
	v_pk_mov_b32 v[2:3], s[12:13], s[12:13] op_sel:[0,1]
	flat_load_dwordx2 v[8:9], v[2:3] offset:8
.LBB194_4:
	s_waitcnt vmcnt(0) lgkmcnt(0)
	v_cmp_eq_f64_e32 vcc, 0, v[10:11]
	v_cmp_eq_f64_e64 s[6:7], 0, v[12:13]
	s_and_b64 s[12:13], vcc, s[6:7]
	s_mov_b64 s[6:7], -1
	s_and_saveexec_b64 s[10:11], s[12:13]
; %bb.5:
	v_cmp_neq_f64_e32 vcc, 1.0, v[6:7]
	v_cmp_neq_f64_e64 s[6:7], 0, v[8:9]
	s_or_b64 s[6:7], vcc, s[6:7]
	s_orn2_b64 s[6:7], s[6:7], exec
; %bb.6:
	s_or_b64 exec, exec, s[10:11]
	s_and_saveexec_b64 s[10:11], s[6:7]
	s_cbranch_execz .LBB194_20
; %bb.7:
	s_load_dword s6, s[4:5], 0x20
	s_load_dwordx4 s[16:19], s[4:5], 0x10
	s_mov_b32 s21, 0
	s_mov_b32 s7, s21
	;; [unrolled: 1-line block ×3, first 2 shown]
	s_waitcnt lgkmcnt(0)
	s_lshl_b64 s[10:11], s[6:7], 2
	s_add_u32 s10, s18, s10
	s_addc_u32 s11, s19, s11
	s_add_i32 s12, s6, 1
	s_lshl_b64 s[12:13], s[12:13], 2
	s_add_u32 s12, s18, s12
	s_addc_u32 s13, s19, s13
	s_load_dword s7, s[10:11], 0x0
	s_load_dword s9, s[12:13], 0x0
	s_lshl_b32 s24, s8, 8
	s_waitcnt lgkmcnt(0)
	s_sub_i32 s8, s9, s7
	s_add_i32 s9, s24, 0x100
	s_min_u32 s25, s8, s9
	s_cmp_gt_u32 s6, 23
	s_cbranch_scc1 .LBB194_14
; %bb.8:
	s_load_dwordx8 s[8:15], s[4:5], 0x38
	s_mov_b32 s18, 0
	v_mov_b32_e32 v17, 0
	s_brev_b32 s19, 1
	s_lshl_b32 s26, 0x100, s6
	v_bfe_u32 v14, v0, 0, s6
	v_mov_b32_e32 v15, v17
	v_mul_f64 v[18:19], v[12:13], s[18:19]
	v_mul_f64 v[20:21], v[10:11], 0
	v_lshl_add_u32 v1, v0, 4, 0
	s_mov_b32 s27, s21
	s_branch .LBB194_11
.LBB194_9:                              ;   in Loop: Header=BB194_11 Depth=1
	s_or_b64 exec, exec, s[22:23]
	ds_write2_b64 v1, v[22:23], v[4:5] offset1:1
.LBB194_10:                             ;   in Loop: Header=BB194_11 Depth=1
	s_or_b64 exec, exec, s[18:19]
	s_addk_i32 s27, 0x100
	s_cmp_ge_u32 s27, s26
	v_add_u32_e32 v1, 0x1000, v1
	s_cbranch_scc1 .LBB194_14
.LBB194_11:                             ; =>This Inner Loop Header: Depth=1
	v_add_u32_e32 v2, s27, v0
	v_lshrrev_b32_e32 v2, s6, v2
	v_add_u32_e32 v2, s24, v2
	v_cmp_gt_u32_e32 vcc, s25, v2
	s_and_saveexec_b64 s[18:19], vcc
	s_cbranch_execz .LBB194_10
; %bb.12:                               ;   in Loop: Header=BB194_11 Depth=1
	v_add_u32_e32 v16, s7, v2
	v_lshlrev_b64 v[2:3], 2, v[16:17]
	v_mov_b32_e32 v4, s17
	v_add_co_u32_e32 v2, vcc, s16, v2
	v_addc_co_u32_e32 v3, vcc, v4, v3, vcc
	global_load_dword v2, v[2:3], off
	s_waitcnt lgkmcnt(0)
	v_mov_b32_e32 v4, s9
	v_pk_mov_b32 v[22:23], 0, 0
	s_waitcnt vmcnt(0)
	v_ashrrev_i32_e32 v3, 31, v2
	v_lshlrev_b64 v[2:3], 3, v[2:3]
	v_add_co_u32_e32 v2, vcc, s8, v2
	v_addc_co_u32_e32 v3, vcc, v4, v3, vcc
	global_load_dwordx4 v[2:5], v[2:3], off
	s_waitcnt vmcnt(0)
	v_sub_co_u32_e32 v4, vcc, v4, v2
	v_subb_co_u32_e32 v5, vcc, v5, v3, vcc
	v_cmp_gt_i64_e32 vcc, v[4:5], v[14:15]
	v_pk_mov_b32 v[4:5], v[22:23], v[22:23] op_sel:[0,1]
	s_and_saveexec_b64 s[22:23], vcc
	s_cbranch_execz .LBB194_9
; %bb.13:                               ;   in Loop: Header=BB194_11 Depth=1
	v_mov_b32_e32 v4, s21
	v_subrev_co_u32_e32 v2, vcc, s20, v2
	v_subb_co_u32_e32 v3, vcc, v3, v4, vcc
	v_add_co_u32_e32 v2, vcc, v2, v14
	v_addc_co_u32_e32 v3, vcc, 0, v3, vcc
	v_lshlrev_b64 v[4:5], 2, v[2:3]
	v_mov_b32_e32 v16, s11
	v_add_co_u32_e32 v4, vcc, s10, v4
	v_addc_co_u32_e32 v5, vcc, v16, v5, vcc
	global_load_dword v4, v[4:5], off
	v_lshlrev_b64 v[2:3], 3, v[2:3]
	v_mov_b32_e32 v5, s13
	v_add_co_u32_e32 v2, vcc, s12, v2
	v_addc_co_u32_e32 v3, vcc, v5, v3, vcc
	global_load_dwordx2 v[22:23], v[2:3], off
	v_mov_b32_e32 v16, s15
	s_waitcnt vmcnt(1)
	v_subrev_u32_e32 v2, s20, v4
	v_ashrrev_i32_e32 v3, 31, v2
	v_lshlrev_b64 v[2:3], 4, v[2:3]
	v_add_co_u32_e32 v2, vcc, s14, v2
	v_addc_co_u32_e32 v3, vcc, v16, v3, vcc
	global_load_dwordx4 v[2:5], v[2:3], off
	s_waitcnt vmcnt(1)
	v_fma_f64 v[24:25], v[10:11], v[22:23], v[18:19]
	v_fma_f64 v[26:27], v[12:13], v[22:23], v[20:21]
	s_waitcnt vmcnt(0)
	v_mul_f64 v[22:23], v[4:5], -v[26:27]
	v_mul_f64 v[4:5], v[24:25], v[4:5]
	v_fmac_f64_e32 v[22:23], v[24:25], v[2:3]
	v_fmac_f64_e32 v[4:5], v[26:27], v[2:3]
	s_branch .LBB194_9
.LBB194_14:
	s_waitcnt lgkmcnt(0)
	s_sub_i32 s8, s25, s24
	v_cmp_gt_u32_e32 vcc, s8, v0
	s_barrier
	s_and_b64 exec, exec, vcc
	s_cbranch_execz .LBB194_20
; %bb.15:
	s_add_i32 s7, s7, s24
	v_add_u32_e32 v2, s7, v0
	v_mov_b32_e32 v3, 0
	v_lshlrev_b64 v[2:3], 2, v[2:3]
	v_mov_b32_e32 v1, s17
	v_add_co_u32_e32 v2, vcc, s16, v2
	v_addc_co_u32_e32 v3, vcc, v1, v3, vcc
	global_load_dword v4, v[2:3], off
	s_load_dwordx2 s[8:9], s[4:5], 0x68
	v_lshlrev_b32_e32 v0, s6, v0
	v_pk_mov_b32 v[2:3], 0, 0
	v_lshl_add_u32 v5, v0, 4, 0
	s_mov_b32 s4, 1
	v_pk_mov_b32 v[0:1], v[2:3], v[2:3] op_sel:[0,1]
.LBB194_16:                             ; =>This Inner Loop Header: Depth=1
	ds_read2_b64 v[10:13], v5 offset1:1
	s_lshr_b32 s5, s4, s6
	s_add_i32 s4, s4, 1
	v_add_u32_e32 v5, 16, v5
	s_cmp_lg_u32 s5, 0
	s_waitcnt lgkmcnt(0)
	v_add_f64 v[0:1], v[0:1], v[10:11]
	v_add_f64 v[2:3], v[2:3], v[12:13]
	s_cbranch_scc0 .LBB194_16
; %bb.17:
	v_cmp_neq_f64_e32 vcc, 0, v[6:7]
	v_cmp_neq_f64_e64 s[4:5], 0, v[8:9]
	s_waitcnt vmcnt(0)
	v_ashrrev_i32_e32 v5, 31, v4
	s_or_b64 s[6:7], vcc, s[4:5]
	v_lshlrev_b64 v[4:5], 4, v[4:5]
	s_and_saveexec_b64 s[4:5], s[6:7]
	s_cbranch_execz .LBB194_19
; %bb.18:
	v_mov_b32_e32 v11, s9
	v_add_co_u32_e32 v10, vcc, s8, v4
	v_addc_co_u32_e32 v11, vcc, v11, v5, vcc
	global_load_dwordx4 v[10:13], v[10:11], off
	s_waitcnt vmcnt(0)
	v_fmac_f64_e32 v[0:1], v[6:7], v[10:11]
	v_fmac_f64_e32 v[2:3], v[8:9], v[10:11]
	v_fma_f64 v[0:1], -v[8:9], v[12:13], v[0:1]
	v_fmac_f64_e32 v[2:3], v[6:7], v[12:13]
.LBB194_19:
	s_or_b64 exec, exec, s[4:5]
	v_mov_b32_e32 v6, s9
	v_add_co_u32_e32 v4, vcc, s8, v4
	v_addc_co_u32_e32 v5, vcc, v6, v5, vcc
	global_store_dwordx4 v[4:5], v[0:3], off
.LBB194_20:
	s_endpgm
	.section	.rodata,"a",@progbits
	.p2align	6, 0x0
	.amdhsa_kernel _ZN9rocsparseL28csrmvn_lrb_short_rows_kernelIlid21rocsparse_complex_numIdES2_S2_EEvbT_PT0_S5_jNS_24const_host_device_scalarIT4_EEPKS3_PKS4_PKT1_PKT2_S8_PT3_21rocsparse_index_base_b
		.amdhsa_group_segment_fixed_size 0
		.amdhsa_private_segment_fixed_size 24
		.amdhsa_kernarg_size 120
		.amdhsa_user_sgpr_count 8
		.amdhsa_user_sgpr_private_segment_buffer 1
		.amdhsa_user_sgpr_dispatch_ptr 0
		.amdhsa_user_sgpr_queue_ptr 0
		.amdhsa_user_sgpr_kernarg_segment_ptr 1
		.amdhsa_user_sgpr_dispatch_id 0
		.amdhsa_user_sgpr_flat_scratch_init 1
		.amdhsa_user_sgpr_kernarg_preload_length 0
		.amdhsa_user_sgpr_kernarg_preload_offset 0
		.amdhsa_user_sgpr_private_segment_size 0
		.amdhsa_uses_dynamic_stack 0
		.amdhsa_system_sgpr_private_segment_wavefront_offset 1
		.amdhsa_system_sgpr_workgroup_id_x 1
		.amdhsa_system_sgpr_workgroup_id_y 0
		.amdhsa_system_sgpr_workgroup_id_z 0
		.amdhsa_system_sgpr_workgroup_info 0
		.amdhsa_system_vgpr_workitem_id 0
		.amdhsa_next_free_vgpr 28
		.amdhsa_next_free_sgpr 28
		.amdhsa_accum_offset 28
		.amdhsa_reserve_vcc 1
		.amdhsa_reserve_flat_scratch 1
		.amdhsa_float_round_mode_32 0
		.amdhsa_float_round_mode_16_64 0
		.amdhsa_float_denorm_mode_32 3
		.amdhsa_float_denorm_mode_16_64 3
		.amdhsa_dx10_clamp 1
		.amdhsa_ieee_mode 1
		.amdhsa_fp16_overflow 0
		.amdhsa_tg_split 0
		.amdhsa_exception_fp_ieee_invalid_op 0
		.amdhsa_exception_fp_denorm_src 0
		.amdhsa_exception_fp_ieee_div_zero 0
		.amdhsa_exception_fp_ieee_overflow 0
		.amdhsa_exception_fp_ieee_underflow 0
		.amdhsa_exception_fp_ieee_inexact 0
		.amdhsa_exception_int_div_zero 0
	.end_amdhsa_kernel
	.section	.text._ZN9rocsparseL28csrmvn_lrb_short_rows_kernelIlid21rocsparse_complex_numIdES2_S2_EEvbT_PT0_S5_jNS_24const_host_device_scalarIT4_EEPKS3_PKS4_PKT1_PKT2_S8_PT3_21rocsparse_index_base_b,"axG",@progbits,_ZN9rocsparseL28csrmvn_lrb_short_rows_kernelIlid21rocsparse_complex_numIdES2_S2_EEvbT_PT0_S5_jNS_24const_host_device_scalarIT4_EEPKS3_PKS4_PKT1_PKT2_S8_PT3_21rocsparse_index_base_b,comdat
.Lfunc_end194:
	.size	_ZN9rocsparseL28csrmvn_lrb_short_rows_kernelIlid21rocsparse_complex_numIdES2_S2_EEvbT_PT0_S5_jNS_24const_host_device_scalarIT4_EEPKS3_PKS4_PKT1_PKT2_S8_PT3_21rocsparse_index_base_b, .Lfunc_end194-_ZN9rocsparseL28csrmvn_lrb_short_rows_kernelIlid21rocsparse_complex_numIdES2_S2_EEvbT_PT0_S5_jNS_24const_host_device_scalarIT4_EEPKS3_PKS4_PKT1_PKT2_S8_PT3_21rocsparse_index_base_b
                                        ; -- End function
	.section	.AMDGPU.csdata,"",@progbits
; Kernel info:
; codeLenInByte = 1080
; NumSgprs: 34
; NumVgprs: 28
; NumAgprs: 0
; TotalNumVgprs: 28
; ScratchSize: 24
; MemoryBound: 0
; FloatMode: 240
; IeeeMode: 1
; LDSByteSize: 0 bytes/workgroup (compile time only)
; SGPRBlocks: 4
; VGPRBlocks: 3
; NumSGPRsForWavesPerEU: 34
; NumVGPRsForWavesPerEU: 28
; AccumOffset: 28
; Occupancy: 8
; WaveLimiterHint : 1
; COMPUTE_PGM_RSRC2:SCRATCH_EN: 1
; COMPUTE_PGM_RSRC2:USER_SGPR: 8
; COMPUTE_PGM_RSRC2:TRAP_HANDLER: 0
; COMPUTE_PGM_RSRC2:TGID_X_EN: 1
; COMPUTE_PGM_RSRC2:TGID_Y_EN: 0
; COMPUTE_PGM_RSRC2:TGID_Z_EN: 0
; COMPUTE_PGM_RSRC2:TIDIG_COMP_CNT: 0
; COMPUTE_PGM_RSRC3_GFX90A:ACCUM_OFFSET: 6
; COMPUTE_PGM_RSRC3_GFX90A:TG_SPLIT: 0
	.section	.text._ZN9rocsparseL30csrmvn_lrb_short_rows_2_kernelIlid21rocsparse_complex_numIdES2_S2_EEvbT_PT0_S5_jNS_24const_host_device_scalarIT4_EEPKS3_PKS4_PKT1_PKT2_S8_PT3_21rocsparse_index_base_b,"axG",@progbits,_ZN9rocsparseL30csrmvn_lrb_short_rows_2_kernelIlid21rocsparse_complex_numIdES2_S2_EEvbT_PT0_S5_jNS_24const_host_device_scalarIT4_EEPKS3_PKS4_PKT1_PKT2_S8_PT3_21rocsparse_index_base_b,comdat
	.globl	_ZN9rocsparseL30csrmvn_lrb_short_rows_2_kernelIlid21rocsparse_complex_numIdES2_S2_EEvbT_PT0_S5_jNS_24const_host_device_scalarIT4_EEPKS3_PKS4_PKT1_PKT2_S8_PT3_21rocsparse_index_base_b ; -- Begin function _ZN9rocsparseL30csrmvn_lrb_short_rows_2_kernelIlid21rocsparse_complex_numIdES2_S2_EEvbT_PT0_S5_jNS_24const_host_device_scalarIT4_EEPKS3_PKS4_PKT1_PKT2_S8_PT3_21rocsparse_index_base_b
	.p2align	8
	.type	_ZN9rocsparseL30csrmvn_lrb_short_rows_2_kernelIlid21rocsparse_complex_numIdES2_S2_EEvbT_PT0_S5_jNS_24const_host_device_scalarIT4_EEPKS3_PKS4_PKT1_PKT2_S8_PT3_21rocsparse_index_base_b,@function
_ZN9rocsparseL30csrmvn_lrb_short_rows_2_kernelIlid21rocsparse_complex_numIdES2_S2_EEvbT_PT0_S5_jNS_24const_host_device_scalarIT4_EEPKS3_PKS4_PKT1_PKT2_S8_PT3_21rocsparse_index_base_b: ; @_ZN9rocsparseL30csrmvn_lrb_short_rows_2_kernelIlid21rocsparse_complex_numIdES2_S2_EEvbT_PT0_S5_jNS_24const_host_device_scalarIT4_EEPKS3_PKS4_PKT1_PKT2_S8_PT3_21rocsparse_index_base_b
; %bb.0:
	s_add_u32 flat_scratch_lo, s6, s9
	s_load_dwordx2 s[24:25], s[4:5], 0x70
	s_load_dwordx4 s[16:19], s[4:5], 0x28
	s_addc_u32 flat_scratch_hi, s7, 0
	s_add_u32 s0, s0, s9
	s_load_dwordx4 s[12:15], s[4:5], 0x58
	s_addc_u32 s1, s1, 0
	s_waitcnt lgkmcnt(0)
	s_bitcmp1_b32 s25, 0
	v_mov_b32_e32 v1, 0
	v_mov_b32_e32 v3, s16
	s_cselect_b64 s[6:7], -1, 0
	v_cndmask_b32_e64 v2, v3, v1, s[6:7]
	v_mov_b32_e32 v1, s17
	s_mov_b64 s[10:11], src_private_base
	s_and_b64 vcc, s[6:7], exec
	buffer_store_dword v1, off, s[0:3], 0 offset:4
	buffer_store_dword v3, off, s[0:3], 0
	v_mov_b32_e32 v1, s13
	s_cselect_b32 s9, s11, s17
	buffer_store_dword v1, off, s[0:3], 0 offset:12
	v_mov_b32_e32 v1, s12
	buffer_store_dword v1, off, s[0:3], 0 offset:8
	v_mov_b32_e32 v3, s9
	flat_load_dwordx2 v[14:15], v[2:3]
	s_xor_b64 s[20:21], s[6:7], -1
	v_pk_mov_b32 v[16:17], s[18:19], s[18:19] op_sel:[0,1]
	s_cbranch_vccnz .LBB195_2
; %bb.1:
	v_pk_mov_b32 v[2:3], s[16:17], s[16:17] op_sel:[0,1]
	flat_load_dwordx2 v[16:17], v[2:3] offset:8
.LBB195_2:
	s_and_b64 s[16:17], s[6:7], exec
	s_cselect_b32 s9, s11, s13
	v_mov_b32_e32 v1, 8
	v_mov_b32_e32 v2, s12
	v_cndmask_b32_e64 v2, v2, v1, s[6:7]
	v_mov_b32_e32 v3, s9
	flat_load_dwordx2 v[10:11], v[2:3]
	s_andn2_b64 vcc, exec, s[20:21]
	v_pk_mov_b32 v[12:13], s[14:15], s[14:15] op_sel:[0,1]
	s_cbranch_vccnz .LBB195_4
; %bb.3:
	v_pk_mov_b32 v[2:3], s[12:13], s[12:13] op_sel:[0,1]
	flat_load_dwordx2 v[12:13], v[2:3] offset:8
.LBB195_4:
	s_waitcnt vmcnt(0) lgkmcnt(0)
	v_cmp_eq_f64_e32 vcc, 0, v[14:15]
	v_cmp_eq_f64_e64 s[6:7], 0, v[16:17]
	s_and_b64 s[12:13], vcc, s[6:7]
	s_mov_b64 s[6:7], -1
	s_and_saveexec_b64 s[10:11], s[12:13]
; %bb.5:
	v_cmp_neq_f64_e32 vcc, 1.0, v[10:11]
	v_cmp_neq_f64_e64 s[6:7], 0, v[12:13]
	s_or_b64 s[6:7], vcc, s[6:7]
	s_orn2_b64 s[6:7], s[6:7], exec
; %bb.6:
	s_or_b64 exec, exec, s[10:11]
	s_and_saveexec_b64 s[10:11], s[6:7]
	s_cbranch_execz .LBB195_32
; %bb.7:
	s_load_dword s6, s[4:5], 0x20
	s_load_dwordx4 s[20:23], s[4:5], 0x10
	s_mov_b32 s7, 0
	s_mov_b32 s11, s7
	v_mov_b32_e32 v23, 0
	s_waitcnt lgkmcnt(0)
	s_lshl_b64 s[12:13], s[6:7], 2
	s_add_u32 s26, s22, s12
	s_addc_u32 s27, s23, s13
	s_add_i32 s10, s6, 1
	s_lshl_b64 s[10:11], s[10:11], 2
	s_add_u32 s28, s22, s10
	s_addc_u32 s29, s23, s11
	s_load_dword s22, s[26:27], 0x0
	s_load_dword s9, s[28:29], 0x0
	s_load_dwordx2 s[10:11], s[4:5], 0x68
	s_load_dwordx8 s[12:19], s[4:5], 0x38
	s_lshr_b32 s7, 0x400, s6
	s_mul_i32 s23, s7, s8
	s_waitcnt lgkmcnt(0)
	s_sub_i32 s4, s9, s22
	s_add_i32 s5, s23, s7
	s_min_u32 s25, s4, s5
	s_mov_b32 s4, 0
	v_lshrrev_b32_e32 v1, s6, v0
	s_brev_b32 s5, 1
	v_add_u32_e32 v1, s23, v1
	v_bfe_u32 v22, v0, 0, s6
	v_mul_f64 v[20:21], v[16:17], s[4:5]
	v_mul_f64 v[18:19], v[14:15], 0
	v_cmp_gt_u32_e32 vcc, s25, v1
	s_and_saveexec_b64 s[4:5], vcc
	s_cbranch_execz .LBB195_11
; %bb.8:
	v_add_u32_e32 v2, s22, v1
	v_mov_b32_e32 v3, v23
	v_lshlrev_b64 v[2:3], 2, v[2:3]
	v_mov_b32_e32 v1, s21
	v_add_co_u32_e32 v2, vcc, s20, v2
	v_addc_co_u32_e32 v3, vcc, v1, v3, vcc
	global_load_dword v2, v[2:3], off
	v_mov_b32_e32 v1, s13
	s_waitcnt vmcnt(0)
	v_ashrrev_i32_e32 v3, 31, v2
	v_lshlrev_b64 v[2:3], 3, v[2:3]
	v_add_co_u32_e32 v2, vcc, s12, v2
	v_addc_co_u32_e32 v3, vcc, v1, v3, vcc
	global_load_dwordx4 v[6:9], v[2:3], off
	v_pk_mov_b32 v[2:3], 0, 0
	s_waitcnt vmcnt(0)
	v_sub_co_u32_e32 v4, vcc, v8, v6
	v_subb_co_u32_e32 v5, vcc, v9, v7, vcc
	v_cmp_gt_i64_e32 vcc, v[4:5], v[22:23]
	v_pk_mov_b32 v[4:5], v[2:3], v[2:3] op_sel:[0,1]
	s_and_saveexec_b64 s[8:9], vcc
	s_cbranch_execz .LBB195_10
; %bb.9:
	v_subrev_co_u32_e32 v1, vcc, s24, v6
	v_subbrev_co_u32_e32 v3, vcc, 0, v7, vcc
	v_add_co_u32_e32 v2, vcc, v1, v22
	v_addc_co_u32_e32 v3, vcc, 0, v3, vcc
	v_lshlrev_b64 v[4:5], 2, v[2:3]
	v_mov_b32_e32 v1, s15
	v_add_co_u32_e32 v4, vcc, s14, v4
	v_addc_co_u32_e32 v5, vcc, v1, v5, vcc
	global_load_dword v1, v[4:5], off
	v_lshlrev_b64 v[2:3], 3, v[2:3]
	v_mov_b32_e32 v4, s17
	v_add_co_u32_e32 v2, vcc, s16, v2
	v_addc_co_u32_e32 v3, vcc, v4, v3, vcc
	v_mov_b32_e32 v6, s19
	global_load_dwordx2 v[2:3], v[2:3], off
	s_waitcnt vmcnt(1)
	v_subrev_u32_e32 v4, s24, v1
	v_ashrrev_i32_e32 v5, 31, v4
	v_lshlrev_b64 v[4:5], 4, v[4:5]
	v_add_co_u32_e32 v4, vcc, s18, v4
	v_addc_co_u32_e32 v5, vcc, v6, v5, vcc
	global_load_dwordx4 v[6:9], v[4:5], off
	s_waitcnt vmcnt(1)
	v_fma_f64 v[24:25], v[14:15], v[2:3], v[20:21]
	v_fma_f64 v[26:27], v[16:17], v[2:3], v[18:19]
	s_waitcnt vmcnt(0)
	v_mul_f64 v[2:3], v[8:9], -v[26:27]
	v_mul_f64 v[4:5], v[24:25], v[8:9]
	v_fmac_f64_e32 v[2:3], v[24:25], v[6:7]
	v_fmac_f64_e32 v[4:5], v[26:27], v[6:7]
.LBB195_10:
	s_or_b64 exec, exec, s[8:9]
	v_lshlrev_b32_e32 v1, 4, v0
	ds_write_b128 v1, v[2:5]
.LBB195_11:
	s_or_b64 exec, exec, s[4:5]
	v_or_b32_e32 v1, 0x100, v0
	v_lshrrev_b32_e32 v1, s6, v1
	v_add_u32_e32 v1, s23, v1
	v_cmp_gt_u32_e32 vcc, s25, v1
	s_and_saveexec_b64 s[4:5], vcc
	s_cbranch_execz .LBB195_15
; %bb.12:
	v_add_u32_e32 v2, s22, v1
	v_mov_b32_e32 v3, 0
	v_lshlrev_b64 v[2:3], 2, v[2:3]
	v_mov_b32_e32 v1, s21
	v_add_co_u32_e32 v2, vcc, s20, v2
	v_addc_co_u32_e32 v3, vcc, v1, v3, vcc
	global_load_dword v2, v[2:3], off
	v_mov_b32_e32 v1, s13
	s_waitcnt vmcnt(0)
	v_ashrrev_i32_e32 v3, 31, v2
	v_lshlrev_b64 v[2:3], 3, v[2:3]
	v_add_co_u32_e32 v2, vcc, s12, v2
	v_addc_co_u32_e32 v3, vcc, v1, v3, vcc
	global_load_dwordx4 v[6:9], v[2:3], off
	v_pk_mov_b32 v[2:3], 0, 0
	s_waitcnt vmcnt(0)
	v_sub_co_u32_e32 v4, vcc, v8, v6
	v_subb_co_u32_e32 v5, vcc, v9, v7, vcc
	v_cmp_gt_i64_e32 vcc, v[4:5], v[22:23]
	v_pk_mov_b32 v[4:5], v[2:3], v[2:3] op_sel:[0,1]
	s_and_saveexec_b64 s[8:9], vcc
	s_cbranch_execz .LBB195_14
; %bb.13:
	v_subrev_co_u32_e32 v1, vcc, s24, v6
	v_subbrev_co_u32_e32 v3, vcc, 0, v7, vcc
	v_add_co_u32_e32 v2, vcc, v1, v22
	v_addc_co_u32_e32 v3, vcc, 0, v3, vcc
	v_lshlrev_b64 v[4:5], 2, v[2:3]
	v_mov_b32_e32 v1, s15
	v_add_co_u32_e32 v4, vcc, s14, v4
	v_addc_co_u32_e32 v5, vcc, v1, v5, vcc
	global_load_dword v1, v[4:5], off
	v_lshlrev_b64 v[2:3], 3, v[2:3]
	v_mov_b32_e32 v4, s17
	v_add_co_u32_e32 v2, vcc, s16, v2
	v_addc_co_u32_e32 v3, vcc, v4, v3, vcc
	v_mov_b32_e32 v6, s19
	global_load_dwordx2 v[2:3], v[2:3], off
	s_waitcnt vmcnt(1)
	v_subrev_u32_e32 v4, s24, v1
	v_ashrrev_i32_e32 v5, 31, v4
	v_lshlrev_b64 v[4:5], 4, v[4:5]
	v_add_co_u32_e32 v4, vcc, s18, v4
	v_addc_co_u32_e32 v5, vcc, v6, v5, vcc
	global_load_dwordx4 v[6:9], v[4:5], off
	s_waitcnt vmcnt(1)
	v_fma_f64 v[24:25], v[14:15], v[2:3], v[20:21]
	v_fma_f64 v[26:27], v[16:17], v[2:3], v[18:19]
	s_waitcnt vmcnt(0)
	v_mul_f64 v[2:3], v[8:9], -v[26:27]
	v_mul_f64 v[4:5], v[24:25], v[8:9]
	v_fmac_f64_e32 v[2:3], v[24:25], v[6:7]
	v_fmac_f64_e32 v[4:5], v[26:27], v[6:7]
.LBB195_14:
	s_or_b64 exec, exec, s[8:9]
	v_lshlrev_b32_e32 v1, 4, v0
	ds_write_b128 v1, v[2:5] offset:4096
.LBB195_15:
	s_or_b64 exec, exec, s[4:5]
	v_or_b32_e32 v1, 0x200, v0
	v_lshrrev_b32_e32 v1, s6, v1
	v_add_u32_e32 v1, s23, v1
	v_cmp_gt_u32_e32 vcc, s25, v1
	s_and_saveexec_b64 s[4:5], vcc
	s_cbranch_execz .LBB195_19
; %bb.16:
	v_add_u32_e32 v2, s22, v1
	v_mov_b32_e32 v3, 0
	v_lshlrev_b64 v[2:3], 2, v[2:3]
	v_mov_b32_e32 v1, s21
	v_add_co_u32_e32 v2, vcc, s20, v2
	v_addc_co_u32_e32 v3, vcc, v1, v3, vcc
	global_load_dword v2, v[2:3], off
	v_mov_b32_e32 v1, s13
	s_waitcnt vmcnt(0)
	v_ashrrev_i32_e32 v3, 31, v2
	v_lshlrev_b64 v[2:3], 3, v[2:3]
	v_add_co_u32_e32 v2, vcc, s12, v2
	v_addc_co_u32_e32 v3, vcc, v1, v3, vcc
	global_load_dwordx4 v[6:9], v[2:3], off
	v_pk_mov_b32 v[2:3], 0, 0
	s_waitcnt vmcnt(0)
	v_sub_co_u32_e32 v4, vcc, v8, v6
	v_subb_co_u32_e32 v5, vcc, v9, v7, vcc
	v_cmp_gt_i64_e32 vcc, v[4:5], v[22:23]
	v_pk_mov_b32 v[4:5], v[2:3], v[2:3] op_sel:[0,1]
	s_and_saveexec_b64 s[8:9], vcc
	s_cbranch_execz .LBB195_18
; %bb.17:
	v_subrev_co_u32_e32 v1, vcc, s24, v6
	v_subbrev_co_u32_e32 v3, vcc, 0, v7, vcc
	v_add_co_u32_e32 v2, vcc, v1, v22
	v_addc_co_u32_e32 v3, vcc, 0, v3, vcc
	v_lshlrev_b64 v[4:5], 2, v[2:3]
	v_mov_b32_e32 v1, s15
	v_add_co_u32_e32 v4, vcc, s14, v4
	v_addc_co_u32_e32 v5, vcc, v1, v5, vcc
	global_load_dword v1, v[4:5], off
	v_lshlrev_b64 v[2:3], 3, v[2:3]
	v_mov_b32_e32 v4, s17
	v_add_co_u32_e32 v2, vcc, s16, v2
	v_addc_co_u32_e32 v3, vcc, v4, v3, vcc
	v_mov_b32_e32 v6, s19
	global_load_dwordx2 v[2:3], v[2:3], off
	s_waitcnt vmcnt(1)
	v_subrev_u32_e32 v4, s24, v1
	v_ashrrev_i32_e32 v5, 31, v4
	v_lshlrev_b64 v[4:5], 4, v[4:5]
	v_add_co_u32_e32 v4, vcc, s18, v4
	v_addc_co_u32_e32 v5, vcc, v6, v5, vcc
	global_load_dwordx4 v[6:9], v[4:5], off
	s_waitcnt vmcnt(1)
	v_fma_f64 v[24:25], v[14:15], v[2:3], v[20:21]
	v_fma_f64 v[26:27], v[16:17], v[2:3], v[18:19]
	s_waitcnt vmcnt(0)
	v_mul_f64 v[2:3], v[8:9], -v[26:27]
	v_mul_f64 v[4:5], v[24:25], v[8:9]
	v_fmac_f64_e32 v[2:3], v[24:25], v[6:7]
	v_fmac_f64_e32 v[4:5], v[26:27], v[6:7]
.LBB195_18:
	s_or_b64 exec, exec, s[8:9]
	v_lshlrev_b32_e32 v1, 4, v0
	ds_write_b128 v1, v[2:5] offset:8192
.LBB195_19:
	s_or_b64 exec, exec, s[4:5]
	v_or_b32_e32 v1, 0x300, v0
	v_lshrrev_b32_e32 v1, s6, v1
	v_add_u32_e32 v1, s23, v1
	v_cmp_gt_u32_e32 vcc, s25, v1
	s_and_saveexec_b64 s[4:5], vcc
	s_cbranch_execz .LBB195_23
; %bb.20:
	v_add_u32_e32 v2, s22, v1
	v_mov_b32_e32 v3, 0
	v_lshlrev_b64 v[2:3], 2, v[2:3]
	v_mov_b32_e32 v1, s21
	v_add_co_u32_e32 v2, vcc, s20, v2
	v_addc_co_u32_e32 v3, vcc, v1, v3, vcc
	global_load_dword v2, v[2:3], off
	v_mov_b32_e32 v1, s13
	s_waitcnt vmcnt(0)
	v_ashrrev_i32_e32 v3, 31, v2
	v_lshlrev_b64 v[2:3], 3, v[2:3]
	v_add_co_u32_e32 v2, vcc, s12, v2
	v_addc_co_u32_e32 v3, vcc, v1, v3, vcc
	global_load_dwordx4 v[6:9], v[2:3], off
	v_pk_mov_b32 v[2:3], 0, 0
	s_waitcnt vmcnt(0)
	v_sub_co_u32_e32 v4, vcc, v8, v6
	v_subb_co_u32_e32 v5, vcc, v9, v7, vcc
	v_cmp_gt_i64_e32 vcc, v[4:5], v[22:23]
	v_pk_mov_b32 v[4:5], v[2:3], v[2:3] op_sel:[0,1]
	s_and_saveexec_b64 s[8:9], vcc
	s_cbranch_execz .LBB195_22
; %bb.21:
	v_subrev_co_u32_e32 v1, vcc, s24, v6
	v_subbrev_co_u32_e32 v3, vcc, 0, v7, vcc
	v_add_co_u32_e32 v2, vcc, v1, v22
	v_addc_co_u32_e32 v3, vcc, 0, v3, vcc
	v_lshlrev_b64 v[4:5], 2, v[2:3]
	v_mov_b32_e32 v1, s15
	v_add_co_u32_e32 v4, vcc, s14, v4
	v_addc_co_u32_e32 v5, vcc, v1, v5, vcc
	global_load_dword v1, v[4:5], off
	v_lshlrev_b64 v[2:3], 3, v[2:3]
	v_mov_b32_e32 v4, s17
	v_add_co_u32_e32 v2, vcc, s16, v2
	v_addc_co_u32_e32 v3, vcc, v4, v3, vcc
	v_mov_b32_e32 v6, s19
	global_load_dwordx2 v[2:3], v[2:3], off
	s_waitcnt vmcnt(1)
	v_subrev_u32_e32 v4, s24, v1
	v_ashrrev_i32_e32 v5, 31, v4
	v_lshlrev_b64 v[4:5], 4, v[4:5]
	v_add_co_u32_e32 v4, vcc, s18, v4
	v_addc_co_u32_e32 v5, vcc, v6, v5, vcc
	global_load_dwordx4 v[6:9], v[4:5], off
	s_waitcnt vmcnt(1)
	v_fmac_f64_e32 v[20:21], v[14:15], v[2:3]
	v_fmac_f64_e32 v[18:19], v[16:17], v[2:3]
	s_waitcnt vmcnt(0)
	v_mul_f64 v[2:3], v[8:9], -v[18:19]
	v_mul_f64 v[4:5], v[20:21], v[8:9]
	v_fmac_f64_e32 v[2:3], v[20:21], v[6:7]
	v_fmac_f64_e32 v[4:5], v[18:19], v[6:7]
.LBB195_22:
	s_or_b64 exec, exec, s[8:9]
	v_lshlrev_b32_e32 v1, 4, v0
	ds_write_b128 v1, v[2:5] offset:12288
.LBB195_23:
	s_or_b64 exec, exec, s[4:5]
	s_cmp_lt_u32 s6, 11
	s_waitcnt lgkmcnt(0)
	s_barrier
	s_cbranch_scc0 .LBB195_32
; %bb.24:
	v_cmp_neq_f64_e32 vcc, 0, v[10:11]
	v_cmp_neq_f64_e64 s[4:5], 0, v[12:13]
	s_sub_i32 s14, s25, s23
	s_add_i32 s22, s22, s23
	s_or_b64 s[4:5], vcc, s[4:5]
	s_mov_b32 s15, 0
	v_mov_b32_e32 v7, 0
	s_branch .LBB195_27
.LBB195_25:                             ;   in Loop: Header=BB195_27 Depth=1
	s_or_b64 exec, exec, s[12:13]
	v_mov_b32_e32 v1, s11
	v_add_co_u32_e32 v8, vcc, s10, v8
	v_addc_co_u32_e32 v9, vcc, v1, v9, vcc
	global_store_dwordx4 v[8:9], v[2:5], off
.LBB195_26:                             ;   in Loop: Header=BB195_27 Depth=1
	s_or_b64 exec, exec, s[8:9]
	s_addk_i32 s15, 0x100
	s_cmp_lt_u32 s15, s7
	s_cbranch_scc0 .LBB195_32
.LBB195_27:                             ; =>This Loop Header: Depth=1
                                        ;     Child Loop BB195_29 Depth 2
	v_add_u32_e32 v1, s15, v0
	v_cmp_gt_u32_e32 vcc, s14, v1
	s_and_saveexec_b64 s[8:9], vcc
	s_cbranch_execz .LBB195_26
; %bb.28:                               ;   in Loop: Header=BB195_27 Depth=1
	v_add_u32_e32 v6, s22, v1
	v_lshlrev_b64 v[2:3], 2, v[6:7]
	v_mov_b32_e32 v4, s21
	v_add_co_u32_e32 v2, vcc, s20, v2
	v_addc_co_u32_e32 v3, vcc, v4, v3, vcc
	global_load_dword v8, v[2:3], off
	v_lshlrev_b32_e32 v1, s6, v1
	v_pk_mov_b32 v[4:5], 0, 0
	v_lshlrev_b32_e32 v1, 4, v1
	s_mov_b32 s12, 1
	v_pk_mov_b32 v[2:3], v[4:5], v[4:5] op_sel:[0,1]
.LBB195_29:                             ;   Parent Loop BB195_27 Depth=1
                                        ; =>  This Inner Loop Header: Depth=2
	ds_read_b128 v[14:17], v1
	s_lshr_b32 s13, s12, s6
	s_add_i32 s12, s12, 1
	v_add_u32_e32 v1, 16, v1
	s_cmp_lg_u32 s13, 0
	s_waitcnt lgkmcnt(0)
	v_add_f64 v[2:3], v[2:3], v[14:15]
	v_add_f64 v[4:5], v[4:5], v[16:17]
	s_cbranch_scc0 .LBB195_29
; %bb.30:                               ;   in Loop: Header=BB195_27 Depth=1
	s_waitcnt vmcnt(0)
	v_ashrrev_i32_e32 v9, 31, v8
	v_lshlrev_b64 v[8:9], 4, v[8:9]
	s_and_saveexec_b64 s[12:13], s[4:5]
	s_cbranch_execz .LBB195_25
; %bb.31:                               ;   in Loop: Header=BB195_27 Depth=1
	v_mov_b32_e32 v1, s11
	v_add_co_u32_e32 v14, vcc, s10, v8
	v_addc_co_u32_e32 v15, vcc, v1, v9, vcc
	global_load_dwordx4 v[14:17], v[14:15], off
	s_waitcnt vmcnt(0)
	v_fmac_f64_e32 v[2:3], v[10:11], v[14:15]
	v_fmac_f64_e32 v[4:5], v[12:13], v[14:15]
	v_fma_f64 v[2:3], -v[12:13], v[16:17], v[2:3]
	v_fmac_f64_e32 v[4:5], v[10:11], v[16:17]
	s_branch .LBB195_25
.LBB195_32:
	s_endpgm
	.section	.rodata,"a",@progbits
	.p2align	6, 0x0
	.amdhsa_kernel _ZN9rocsparseL30csrmvn_lrb_short_rows_2_kernelIlid21rocsparse_complex_numIdES2_S2_EEvbT_PT0_S5_jNS_24const_host_device_scalarIT4_EEPKS3_PKS4_PKT1_PKT2_S8_PT3_21rocsparse_index_base_b
		.amdhsa_group_segment_fixed_size 16384
		.amdhsa_private_segment_fixed_size 24
		.amdhsa_kernarg_size 120
		.amdhsa_user_sgpr_count 8
		.amdhsa_user_sgpr_private_segment_buffer 1
		.amdhsa_user_sgpr_dispatch_ptr 0
		.amdhsa_user_sgpr_queue_ptr 0
		.amdhsa_user_sgpr_kernarg_segment_ptr 1
		.amdhsa_user_sgpr_dispatch_id 0
		.amdhsa_user_sgpr_flat_scratch_init 1
		.amdhsa_user_sgpr_kernarg_preload_length 0
		.amdhsa_user_sgpr_kernarg_preload_offset 0
		.amdhsa_user_sgpr_private_segment_size 0
		.amdhsa_uses_dynamic_stack 0
		.amdhsa_system_sgpr_private_segment_wavefront_offset 1
		.amdhsa_system_sgpr_workgroup_id_x 1
		.amdhsa_system_sgpr_workgroup_id_y 0
		.amdhsa_system_sgpr_workgroup_id_z 0
		.amdhsa_system_sgpr_workgroup_info 0
		.amdhsa_system_vgpr_workitem_id 0
		.amdhsa_next_free_vgpr 28
		.amdhsa_next_free_sgpr 30
		.amdhsa_accum_offset 28
		.amdhsa_reserve_vcc 1
		.amdhsa_reserve_flat_scratch 1
		.amdhsa_float_round_mode_32 0
		.amdhsa_float_round_mode_16_64 0
		.amdhsa_float_denorm_mode_32 3
		.amdhsa_float_denorm_mode_16_64 3
		.amdhsa_dx10_clamp 1
		.amdhsa_ieee_mode 1
		.amdhsa_fp16_overflow 0
		.amdhsa_tg_split 0
		.amdhsa_exception_fp_ieee_invalid_op 0
		.amdhsa_exception_fp_denorm_src 0
		.amdhsa_exception_fp_ieee_div_zero 0
		.amdhsa_exception_fp_ieee_overflow 0
		.amdhsa_exception_fp_ieee_underflow 0
		.amdhsa_exception_fp_ieee_inexact 0
		.amdhsa_exception_int_div_zero 0
	.end_amdhsa_kernel
	.section	.text._ZN9rocsparseL30csrmvn_lrb_short_rows_2_kernelIlid21rocsparse_complex_numIdES2_S2_EEvbT_PT0_S5_jNS_24const_host_device_scalarIT4_EEPKS3_PKS4_PKT1_PKT2_S8_PT3_21rocsparse_index_base_b,"axG",@progbits,_ZN9rocsparseL30csrmvn_lrb_short_rows_2_kernelIlid21rocsparse_complex_numIdES2_S2_EEvbT_PT0_S5_jNS_24const_host_device_scalarIT4_EEPKS3_PKS4_PKT1_PKT2_S8_PT3_21rocsparse_index_base_b,comdat
.Lfunc_end195:
	.size	_ZN9rocsparseL30csrmvn_lrb_short_rows_2_kernelIlid21rocsparse_complex_numIdES2_S2_EEvbT_PT0_S5_jNS_24const_host_device_scalarIT4_EEPKS3_PKS4_PKT1_PKT2_S8_PT3_21rocsparse_index_base_b, .Lfunc_end195-_ZN9rocsparseL30csrmvn_lrb_short_rows_2_kernelIlid21rocsparse_complex_numIdES2_S2_EEvbT_PT0_S5_jNS_24const_host_device_scalarIT4_EEPKS3_PKS4_PKT1_PKT2_S8_PT3_21rocsparse_index_base_b
                                        ; -- End function
	.section	.AMDGPU.csdata,"",@progbits
; Kernel info:
; codeLenInByte = 2004
; NumSgprs: 36
; NumVgprs: 28
; NumAgprs: 0
; TotalNumVgprs: 28
; ScratchSize: 24
; MemoryBound: 0
; FloatMode: 240
; IeeeMode: 1
; LDSByteSize: 16384 bytes/workgroup (compile time only)
; SGPRBlocks: 4
; VGPRBlocks: 3
; NumSGPRsForWavesPerEU: 36
; NumVGPRsForWavesPerEU: 28
; AccumOffset: 28
; Occupancy: 4
; WaveLimiterHint : 1
; COMPUTE_PGM_RSRC2:SCRATCH_EN: 1
; COMPUTE_PGM_RSRC2:USER_SGPR: 8
; COMPUTE_PGM_RSRC2:TRAP_HANDLER: 0
; COMPUTE_PGM_RSRC2:TGID_X_EN: 1
; COMPUTE_PGM_RSRC2:TGID_Y_EN: 0
; COMPUTE_PGM_RSRC2:TGID_Z_EN: 0
; COMPUTE_PGM_RSRC2:TIDIG_COMP_CNT: 0
; COMPUTE_PGM_RSRC3_GFX90A:ACCUM_OFFSET: 6
; COMPUTE_PGM_RSRC3_GFX90A:TG_SPLIT: 0
	.section	.text._ZN9rocsparseL41csrmvn_lrb_medium_rows_warp_reduce_kernelILj256ELj32Elid21rocsparse_complex_numIdES2_S2_EEvbT1_lPT2_S5_jNS_24const_host_device_scalarIT6_EEPKS3_PKS4_PKT3_PKT4_S8_PT5_21rocsparse_index_base_b,"axG",@progbits,_ZN9rocsparseL41csrmvn_lrb_medium_rows_warp_reduce_kernelILj256ELj32Elid21rocsparse_complex_numIdES2_S2_EEvbT1_lPT2_S5_jNS_24const_host_device_scalarIT6_EEPKS3_PKS4_PKT3_PKT4_S8_PT5_21rocsparse_index_base_b,comdat
	.globl	_ZN9rocsparseL41csrmvn_lrb_medium_rows_warp_reduce_kernelILj256ELj32Elid21rocsparse_complex_numIdES2_S2_EEvbT1_lPT2_S5_jNS_24const_host_device_scalarIT6_EEPKS3_PKS4_PKT3_PKT4_S8_PT5_21rocsparse_index_base_b ; -- Begin function _ZN9rocsparseL41csrmvn_lrb_medium_rows_warp_reduce_kernelILj256ELj32Elid21rocsparse_complex_numIdES2_S2_EEvbT1_lPT2_S5_jNS_24const_host_device_scalarIT6_EEPKS3_PKS4_PKT3_PKT4_S8_PT5_21rocsparse_index_base_b
	.p2align	8
	.type	_ZN9rocsparseL41csrmvn_lrb_medium_rows_warp_reduce_kernelILj256ELj32Elid21rocsparse_complex_numIdES2_S2_EEvbT1_lPT2_S5_jNS_24const_host_device_scalarIT6_EEPKS3_PKS4_PKT3_PKT4_S8_PT5_21rocsparse_index_base_b,@function
_ZN9rocsparseL41csrmvn_lrb_medium_rows_warp_reduce_kernelILj256ELj32Elid21rocsparse_complex_numIdES2_S2_EEvbT1_lPT2_S5_jNS_24const_host_device_scalarIT6_EEPKS3_PKS4_PKT3_PKT4_S8_PT5_21rocsparse_index_base_b: ; @_ZN9rocsparseL41csrmvn_lrb_medium_rows_warp_reduce_kernelILj256ELj32Elid21rocsparse_complex_numIdES2_S2_EEvbT1_lPT2_S5_jNS_24const_host_device_scalarIT6_EEPKS3_PKS4_PKT3_PKT4_S8_PT5_21rocsparse_index_base_b
; %bb.0:
	s_load_dwordx2 s[2:3], s[6:7], 0x78
	s_load_dwordx4 s[12:15], s[6:7], 0x30
	s_load_dwordx2 s[20:21], s[4:5], 0x4
	s_load_dwordx4 s[16:19], s[6:7], 0x60
	s_mov_b64 s[10:11], src_shared_base
	v_and_b32_e32 v10, 0x3ff, v0
	s_waitcnt lgkmcnt(0)
	s_bitcmp1_b32 s3, 0
	s_cselect_b64 s[0:1], -1, 0
	s_and_b64 vcc, s[0:1], exec
	s_cselect_b32 s3, s11, s13
	s_lshr_b32 s4, s20, 16
	s_mul_i32 s4, s4, s21
	v_mul_lo_u32 v1, s4, v10
	v_bfe_u32 v2, v0, 10, 10
	v_mad_u32_u24 v1, v2, s21, v1
	v_bfe_u32 v0, v0, 20, 10
	v_add_lshl_u32 v4, v1, v0, 3
	v_mov_b32_e32 v5, s12
	v_add_u32_e32 v6, 0x800, v4
	v_pk_mov_b32 v[0:1], s[12:13], s[12:13] op_sel:[0,1]
	v_pk_mov_b32 v[2:3], s[16:17], s[16:17] op_sel:[0,1]
	ds_write2st64_b64 v4, v[2:3], v[0:1] offset1:4
	v_cndmask_b32_e64 v0, v5, v6, s[0:1]
	v_mov_b32_e32 v1, s3
	flat_load_dwordx2 v[0:1], v[0:1]
	s_xor_b64 s[4:5], s[0:1], -1
	v_pk_mov_b32 v[2:3], s[14:15], s[14:15] op_sel:[0,1]
	s_cbranch_vccnz .LBB196_2
; %bb.1:
	v_pk_mov_b32 v[2:3], s[12:13], s[12:13] op_sel:[0,1]
	flat_load_dwordx2 v[2:3], v[2:3] offset:8
.LBB196_2:
	s_and_b64 s[12:13], s[0:1], exec
	s_cselect_b32 s3, s11, s17
	v_mov_b32_e32 v5, s16
	v_cndmask_b32_e64 v4, v5, v4, s[0:1]
	v_mov_b32_e32 v5, s3
	flat_load_dwordx2 v[4:5], v[4:5]
	s_andn2_b64 vcc, exec, s[4:5]
	v_pk_mov_b32 v[6:7], s[18:19], s[18:19] op_sel:[0,1]
	s_cbranch_vccnz .LBB196_4
; %bb.3:
	v_pk_mov_b32 v[6:7], s[16:17], s[16:17] op_sel:[0,1]
	flat_load_dwordx2 v[6:7], v[6:7] offset:8
.LBB196_4:
	s_waitcnt vmcnt(0) lgkmcnt(0)
	v_cmp_eq_f64_e32 vcc, 0, v[0:1]
	v_cmp_eq_f64_e64 s[0:1], 0, v[2:3]
	s_and_b64 s[10:11], vcc, s[0:1]
	s_mov_b64 s[0:1], -1
	s_and_saveexec_b64 s[4:5], s[10:11]
; %bb.5:
	v_cmp_neq_f64_e32 vcc, 1.0, v[4:5]
	v_cmp_neq_f64_e64 s[0:1], 0, v[6:7]
	s_or_b64 s[0:1], vcc, s[0:1]
	s_orn2_b64 s[0:1], s[0:1], exec
; %bb.6:
	s_or_b64 exec, exec, s[4:5]
	s_and_saveexec_b64 s[4:5], s[0:1]
	s_cbranch_execz .LBB196_16
; %bb.7:
	s_load_dwordx2 s[0:1], s[6:7], 0x10
	v_lshrrev_b32_e32 v8, 5, v10
	v_lshl_or_b32 v8, s8, 3, v8
	v_ashrrev_i32_e32 v9, 31, v8
	s_waitcnt lgkmcnt(0)
	v_cmp_gt_i64_e32 vcc, s[0:1], v[8:9]
	s_and_b64 exec, exec, vcc
	s_cbranch_execz .LBB196_16
; %bb.8:
	s_load_dword s0, s[6:7], 0x28
	s_load_dwordx4 s[8:11], s[6:7], 0x18
	s_mov_b32 s1, 0
	v_and_b32_e32 v26, 31, v10
	s_load_dwordx2 s[4:5], s[6:7], 0x70
	s_waitcnt lgkmcnt(0)
	s_lshl_b64 s[0:1], s[0:1], 2
	s_add_u32 s0, s10, s0
	s_addc_u32 s1, s11, s1
	s_load_dword s0, s[0:1], 0x0
	v_mov_b32_e32 v11, s9
	s_waitcnt lgkmcnt(0)
	v_add_u32_e32 v8, s0, v8
	v_ashrrev_i32_e32 v9, 31, v8
	v_lshlrev_b64 v[8:9], 2, v[8:9]
	v_add_co_u32_e32 v8, vcc, s8, v8
	v_addc_co_u32_e32 v9, vcc, v11, v9, vcc
	global_load_dword v8, v[8:9], off
	s_load_dwordx2 s[0:1], s[6:7], 0x40
	s_mov_b64 s[8:9], 0
	s_waitcnt lgkmcnt(0)
	v_mov_b32_e32 v11, s1
	s_waitcnt vmcnt(0)
	v_ashrrev_i32_e32 v9, 31, v8
	v_lshlrev_b64 v[12:13], 3, v[8:9]
	v_add_co_u32_e32 v12, vcc, s0, v12
	v_addc_co_u32_e32 v13, vcc, v11, v13, vcc
	global_load_dwordx4 v[14:17], v[12:13], off
	v_subrev_co_u32_e32 v18, vcc, s2, v26
	v_subb_co_u32_e64 v19, s[0:1], 0, 0, vcc
	v_pk_mov_b32 v[10:11], 0, 0
	v_pk_mov_b32 v[20:21], v[10:11], v[10:11] op_sel:[0,1]
	s_waitcnt vmcnt(0)
	v_subrev_co_u32_e32 v12, vcc, s2, v16
	v_subbrev_co_u32_e32 v13, vcc, 0, v17, vcc
	v_add_co_u32_e32 v14, vcc, v14, v18
	v_addc_co_u32_e32 v15, vcc, v15, v19, vcc
	v_cmp_lt_i64_e32 vcc, v[14:15], v[12:13]
	s_and_saveexec_b64 s[10:11], vcc
	s_cbranch_execz .LBB196_12
; %bb.9:
	s_load_dwordx2 s[12:13], s[6:7], 0x58
	s_load_dwordx4 s[16:19], s[6:7], 0x48
	v_lshlrev_b64 v[10:11], 3, v[14:15]
	s_mov_b32 s0, 0
	s_brev_b32 s1, 1
	v_mul_f64 v[16:17], v[2:3], s[0:1]
	s_waitcnt lgkmcnt(0)
	v_mov_b32_e32 v20, s19
	v_add_co_u32_e32 v22, vcc, s18, v10
	v_addc_co_u32_e32 v23, vcc, v20, v11, vcc
	v_lshlrev_b64 v[10:11], 2, v[14:15]
	v_mov_b32_e32 v20, s17
	v_add_co_u32_e32 v24, vcc, s16, v10
	v_addc_co_u32_e32 v25, vcc, v20, v11, vcc
	v_pk_mov_b32 v[10:11], 0, 0
	v_mul_f64 v[18:19], v[0:1], 0
	v_mov_b32_e32 v27, s13
	v_pk_mov_b32 v[20:21], v[10:11], v[10:11] op_sel:[0,1]
.LBB196_10:                             ; =>This Inner Loop Header: Depth=1
	global_load_dword v28, v[24:25], off
	global_load_dwordx2 v[32:33], v[22:23], off
	s_waitcnt vmcnt(1)
	v_subrev_u32_e32 v28, s2, v28
	v_ashrrev_i32_e32 v29, 31, v28
	v_lshlrev_b64 v[28:29], 4, v[28:29]
	v_add_co_u32_e32 v28, vcc, s12, v28
	v_addc_co_u32_e32 v29, vcc, v27, v29, vcc
	global_load_dwordx4 v[28:31], v[28:29], off
	v_add_co_u32_e32 v14, vcc, 32, v14
	v_addc_co_u32_e32 v15, vcc, 0, v15, vcc
	v_add_co_u32_e32 v22, vcc, 0x100, v22
	v_addc_co_u32_e32 v23, vcc, 0, v23, vcc
	s_waitcnt vmcnt(1)
	v_fma_f64 v[34:35], v[0:1], v[32:33], v[16:17]
	v_fma_f64 v[32:33], v[2:3], v[32:33], v[18:19]
	v_add_co_u32_e32 v24, vcc, 0x80, v24
	v_cmp_ge_i64_e64 s[0:1], v[14:15], v[12:13]
	v_addc_co_u32_e32 v25, vcc, 0, v25, vcc
	s_or_b64 s[8:9], s[0:1], s[8:9]
	s_waitcnt vmcnt(0)
	v_fmac_f64_e32 v[20:21], v[34:35], v[28:29]
	v_fmac_f64_e32 v[10:11], v[32:33], v[28:29]
	v_fma_f64 v[20:21], -v[32:33], v[30:31], v[20:21]
	v_fmac_f64_e32 v[10:11], v[34:35], v[30:31]
	s_andn2_b64 exec, exec, s[8:9]
	s_cbranch_execnz .LBB196_10
; %bb.11:
	s_or_b64 exec, exec, s[8:9]
.LBB196_12:
	s_or_b64 exec, exec, s[10:11]
	v_mov_b32_dpp v0, v20 row_shr:1 row_mask:0xf bank_mask:0xf
	v_mov_b32_dpp v1, v21 row_shr:1 row_mask:0xf bank_mask:0xf
	;; [unrolled: 1-line block ×4, first 2 shown]
	v_add_f64 v[0:1], v[20:21], v[0:1]
	v_add_f64 v[10:11], v[10:11], v[12:13]
	v_cmp_eq_u32_e32 vcc, 31, v26
	v_mov_b32_dpp v2, v0 row_shr:2 row_mask:0xf bank_mask:0xf
	v_mov_b32_dpp v3, v1 row_shr:2 row_mask:0xf bank_mask:0xf
	v_mov_b32_dpp v12, v10 row_shr:2 row_mask:0xf bank_mask:0xf
	v_mov_b32_dpp v13, v11 row_shr:2 row_mask:0xf bank_mask:0xf
	v_add_f64 v[0:1], v[0:1], v[2:3]
	v_add_f64 v[10:11], v[10:11], v[12:13]
	s_nop 0
	v_mov_b32_dpp v2, v0 row_shr:4 row_mask:0xf bank_mask:0xe
	v_mov_b32_dpp v3, v1 row_shr:4 row_mask:0xf bank_mask:0xe
	v_mov_b32_dpp v12, v10 row_shr:4 row_mask:0xf bank_mask:0xe
	v_mov_b32_dpp v13, v11 row_shr:4 row_mask:0xf bank_mask:0xe
	v_add_f64 v[0:1], v[0:1], v[2:3]
	v_add_f64 v[10:11], v[10:11], v[12:13]
	s_nop 0
	;; [unrolled: 7-line block ×3, first 2 shown]
	v_mov_b32_dpp v2, v0 row_bcast:15 row_mask:0xa bank_mask:0xf
	v_mov_b32_dpp v3, v1 row_bcast:15 row_mask:0xa bank_mask:0xf
	;; [unrolled: 1-line block ×4, first 2 shown]
	s_and_b64 exec, exec, vcc
	s_cbranch_execz .LBB196_16
; %bb.13:
	v_cmp_neq_f64_e32 vcc, 0, v[4:5]
	v_cmp_neq_f64_e64 s[0:1], 0, v[6:7]
	v_add_f64 v[0:1], v[0:1], v[2:3]
	v_add_f64 v[2:3], v[10:11], v[12:13]
	s_or_b64 s[2:3], vcc, s[0:1]
	v_lshlrev_b64 v[8:9], 4, v[8:9]
	s_and_saveexec_b64 s[0:1], s[2:3]
	s_cbranch_execz .LBB196_15
; %bb.14:
	v_mov_b32_e32 v11, s5
	v_add_co_u32_e32 v10, vcc, s4, v8
	v_addc_co_u32_e32 v11, vcc, v11, v9, vcc
	global_load_dwordx4 v[10:13], v[10:11], off
	s_waitcnt vmcnt(0)
	v_fmac_f64_e32 v[0:1], v[4:5], v[10:11]
	v_fmac_f64_e32 v[2:3], v[6:7], v[10:11]
	v_fma_f64 v[0:1], -v[6:7], v[12:13], v[0:1]
	v_fmac_f64_e32 v[2:3], v[4:5], v[12:13]
.LBB196_15:
	s_or_b64 exec, exec, s[0:1]
	v_mov_b32_e32 v5, s5
	v_add_co_u32_e32 v4, vcc, s4, v8
	v_addc_co_u32_e32 v5, vcc, v5, v9, vcc
	global_store_dwordx4 v[4:5], v[0:3], off
.LBB196_16:
	s_endpgm
	.section	.rodata,"a",@progbits
	.p2align	6, 0x0
	.amdhsa_kernel _ZN9rocsparseL41csrmvn_lrb_medium_rows_warp_reduce_kernelILj256ELj32Elid21rocsparse_complex_numIdES2_S2_EEvbT1_lPT2_S5_jNS_24const_host_device_scalarIT6_EEPKS3_PKS4_PKT3_PKT4_S8_PT5_21rocsparse_index_base_b
		.amdhsa_group_segment_fixed_size 4096
		.amdhsa_private_segment_fixed_size 0
		.amdhsa_kernarg_size 128
		.amdhsa_user_sgpr_count 8
		.amdhsa_user_sgpr_private_segment_buffer 1
		.amdhsa_user_sgpr_dispatch_ptr 1
		.amdhsa_user_sgpr_queue_ptr 0
		.amdhsa_user_sgpr_kernarg_segment_ptr 1
		.amdhsa_user_sgpr_dispatch_id 0
		.amdhsa_user_sgpr_flat_scratch_init 0
		.amdhsa_user_sgpr_kernarg_preload_length 0
		.amdhsa_user_sgpr_kernarg_preload_offset 0
		.amdhsa_user_sgpr_private_segment_size 0
		.amdhsa_uses_dynamic_stack 0
		.amdhsa_system_sgpr_private_segment_wavefront_offset 0
		.amdhsa_system_sgpr_workgroup_id_x 1
		.amdhsa_system_sgpr_workgroup_id_y 0
		.amdhsa_system_sgpr_workgroup_id_z 0
		.amdhsa_system_sgpr_workgroup_info 0
		.amdhsa_system_vgpr_workitem_id 2
		.amdhsa_next_free_vgpr 36
		.amdhsa_next_free_sgpr 22
		.amdhsa_accum_offset 36
		.amdhsa_reserve_vcc 1
		.amdhsa_reserve_flat_scratch 0
		.amdhsa_float_round_mode_32 0
		.amdhsa_float_round_mode_16_64 0
		.amdhsa_float_denorm_mode_32 3
		.amdhsa_float_denorm_mode_16_64 3
		.amdhsa_dx10_clamp 1
		.amdhsa_ieee_mode 1
		.amdhsa_fp16_overflow 0
		.amdhsa_tg_split 0
		.amdhsa_exception_fp_ieee_invalid_op 0
		.amdhsa_exception_fp_denorm_src 0
		.amdhsa_exception_fp_ieee_div_zero 0
		.amdhsa_exception_fp_ieee_overflow 0
		.amdhsa_exception_fp_ieee_underflow 0
		.amdhsa_exception_fp_ieee_inexact 0
		.amdhsa_exception_int_div_zero 0
	.end_amdhsa_kernel
	.section	.text._ZN9rocsparseL41csrmvn_lrb_medium_rows_warp_reduce_kernelILj256ELj32Elid21rocsparse_complex_numIdES2_S2_EEvbT1_lPT2_S5_jNS_24const_host_device_scalarIT6_EEPKS3_PKS4_PKT3_PKT4_S8_PT5_21rocsparse_index_base_b,"axG",@progbits,_ZN9rocsparseL41csrmvn_lrb_medium_rows_warp_reduce_kernelILj256ELj32Elid21rocsparse_complex_numIdES2_S2_EEvbT1_lPT2_S5_jNS_24const_host_device_scalarIT6_EEPKS3_PKS4_PKT3_PKT4_S8_PT5_21rocsparse_index_base_b,comdat
.Lfunc_end196:
	.size	_ZN9rocsparseL41csrmvn_lrb_medium_rows_warp_reduce_kernelILj256ELj32Elid21rocsparse_complex_numIdES2_S2_EEvbT1_lPT2_S5_jNS_24const_host_device_scalarIT6_EEPKS3_PKS4_PKT3_PKT4_S8_PT5_21rocsparse_index_base_b, .Lfunc_end196-_ZN9rocsparseL41csrmvn_lrb_medium_rows_warp_reduce_kernelILj256ELj32Elid21rocsparse_complex_numIdES2_S2_EEvbT1_lPT2_S5_jNS_24const_host_device_scalarIT6_EEPKS3_PKS4_PKT3_PKT4_S8_PT5_21rocsparse_index_base_b
                                        ; -- End function
	.section	.AMDGPU.csdata,"",@progbits
; Kernel info:
; codeLenInByte = 1200
; NumSgprs: 26
; NumVgprs: 36
; NumAgprs: 0
; TotalNumVgprs: 36
; ScratchSize: 0
; MemoryBound: 0
; FloatMode: 240
; IeeeMode: 1
; LDSByteSize: 4096 bytes/workgroup (compile time only)
; SGPRBlocks: 3
; VGPRBlocks: 4
; NumSGPRsForWavesPerEU: 26
; NumVGPRsForWavesPerEU: 36
; AccumOffset: 36
; Occupancy: 8
; WaveLimiterHint : 1
; COMPUTE_PGM_RSRC2:SCRATCH_EN: 0
; COMPUTE_PGM_RSRC2:USER_SGPR: 8
; COMPUTE_PGM_RSRC2:TRAP_HANDLER: 0
; COMPUTE_PGM_RSRC2:TGID_X_EN: 1
; COMPUTE_PGM_RSRC2:TGID_Y_EN: 0
; COMPUTE_PGM_RSRC2:TGID_Z_EN: 0
; COMPUTE_PGM_RSRC2:TIDIG_COMP_CNT: 2
; COMPUTE_PGM_RSRC3_GFX90A:ACCUM_OFFSET: 8
; COMPUTE_PGM_RSRC3_GFX90A:TG_SPLIT: 0
	.section	.text._ZN9rocsparseL41csrmvn_lrb_medium_rows_warp_reduce_kernelILj256ELj64Elid21rocsparse_complex_numIdES2_S2_EEvbT1_lPT2_S5_jNS_24const_host_device_scalarIT6_EEPKS3_PKS4_PKT3_PKT4_S8_PT5_21rocsparse_index_base_b,"axG",@progbits,_ZN9rocsparseL41csrmvn_lrb_medium_rows_warp_reduce_kernelILj256ELj64Elid21rocsparse_complex_numIdES2_S2_EEvbT1_lPT2_S5_jNS_24const_host_device_scalarIT6_EEPKS3_PKS4_PKT3_PKT4_S8_PT5_21rocsparse_index_base_b,comdat
	.globl	_ZN9rocsparseL41csrmvn_lrb_medium_rows_warp_reduce_kernelILj256ELj64Elid21rocsparse_complex_numIdES2_S2_EEvbT1_lPT2_S5_jNS_24const_host_device_scalarIT6_EEPKS3_PKS4_PKT3_PKT4_S8_PT5_21rocsparse_index_base_b ; -- Begin function _ZN9rocsparseL41csrmvn_lrb_medium_rows_warp_reduce_kernelILj256ELj64Elid21rocsparse_complex_numIdES2_S2_EEvbT1_lPT2_S5_jNS_24const_host_device_scalarIT6_EEPKS3_PKS4_PKT3_PKT4_S8_PT5_21rocsparse_index_base_b
	.p2align	8
	.type	_ZN9rocsparseL41csrmvn_lrb_medium_rows_warp_reduce_kernelILj256ELj64Elid21rocsparse_complex_numIdES2_S2_EEvbT1_lPT2_S5_jNS_24const_host_device_scalarIT6_EEPKS3_PKS4_PKT3_PKT4_S8_PT5_21rocsparse_index_base_b,@function
_ZN9rocsparseL41csrmvn_lrb_medium_rows_warp_reduce_kernelILj256ELj64Elid21rocsparse_complex_numIdES2_S2_EEvbT1_lPT2_S5_jNS_24const_host_device_scalarIT6_EEPKS3_PKS4_PKT3_PKT4_S8_PT5_21rocsparse_index_base_b: ; @_ZN9rocsparseL41csrmvn_lrb_medium_rows_warp_reduce_kernelILj256ELj64Elid21rocsparse_complex_numIdES2_S2_EEvbT1_lPT2_S5_jNS_24const_host_device_scalarIT6_EEPKS3_PKS4_PKT3_PKT4_S8_PT5_21rocsparse_index_base_b
; %bb.0:
	s_load_dwordx2 s[2:3], s[6:7], 0x78
	s_load_dwordx4 s[12:15], s[6:7], 0x30
	s_load_dwordx2 s[20:21], s[4:5], 0x4
	s_load_dwordx4 s[16:19], s[6:7], 0x60
	s_mov_b64 s[10:11], src_shared_base
	v_and_b32_e32 v10, 0x3ff, v0
	s_waitcnt lgkmcnt(0)
	s_bitcmp1_b32 s3, 0
	s_cselect_b64 s[0:1], -1, 0
	s_and_b64 vcc, s[0:1], exec
	s_cselect_b32 s3, s11, s13
	s_lshr_b32 s4, s20, 16
	s_mul_i32 s4, s4, s21
	v_mul_lo_u32 v1, s4, v10
	v_bfe_u32 v2, v0, 10, 10
	v_mad_u32_u24 v1, v2, s21, v1
	v_bfe_u32 v0, v0, 20, 10
	v_add_lshl_u32 v4, v1, v0, 3
	v_mov_b32_e32 v5, s12
	v_add_u32_e32 v6, 0x800, v4
	v_pk_mov_b32 v[0:1], s[12:13], s[12:13] op_sel:[0,1]
	v_pk_mov_b32 v[2:3], s[16:17], s[16:17] op_sel:[0,1]
	ds_write2st64_b64 v4, v[2:3], v[0:1] offset1:4
	v_cndmask_b32_e64 v0, v5, v6, s[0:1]
	v_mov_b32_e32 v1, s3
	flat_load_dwordx2 v[0:1], v[0:1]
	s_xor_b64 s[4:5], s[0:1], -1
	v_pk_mov_b32 v[2:3], s[14:15], s[14:15] op_sel:[0,1]
	s_cbranch_vccnz .LBB197_2
; %bb.1:
	v_pk_mov_b32 v[2:3], s[12:13], s[12:13] op_sel:[0,1]
	flat_load_dwordx2 v[2:3], v[2:3] offset:8
.LBB197_2:
	s_and_b64 s[12:13], s[0:1], exec
	s_cselect_b32 s3, s11, s17
	v_mov_b32_e32 v5, s16
	v_cndmask_b32_e64 v4, v5, v4, s[0:1]
	v_mov_b32_e32 v5, s3
	flat_load_dwordx2 v[4:5], v[4:5]
	s_andn2_b64 vcc, exec, s[4:5]
	v_pk_mov_b32 v[6:7], s[18:19], s[18:19] op_sel:[0,1]
	s_cbranch_vccnz .LBB197_4
; %bb.3:
	v_pk_mov_b32 v[6:7], s[16:17], s[16:17] op_sel:[0,1]
	flat_load_dwordx2 v[6:7], v[6:7] offset:8
.LBB197_4:
	s_waitcnt vmcnt(0) lgkmcnt(0)
	v_cmp_eq_f64_e32 vcc, 0, v[0:1]
	v_cmp_eq_f64_e64 s[0:1], 0, v[2:3]
	s_and_b64 s[10:11], vcc, s[0:1]
	s_mov_b64 s[0:1], -1
	s_and_saveexec_b64 s[4:5], s[10:11]
; %bb.5:
	v_cmp_neq_f64_e32 vcc, 1.0, v[4:5]
	v_cmp_neq_f64_e64 s[0:1], 0, v[6:7]
	s_or_b64 s[0:1], vcc, s[0:1]
	s_orn2_b64 s[0:1], s[0:1], exec
; %bb.6:
	s_or_b64 exec, exec, s[4:5]
	s_and_saveexec_b64 s[4:5], s[0:1]
	s_cbranch_execz .LBB197_16
; %bb.7:
	s_load_dwordx2 s[0:1], s[6:7], 0x10
	v_lshrrev_b32_e32 v8, 6, v10
	v_lshl_or_b32 v8, s8, 2, v8
	v_ashrrev_i32_e32 v9, 31, v8
	s_waitcnt lgkmcnt(0)
	v_cmp_gt_i64_e32 vcc, s[0:1], v[8:9]
	s_and_b64 exec, exec, vcc
	s_cbranch_execz .LBB197_16
; %bb.8:
	s_load_dword s0, s[6:7], 0x28
	s_load_dwordx4 s[8:11], s[6:7], 0x18
	s_mov_b32 s1, 0
	v_and_b32_e32 v26, 63, v10
	s_load_dwordx2 s[4:5], s[6:7], 0x70
	s_waitcnt lgkmcnt(0)
	s_lshl_b64 s[0:1], s[0:1], 2
	s_add_u32 s0, s10, s0
	s_addc_u32 s1, s11, s1
	s_load_dword s0, s[0:1], 0x0
	v_mov_b32_e32 v11, s9
	s_waitcnt lgkmcnt(0)
	v_add_u32_e32 v8, s0, v8
	v_ashrrev_i32_e32 v9, 31, v8
	v_lshlrev_b64 v[8:9], 2, v[8:9]
	v_add_co_u32_e32 v8, vcc, s8, v8
	v_addc_co_u32_e32 v9, vcc, v11, v9, vcc
	global_load_dword v8, v[8:9], off
	s_load_dwordx2 s[0:1], s[6:7], 0x40
	s_mov_b64 s[8:9], 0
	s_waitcnt lgkmcnt(0)
	v_mov_b32_e32 v11, s1
	s_waitcnt vmcnt(0)
	v_ashrrev_i32_e32 v9, 31, v8
	v_lshlrev_b64 v[12:13], 3, v[8:9]
	v_add_co_u32_e32 v12, vcc, s0, v12
	v_addc_co_u32_e32 v13, vcc, v11, v13, vcc
	global_load_dwordx4 v[14:17], v[12:13], off
	v_subrev_co_u32_e32 v18, vcc, s2, v26
	v_subb_co_u32_e64 v19, s[0:1], 0, 0, vcc
	v_pk_mov_b32 v[10:11], 0, 0
	v_pk_mov_b32 v[20:21], v[10:11], v[10:11] op_sel:[0,1]
	s_waitcnt vmcnt(0)
	v_subrev_co_u32_e32 v12, vcc, s2, v16
	v_subbrev_co_u32_e32 v13, vcc, 0, v17, vcc
	v_add_co_u32_e32 v14, vcc, v14, v18
	v_addc_co_u32_e32 v15, vcc, v15, v19, vcc
	v_cmp_lt_i64_e32 vcc, v[14:15], v[12:13]
	s_and_saveexec_b64 s[10:11], vcc
	s_cbranch_execz .LBB197_12
; %bb.9:
	s_load_dwordx2 s[12:13], s[6:7], 0x58
	s_load_dwordx4 s[16:19], s[6:7], 0x48
	v_lshlrev_b64 v[10:11], 3, v[14:15]
	s_mov_b32 s0, 0
	s_brev_b32 s1, 1
	v_mul_f64 v[16:17], v[2:3], s[0:1]
	s_waitcnt lgkmcnt(0)
	v_mov_b32_e32 v20, s19
	v_add_co_u32_e32 v22, vcc, s18, v10
	v_addc_co_u32_e32 v23, vcc, v20, v11, vcc
	v_lshlrev_b64 v[10:11], 2, v[14:15]
	v_mov_b32_e32 v20, s17
	v_add_co_u32_e32 v24, vcc, s16, v10
	v_addc_co_u32_e32 v25, vcc, v20, v11, vcc
	v_pk_mov_b32 v[10:11], 0, 0
	v_mul_f64 v[18:19], v[0:1], 0
	v_mov_b32_e32 v27, s13
	v_pk_mov_b32 v[20:21], v[10:11], v[10:11] op_sel:[0,1]
.LBB197_10:                             ; =>This Inner Loop Header: Depth=1
	global_load_dword v28, v[24:25], off
	global_load_dwordx2 v[32:33], v[22:23], off
	s_waitcnt vmcnt(1)
	v_subrev_u32_e32 v28, s2, v28
	v_ashrrev_i32_e32 v29, 31, v28
	v_lshlrev_b64 v[28:29], 4, v[28:29]
	v_add_co_u32_e32 v28, vcc, s12, v28
	v_addc_co_u32_e32 v29, vcc, v27, v29, vcc
	global_load_dwordx4 v[28:31], v[28:29], off
	v_add_co_u32_e32 v14, vcc, 64, v14
	v_addc_co_u32_e32 v15, vcc, 0, v15, vcc
	v_add_co_u32_e32 v22, vcc, 0x200, v22
	v_addc_co_u32_e32 v23, vcc, 0, v23, vcc
	s_waitcnt vmcnt(1)
	v_fma_f64 v[34:35], v[0:1], v[32:33], v[16:17]
	v_fma_f64 v[32:33], v[2:3], v[32:33], v[18:19]
	v_add_co_u32_e32 v24, vcc, 0x100, v24
	v_cmp_ge_i64_e64 s[0:1], v[14:15], v[12:13]
	v_addc_co_u32_e32 v25, vcc, 0, v25, vcc
	s_or_b64 s[8:9], s[0:1], s[8:9]
	s_waitcnt vmcnt(0)
	v_fmac_f64_e32 v[20:21], v[34:35], v[28:29]
	v_fmac_f64_e32 v[10:11], v[32:33], v[28:29]
	v_fma_f64 v[20:21], -v[32:33], v[30:31], v[20:21]
	v_fmac_f64_e32 v[10:11], v[34:35], v[30:31]
	s_andn2_b64 exec, exec, s[8:9]
	s_cbranch_execnz .LBB197_10
; %bb.11:
	s_or_b64 exec, exec, s[8:9]
.LBB197_12:
	s_or_b64 exec, exec, s[10:11]
	v_mov_b32_dpp v0, v20 row_shr:1 row_mask:0xf bank_mask:0xf
	v_mov_b32_dpp v1, v21 row_shr:1 row_mask:0xf bank_mask:0xf
	;; [unrolled: 1-line block ×4, first 2 shown]
	v_add_f64 v[0:1], v[20:21], v[0:1]
	v_add_f64 v[10:11], v[10:11], v[12:13]
	v_cmp_eq_u32_e32 vcc, 63, v26
	v_mov_b32_dpp v2, v0 row_shr:2 row_mask:0xf bank_mask:0xf
	v_mov_b32_dpp v3, v1 row_shr:2 row_mask:0xf bank_mask:0xf
	v_mov_b32_dpp v12, v10 row_shr:2 row_mask:0xf bank_mask:0xf
	v_mov_b32_dpp v13, v11 row_shr:2 row_mask:0xf bank_mask:0xf
	v_add_f64 v[0:1], v[0:1], v[2:3]
	v_add_f64 v[10:11], v[10:11], v[12:13]
	s_nop 0
	v_mov_b32_dpp v2, v0 row_shr:4 row_mask:0xf bank_mask:0xe
	v_mov_b32_dpp v3, v1 row_shr:4 row_mask:0xf bank_mask:0xe
	v_mov_b32_dpp v12, v10 row_shr:4 row_mask:0xf bank_mask:0xe
	v_mov_b32_dpp v13, v11 row_shr:4 row_mask:0xf bank_mask:0xe
	v_add_f64 v[0:1], v[0:1], v[2:3]
	v_add_f64 v[10:11], v[10:11], v[12:13]
	s_nop 0
	v_mov_b32_dpp v2, v0 row_shr:8 row_mask:0xf bank_mask:0xc
	v_mov_b32_dpp v3, v1 row_shr:8 row_mask:0xf bank_mask:0xc
	v_mov_b32_dpp v12, v10 row_shr:8 row_mask:0xf bank_mask:0xc
	v_mov_b32_dpp v13, v11 row_shr:8 row_mask:0xf bank_mask:0xc
	v_add_f64 v[0:1], v[0:1], v[2:3]
	v_add_f64 v[10:11], v[10:11], v[12:13]
	s_nop 0
	v_mov_b32_dpp v2, v0 row_bcast:15 row_mask:0xa bank_mask:0xf
	v_mov_b32_dpp v3, v1 row_bcast:15 row_mask:0xa bank_mask:0xf
	;; [unrolled: 1-line block ×4, first 2 shown]
	v_add_f64 v[0:1], v[0:1], v[2:3]
	v_add_f64 v[10:11], v[10:11], v[12:13]
	s_nop 0
	v_mov_b32_dpp v2, v0 row_bcast:31 row_mask:0xc bank_mask:0xf
	v_mov_b32_dpp v3, v1 row_bcast:31 row_mask:0xc bank_mask:0xf
	;; [unrolled: 1-line block ×4, first 2 shown]
	s_and_b64 exec, exec, vcc
	s_cbranch_execz .LBB197_16
; %bb.13:
	v_cmp_neq_f64_e32 vcc, 0, v[4:5]
	v_cmp_neq_f64_e64 s[0:1], 0, v[6:7]
	v_add_f64 v[0:1], v[0:1], v[2:3]
	v_add_f64 v[2:3], v[10:11], v[12:13]
	s_or_b64 s[2:3], vcc, s[0:1]
	v_lshlrev_b64 v[8:9], 4, v[8:9]
	s_and_saveexec_b64 s[0:1], s[2:3]
	s_cbranch_execz .LBB197_15
; %bb.14:
	v_mov_b32_e32 v11, s5
	v_add_co_u32_e32 v10, vcc, s4, v8
	v_addc_co_u32_e32 v11, vcc, v11, v9, vcc
	global_load_dwordx4 v[10:13], v[10:11], off
	s_waitcnt vmcnt(0)
	v_fmac_f64_e32 v[0:1], v[4:5], v[10:11]
	v_fmac_f64_e32 v[2:3], v[6:7], v[10:11]
	v_fma_f64 v[0:1], -v[6:7], v[12:13], v[0:1]
	v_fmac_f64_e32 v[2:3], v[4:5], v[12:13]
.LBB197_15:
	s_or_b64 exec, exec, s[0:1]
	v_mov_b32_e32 v5, s5
	v_add_co_u32_e32 v4, vcc, s4, v8
	v_addc_co_u32_e32 v5, vcc, v5, v9, vcc
	global_store_dwordx4 v[4:5], v[0:3], off
.LBB197_16:
	s_endpgm
	.section	.rodata,"a",@progbits
	.p2align	6, 0x0
	.amdhsa_kernel _ZN9rocsparseL41csrmvn_lrb_medium_rows_warp_reduce_kernelILj256ELj64Elid21rocsparse_complex_numIdES2_S2_EEvbT1_lPT2_S5_jNS_24const_host_device_scalarIT6_EEPKS3_PKS4_PKT3_PKT4_S8_PT5_21rocsparse_index_base_b
		.amdhsa_group_segment_fixed_size 4096
		.amdhsa_private_segment_fixed_size 0
		.amdhsa_kernarg_size 128
		.amdhsa_user_sgpr_count 8
		.amdhsa_user_sgpr_private_segment_buffer 1
		.amdhsa_user_sgpr_dispatch_ptr 1
		.amdhsa_user_sgpr_queue_ptr 0
		.amdhsa_user_sgpr_kernarg_segment_ptr 1
		.amdhsa_user_sgpr_dispatch_id 0
		.amdhsa_user_sgpr_flat_scratch_init 0
		.amdhsa_user_sgpr_kernarg_preload_length 0
		.amdhsa_user_sgpr_kernarg_preload_offset 0
		.amdhsa_user_sgpr_private_segment_size 0
		.amdhsa_uses_dynamic_stack 0
		.amdhsa_system_sgpr_private_segment_wavefront_offset 0
		.amdhsa_system_sgpr_workgroup_id_x 1
		.amdhsa_system_sgpr_workgroup_id_y 0
		.amdhsa_system_sgpr_workgroup_id_z 0
		.amdhsa_system_sgpr_workgroup_info 0
		.amdhsa_system_vgpr_workitem_id 2
		.amdhsa_next_free_vgpr 36
		.amdhsa_next_free_sgpr 22
		.amdhsa_accum_offset 36
		.amdhsa_reserve_vcc 1
		.amdhsa_reserve_flat_scratch 0
		.amdhsa_float_round_mode_32 0
		.amdhsa_float_round_mode_16_64 0
		.amdhsa_float_denorm_mode_32 3
		.amdhsa_float_denorm_mode_16_64 3
		.amdhsa_dx10_clamp 1
		.amdhsa_ieee_mode 1
		.amdhsa_fp16_overflow 0
		.amdhsa_tg_split 0
		.amdhsa_exception_fp_ieee_invalid_op 0
		.amdhsa_exception_fp_denorm_src 0
		.amdhsa_exception_fp_ieee_div_zero 0
		.amdhsa_exception_fp_ieee_overflow 0
		.amdhsa_exception_fp_ieee_underflow 0
		.amdhsa_exception_fp_ieee_inexact 0
		.amdhsa_exception_int_div_zero 0
	.end_amdhsa_kernel
	.section	.text._ZN9rocsparseL41csrmvn_lrb_medium_rows_warp_reduce_kernelILj256ELj64Elid21rocsparse_complex_numIdES2_S2_EEvbT1_lPT2_S5_jNS_24const_host_device_scalarIT6_EEPKS3_PKS4_PKT3_PKT4_S8_PT5_21rocsparse_index_base_b,"axG",@progbits,_ZN9rocsparseL41csrmvn_lrb_medium_rows_warp_reduce_kernelILj256ELj64Elid21rocsparse_complex_numIdES2_S2_EEvbT1_lPT2_S5_jNS_24const_host_device_scalarIT6_EEPKS3_PKS4_PKT3_PKT4_S8_PT5_21rocsparse_index_base_b,comdat
.Lfunc_end197:
	.size	_ZN9rocsparseL41csrmvn_lrb_medium_rows_warp_reduce_kernelILj256ELj64Elid21rocsparse_complex_numIdES2_S2_EEvbT1_lPT2_S5_jNS_24const_host_device_scalarIT6_EEPKS3_PKS4_PKT3_PKT4_S8_PT5_21rocsparse_index_base_b, .Lfunc_end197-_ZN9rocsparseL41csrmvn_lrb_medium_rows_warp_reduce_kernelILj256ELj64Elid21rocsparse_complex_numIdES2_S2_EEvbT1_lPT2_S5_jNS_24const_host_device_scalarIT6_EEPKS3_PKS4_PKT3_PKT4_S8_PT5_21rocsparse_index_base_b
                                        ; -- End function
	.section	.AMDGPU.csdata,"",@progbits
; Kernel info:
; codeLenInByte = 1252
; NumSgprs: 26
; NumVgprs: 36
; NumAgprs: 0
; TotalNumVgprs: 36
; ScratchSize: 0
; MemoryBound: 0
; FloatMode: 240
; IeeeMode: 1
; LDSByteSize: 4096 bytes/workgroup (compile time only)
; SGPRBlocks: 3
; VGPRBlocks: 4
; NumSGPRsForWavesPerEU: 26
; NumVGPRsForWavesPerEU: 36
; AccumOffset: 36
; Occupancy: 8
; WaveLimiterHint : 1
; COMPUTE_PGM_RSRC2:SCRATCH_EN: 0
; COMPUTE_PGM_RSRC2:USER_SGPR: 8
; COMPUTE_PGM_RSRC2:TRAP_HANDLER: 0
; COMPUTE_PGM_RSRC2:TGID_X_EN: 1
; COMPUTE_PGM_RSRC2:TGID_Y_EN: 0
; COMPUTE_PGM_RSRC2:TGID_Z_EN: 0
; COMPUTE_PGM_RSRC2:TIDIG_COMP_CNT: 2
; COMPUTE_PGM_RSRC3_GFX90A:ACCUM_OFFSET: 8
; COMPUTE_PGM_RSRC3_GFX90A:TG_SPLIT: 0
	.section	.text._ZN9rocsparseL29csrmvn_lrb_medium_rows_kernelILj256Elid21rocsparse_complex_numIdES2_S2_EEvbT0_PT1_S5_jNS_24const_host_device_scalarIT5_EEPKS3_PKS4_PKT2_PKT3_S8_PT4_21rocsparse_index_base_b,"axG",@progbits,_ZN9rocsparseL29csrmvn_lrb_medium_rows_kernelILj256Elid21rocsparse_complex_numIdES2_S2_EEvbT0_PT1_S5_jNS_24const_host_device_scalarIT5_EEPKS3_PKS4_PKT2_PKT3_S8_PT4_21rocsparse_index_base_b,comdat
	.globl	_ZN9rocsparseL29csrmvn_lrb_medium_rows_kernelILj256Elid21rocsparse_complex_numIdES2_S2_EEvbT0_PT1_S5_jNS_24const_host_device_scalarIT5_EEPKS3_PKS4_PKT2_PKT3_S8_PT4_21rocsparse_index_base_b ; -- Begin function _ZN9rocsparseL29csrmvn_lrb_medium_rows_kernelILj256Elid21rocsparse_complex_numIdES2_S2_EEvbT0_PT1_S5_jNS_24const_host_device_scalarIT5_EEPKS3_PKS4_PKT2_PKT3_S8_PT4_21rocsparse_index_base_b
	.p2align	8
	.type	_ZN9rocsparseL29csrmvn_lrb_medium_rows_kernelILj256Elid21rocsparse_complex_numIdES2_S2_EEvbT0_PT1_S5_jNS_24const_host_device_scalarIT5_EEPKS3_PKS4_PKT2_PKT3_S8_PT4_21rocsparse_index_base_b,@function
_ZN9rocsparseL29csrmvn_lrb_medium_rows_kernelILj256Elid21rocsparse_complex_numIdES2_S2_EEvbT0_PT1_S5_jNS_24const_host_device_scalarIT5_EEPKS3_PKS4_PKT2_PKT3_S8_PT4_21rocsparse_index_base_b: ; @_ZN9rocsparseL29csrmvn_lrb_medium_rows_kernelILj256Elid21rocsparse_complex_numIdES2_S2_EEvbT0_PT1_S5_jNS_24const_host_device_scalarIT5_EEPKS3_PKS4_PKT2_PKT3_S8_PT4_21rocsparse_index_base_b
; %bb.0:
	s_load_dwordx2 s[10:11], s[6:7], 0x70
	s_load_dwordx4 s[12:15], s[6:7], 0x28
	s_load_dwordx2 s[20:21], s[4:5], 0x4
	s_load_dwordx4 s[16:19], s[6:7], 0x58
	s_mov_b64 s[2:3], src_shared_base
	v_and_b32_e32 v22, 0x3ff, v0
	s_waitcnt lgkmcnt(0)
	s_bitcmp1_b32 s11, 0
	s_cselect_b64 s[0:1], -1, 0
	s_and_b64 vcc, s[0:1], exec
	s_cselect_b32 s2, s3, s13
	s_lshr_b32 s4, s20, 16
	s_mul_i32 s4, s4, s21
	v_mul_lo_u32 v1, s4, v22
	v_bfe_u32 v2, v0, 10, 10
	v_mad_u32_u24 v1, v2, s21, v1
	v_bfe_u32 v0, v0, 20, 10
	v_add_lshl_u32 v5, v1, v0, 3
	v_mov_b32_e32 v4, s12
	v_add_u32_e32 v6, 0x1800, v5
	v_pk_mov_b32 v[0:1], s[12:13], s[12:13] op_sel:[0,1]
	v_pk_mov_b32 v[2:3], s[16:17], s[16:17] op_sel:[0,1]
	ds_write2st64_b64 v5, v[2:3], v[0:1] offset0:8 offset1:12
	v_cndmask_b32_e64 v0, v4, v6, s[0:1]
	v_mov_b32_e32 v1, s2
	flat_load_dwordx2 v[8:9], v[0:1]
	s_xor_b64 s[4:5], s[0:1], -1
	v_add_u32_e32 v0, 0x1000, v5
	v_pk_mov_b32 v[10:11], s[14:15], s[14:15] op_sel:[0,1]
	s_cbranch_vccnz .LBB198_2
; %bb.1:
	v_pk_mov_b32 v[2:3], s[12:13], s[12:13] op_sel:[0,1]
	flat_load_dwordx2 v[10:11], v[2:3] offset:8
.LBB198_2:
	s_and_b64 s[12:13], s[0:1], exec
	s_cselect_b32 s2, s3, s17
	v_mov_b32_e32 v1, s16
	v_cndmask_b32_e64 v0, v1, v0, s[0:1]
	v_mov_b32_e32 v1, s2
	flat_load_dwordx2 v[4:5], v[0:1]
	s_andn2_b64 vcc, exec, s[4:5]
	v_pk_mov_b32 v[6:7], s[18:19], s[18:19] op_sel:[0,1]
	s_cbranch_vccnz .LBB198_4
; %bb.3:
	v_pk_mov_b32 v[0:1], s[16:17], s[16:17] op_sel:[0,1]
	flat_load_dwordx2 v[6:7], v[0:1] offset:8
.LBB198_4:
	s_waitcnt vmcnt(0) lgkmcnt(0)
	v_cmp_eq_f64_e32 vcc, 0, v[8:9]
	v_cmp_eq_f64_e64 s[0:1], 0, v[10:11]
	s_and_b64 s[4:5], vcc, s[0:1]
	s_mov_b64 s[0:1], -1
	s_and_saveexec_b64 s[2:3], s[4:5]
; %bb.5:
	v_cmp_neq_f64_e32 vcc, 1.0, v[4:5]
	v_cmp_neq_f64_e64 s[0:1], 0, v[6:7]
	s_or_b64 s[0:1], vcc, s[0:1]
	s_orn2_b64 s[0:1], s[0:1], exec
; %bb.6:
	s_or_b64 exec, exec, s[2:3]
	s_and_saveexec_b64 s[2:3], s[0:1]
	s_cbranch_execz .LBB198_31
; %bb.7:
	s_load_dword s4, s[6:7], 0x20
	s_load_dwordx4 s[0:3], s[6:7], 0x10
	s_mov_b32 s5, 0
	v_subrev_co_u32_e32 v0, vcc, s10, v22
	s_waitcnt lgkmcnt(0)
	s_lshl_b64 s[4:5], s[4:5], 2
	s_add_u32 s2, s2, s4
	s_addc_u32 s3, s3, s5
	s_load_dword s2, s[2:3], 0x0
	v_pk_mov_b32 v[2:3], 0, 0
	s_waitcnt lgkmcnt(0)
	s_add_i32 s2, s2, s8
	s_ashr_i32 s3, s2, 31
	s_lshl_b64 s[2:3], s[2:3], 2
	s_add_u32 s0, s0, s2
	s_addc_u32 s1, s1, s3
	s_load_dword s4, s[0:1], 0x0
	s_load_dwordx2 s[8:9], s[6:7], 0x38
	s_load_dwordx2 s[2:3], s[6:7], 0x68
	s_waitcnt lgkmcnt(0)
	s_ashr_i32 s5, s4, 31
	s_lshl_b64 s[0:1], s[4:5], 3
	s_add_u32 s0, s8, s0
	s_addc_u32 s1, s9, s1
	s_load_dwordx4 s[16:19], s[0:1], 0x0
	v_subb_co_u32_e64 v1, s[0:1], 0, 0, vcc
	s_mov_b64 s[8:9], 0
	s_waitcnt lgkmcnt(0)
	s_sub_u32 s12, s18, s10
	v_mov_b32_e32 v13, s17
	v_add_co_u32_e32 v12, vcc, s16, v0
	s_subb_u32 s13, s19, 0
	v_addc_co_u32_e32 v13, vcc, v13, v1, vcc
	v_cmp_gt_i64_e32 vcc, s[12:13], v[12:13]
	v_pk_mov_b32 v[0:1], v[2:3], v[2:3] op_sel:[0,1]
	s_and_saveexec_b64 s[14:15], vcc
	s_cbranch_execz .LBB198_11
; %bb.8:
	s_load_dwordx2 s[16:17], s[6:7], 0x50
	s_load_dwordx4 s[20:23], s[6:7], 0x40
	v_lshlrev_b64 v[0:1], 3, v[12:13]
	s_mov_b32 s0, 0
	s_brev_b32 s1, 1
	v_mul_f64 v[14:15], v[10:11], s[0:1]
	s_waitcnt lgkmcnt(0)
	v_mov_b32_e32 v2, s23
	v_add_co_u32_e32 v18, vcc, s22, v0
	v_addc_co_u32_e32 v19, vcc, v2, v1, vcc
	v_lshlrev_b64 v[0:1], 2, v[12:13]
	v_mov_b32_e32 v2, s21
	v_add_co_u32_e32 v20, vcc, s20, v0
	v_addc_co_u32_e32 v21, vcc, v2, v1, vcc
	v_pk_mov_b32 v[2:3], 0, 0
	v_mul_f64 v[16:17], v[8:9], 0
	v_mov_b32_e32 v23, s17
	s_movk_i32 s6, 0x100
	v_pk_mov_b32 v[0:1], v[2:3], v[2:3] op_sel:[0,1]
.LBB198_9:                              ; =>This Inner Loop Header: Depth=1
	global_load_dword v24, v[20:21], off
	global_load_dwordx2 v[28:29], v[18:19], off
	s_waitcnt vmcnt(1)
	v_subrev_u32_e32 v24, s10, v24
	v_ashrrev_i32_e32 v25, 31, v24
	v_lshlrev_b64 v[24:25], 4, v[24:25]
	v_add_co_u32_e32 v24, vcc, s16, v24
	v_addc_co_u32_e32 v25, vcc, v23, v25, vcc
	global_load_dwordx4 v[24:27], v[24:25], off
	v_add_co_u32_e32 v12, vcc, s6, v12
	v_addc_co_u32_e32 v13, vcc, 0, v13, vcc
	v_add_co_u32_e32 v18, vcc, 0x800, v18
	v_addc_co_u32_e32 v19, vcc, 0, v19, vcc
	s_waitcnt vmcnt(1)
	v_fma_f64 v[30:31], v[8:9], v[28:29], v[14:15]
	v_fma_f64 v[28:29], v[10:11], v[28:29], v[16:17]
	v_add_co_u32_e32 v20, vcc, 0x400, v20
	v_cmp_le_i64_e64 s[0:1], s[12:13], v[12:13]
	v_addc_co_u32_e32 v21, vcc, 0, v21, vcc
	s_or_b64 s[8:9], s[0:1], s[8:9]
	s_waitcnt vmcnt(0)
	v_fmac_f64_e32 v[0:1], v[30:31], v[24:25]
	v_fmac_f64_e32 v[2:3], v[28:29], v[24:25]
	v_fma_f64 v[0:1], -v[28:29], v[26:27], v[0:1]
	v_fmac_f64_e32 v[2:3], v[30:31], v[26:27]
	s_andn2_b64 exec, exec, s[8:9]
	s_cbranch_execnz .LBB198_9
; %bb.10:
	s_or_b64 exec, exec, s[8:9]
.LBB198_11:
	s_or_b64 exec, exec, s[14:15]
	s_movk_i32 s0, 0x80
	v_lshlrev_b32_e32 v8, 4, v22
	v_cmp_gt_u32_e32 vcc, s0, v22
	ds_write_b128 v8, v[0:3]
	s_waitcnt lgkmcnt(0)
	s_barrier
	s_and_saveexec_b64 s[0:1], vcc
	s_cbranch_execz .LBB198_13
; %bb.12:
	ds_read_b128 v[0:3], v8 offset:2048
	ds_read_b128 v[10:13], v8
	s_waitcnt lgkmcnt(0)
	v_add_f64 v[0:1], v[0:1], v[10:11]
	v_add_f64 v[2:3], v[2:3], v[12:13]
	ds_write_b128 v8, v[0:3]
.LBB198_13:
	s_or_b64 exec, exec, s[0:1]
	v_cmp_gt_u32_e32 vcc, 64, v22
	s_waitcnt lgkmcnt(0)
	s_barrier
	s_and_saveexec_b64 s[0:1], vcc
	s_cbranch_execz .LBB198_15
; %bb.14:
	ds_read_b128 v[0:3], v8 offset:1024
	ds_read_b128 v[10:13], v8
	s_waitcnt lgkmcnt(0)
	v_add_f64 v[0:1], v[0:1], v[10:11]
	v_add_f64 v[2:3], v[2:3], v[12:13]
	ds_write_b128 v8, v[0:3]
.LBB198_15:
	s_or_b64 exec, exec, s[0:1]
	v_cmp_gt_u32_e32 vcc, 32, v22
	;; [unrolled: 14-line block ×6, first 2 shown]
	s_waitcnt lgkmcnt(0)
	s_barrier
	s_and_saveexec_b64 s[0:1], vcc
	s_cbranch_execz .LBB198_25
; %bb.24:
	ds_read_b128 v[0:3], v8
	ds_read_b128 v[10:13], v8 offset:32
	s_waitcnt lgkmcnt(0)
	v_add_f64 v[0:1], v[10:11], v[0:1]
	v_add_f64 v[2:3], v[12:13], v[2:3]
	ds_write_b128 v8, v[0:3]
.LBB198_25:
	s_or_b64 exec, exec, s[0:1]
	v_cmp_eq_u32_e32 vcc, 0, v22
	s_waitcnt lgkmcnt(0)
	s_barrier
	s_and_saveexec_b64 s[0:1], vcc
	s_cbranch_execz .LBB198_27
; %bb.26:
	v_mov_b32_e32 v12, 0
	ds_read_b128 v[0:3], v12
	ds_read_b128 v[8:11], v12 offset:16
	s_waitcnt lgkmcnt(0)
	v_add_f64 v[0:1], v[8:9], v[0:1]
	v_add_f64 v[2:3], v[10:11], v[2:3]
	ds_write_b128 v12, v[0:3]
.LBB198_27:
	s_or_b64 exec, exec, s[0:1]
	s_waitcnt lgkmcnt(0)
	s_barrier
	s_and_b64 exec, exec, vcc
	s_cbranch_execz .LBB198_31
; %bb.28:
	v_mov_b32_e32 v8, 0
	ds_read_b128 v[0:3], v8
	v_cmp_neq_f64_e32 vcc, 0, v[4:5]
	v_cmp_neq_f64_e64 s[0:1], 0, v[6:7]
	s_or_b64 s[6:7], vcc, s[0:1]
	s_and_saveexec_b64 s[0:1], s[6:7]
	s_cbranch_execz .LBB198_30
; %bb.29:
	s_lshl_b64 s[6:7], s[4:5], 4
	s_add_u32 s6, s2, s6
	s_addc_u32 s7, s3, s7
	s_load_dwordx4 s[8:11], s[6:7], 0x0
	s_waitcnt lgkmcnt(0)
	v_fmac_f64_e32 v[0:1], s[8:9], v[4:5]
	v_fmac_f64_e32 v[2:3], s[8:9], v[6:7]
	v_fma_f64 v[0:1], -v[6:7], s[10:11], v[0:1]
	v_fmac_f64_e32 v[2:3], s[10:11], v[4:5]
.LBB198_30:
	s_or_b64 exec, exec, s[0:1]
	s_lshl_b64 s[0:1], s[4:5], 4
	s_add_u32 s0, s2, s0
	s_addc_u32 s1, s3, s1
	s_waitcnt lgkmcnt(0)
	global_store_dwordx4 v8, v[0:3], s[0:1]
.LBB198_31:
	s_endpgm
	.section	.rodata,"a",@progbits
	.p2align	6, 0x0
	.amdhsa_kernel _ZN9rocsparseL29csrmvn_lrb_medium_rows_kernelILj256Elid21rocsparse_complex_numIdES2_S2_EEvbT0_PT1_S5_jNS_24const_host_device_scalarIT5_EEPKS3_PKS4_PKT2_PKT3_S8_PT4_21rocsparse_index_base_b
		.amdhsa_group_segment_fixed_size 8192
		.amdhsa_private_segment_fixed_size 0
		.amdhsa_kernarg_size 120
		.amdhsa_user_sgpr_count 8
		.amdhsa_user_sgpr_private_segment_buffer 1
		.amdhsa_user_sgpr_dispatch_ptr 1
		.amdhsa_user_sgpr_queue_ptr 0
		.amdhsa_user_sgpr_kernarg_segment_ptr 1
		.amdhsa_user_sgpr_dispatch_id 0
		.amdhsa_user_sgpr_flat_scratch_init 0
		.amdhsa_user_sgpr_kernarg_preload_length 0
		.amdhsa_user_sgpr_kernarg_preload_offset 0
		.amdhsa_user_sgpr_private_segment_size 0
		.amdhsa_uses_dynamic_stack 0
		.amdhsa_system_sgpr_private_segment_wavefront_offset 0
		.amdhsa_system_sgpr_workgroup_id_x 1
		.amdhsa_system_sgpr_workgroup_id_y 0
		.amdhsa_system_sgpr_workgroup_id_z 0
		.amdhsa_system_sgpr_workgroup_info 0
		.amdhsa_system_vgpr_workitem_id 2
		.amdhsa_next_free_vgpr 32
		.amdhsa_next_free_sgpr 24
		.amdhsa_accum_offset 32
		.amdhsa_reserve_vcc 1
		.amdhsa_reserve_flat_scratch 0
		.amdhsa_float_round_mode_32 0
		.amdhsa_float_round_mode_16_64 0
		.amdhsa_float_denorm_mode_32 3
		.amdhsa_float_denorm_mode_16_64 3
		.amdhsa_dx10_clamp 1
		.amdhsa_ieee_mode 1
		.amdhsa_fp16_overflow 0
		.amdhsa_tg_split 0
		.amdhsa_exception_fp_ieee_invalid_op 0
		.amdhsa_exception_fp_denorm_src 0
		.amdhsa_exception_fp_ieee_div_zero 0
		.amdhsa_exception_fp_ieee_overflow 0
		.amdhsa_exception_fp_ieee_underflow 0
		.amdhsa_exception_fp_ieee_inexact 0
		.amdhsa_exception_int_div_zero 0
	.end_amdhsa_kernel
	.section	.text._ZN9rocsparseL29csrmvn_lrb_medium_rows_kernelILj256Elid21rocsparse_complex_numIdES2_S2_EEvbT0_PT1_S5_jNS_24const_host_device_scalarIT5_EEPKS3_PKS4_PKT2_PKT3_S8_PT4_21rocsparse_index_base_b,"axG",@progbits,_ZN9rocsparseL29csrmvn_lrb_medium_rows_kernelILj256Elid21rocsparse_complex_numIdES2_S2_EEvbT0_PT1_S5_jNS_24const_host_device_scalarIT5_EEPKS3_PKS4_PKT2_PKT3_S8_PT4_21rocsparse_index_base_b,comdat
.Lfunc_end198:
	.size	_ZN9rocsparseL29csrmvn_lrb_medium_rows_kernelILj256Elid21rocsparse_complex_numIdES2_S2_EEvbT0_PT1_S5_jNS_24const_host_device_scalarIT5_EEPKS3_PKS4_PKT2_PKT3_S8_PT4_21rocsparse_index_base_b, .Lfunc_end198-_ZN9rocsparseL29csrmvn_lrb_medium_rows_kernelILj256Elid21rocsparse_complex_numIdES2_S2_EEvbT0_PT1_S5_jNS_24const_host_device_scalarIT5_EEPKS3_PKS4_PKT2_PKT3_S8_PT4_21rocsparse_index_base_b
                                        ; -- End function
	.section	.AMDGPU.csdata,"",@progbits
; Kernel info:
; codeLenInByte = 1476
; NumSgprs: 28
; NumVgprs: 32
; NumAgprs: 0
; TotalNumVgprs: 32
; ScratchSize: 0
; MemoryBound: 0
; FloatMode: 240
; IeeeMode: 1
; LDSByteSize: 8192 bytes/workgroup (compile time only)
; SGPRBlocks: 3
; VGPRBlocks: 3
; NumSGPRsForWavesPerEU: 28
; NumVGPRsForWavesPerEU: 32
; AccumOffset: 32
; Occupancy: 8
; WaveLimiterHint : 1
; COMPUTE_PGM_RSRC2:SCRATCH_EN: 0
; COMPUTE_PGM_RSRC2:USER_SGPR: 8
; COMPUTE_PGM_RSRC2:TRAP_HANDLER: 0
; COMPUTE_PGM_RSRC2:TGID_X_EN: 1
; COMPUTE_PGM_RSRC2:TGID_Y_EN: 0
; COMPUTE_PGM_RSRC2:TGID_Z_EN: 0
; COMPUTE_PGM_RSRC2:TIDIG_COMP_CNT: 2
; COMPUTE_PGM_RSRC3_GFX90A:ACCUM_OFFSET: 7
; COMPUTE_PGM_RSRC3_GFX90A:TG_SPLIT: 0
	.section	.text._ZN9rocsparseL27csrmvn_lrb_long_rows_kernelIlid21rocsparse_complex_numIdES2_S2_EEvbT_PjPT0_S6_jNS_24const_host_device_scalarIT4_EEPKS3_PKS5_PKT1_PKT2_S9_PT3_21rocsparse_index_base_b,"axG",@progbits,_ZN9rocsparseL27csrmvn_lrb_long_rows_kernelIlid21rocsparse_complex_numIdES2_S2_EEvbT_PjPT0_S6_jNS_24const_host_device_scalarIT4_EEPKS3_PKS5_PKT1_PKT2_S9_PT3_21rocsparse_index_base_b,comdat
	.globl	_ZN9rocsparseL27csrmvn_lrb_long_rows_kernelIlid21rocsparse_complex_numIdES2_S2_EEvbT_PjPT0_S6_jNS_24const_host_device_scalarIT4_EEPKS3_PKS5_PKT1_PKT2_S9_PT3_21rocsparse_index_base_b ; -- Begin function _ZN9rocsparseL27csrmvn_lrb_long_rows_kernelIlid21rocsparse_complex_numIdES2_S2_EEvbT_PjPT0_S6_jNS_24const_host_device_scalarIT4_EEPKS3_PKS5_PKT1_PKT2_S9_PT3_21rocsparse_index_base_b
	.p2align	8
	.type	_ZN9rocsparseL27csrmvn_lrb_long_rows_kernelIlid21rocsparse_complex_numIdES2_S2_EEvbT_PjPT0_S6_jNS_24const_host_device_scalarIT4_EEPKS3_PKS5_PKT1_PKT2_S9_PT3_21rocsparse_index_base_b,@function
_ZN9rocsparseL27csrmvn_lrb_long_rows_kernelIlid21rocsparse_complex_numIdES2_S2_EEvbT_PjPT0_S6_jNS_24const_host_device_scalarIT4_EEPKS3_PKS5_PKT1_PKT2_S9_PT3_21rocsparse_index_base_b: ; @_ZN9rocsparseL27csrmvn_lrb_long_rows_kernelIlid21rocsparse_complex_numIdES2_S2_EEvbT_PjPT0_S6_jNS_24const_host_device_scalarIT4_EEPKS3_PKS5_PKT1_PKT2_S9_PT3_21rocsparse_index_base_b
; %bb.0:
	s_load_dwordx2 s[20:21], s[6:7], 0x78
	s_load_dwordx4 s[12:15], s[6:7], 0x30
	s_load_dwordx2 s[10:11], s[4:5], 0x4
	s_load_dwordx4 s[16:19], s[6:7], 0x60
	s_mov_b64 s[2:3], src_shared_base
	v_and_b32_e32 v18, 0x3ff, v0
	s_waitcnt lgkmcnt(0)
	s_bitcmp1_b32 s21, 0
	s_cselect_b64 s[0:1], -1, 0
	s_and_b64 vcc, s[0:1], exec
	s_cselect_b32 s2, s3, s13
	s_lshr_b32 s4, s10, 16
	s_mul_i32 s4, s4, s11
	v_mul_lo_u32 v1, s4, v18
	v_bfe_u32 v2, v0, 10, 10
	v_mad_u32_u24 v1, v2, s11, v1
	v_bfe_u32 v0, v0, 20, 10
	v_add_lshl_u32 v6, v1, v0, 3
	v_mov_b32_e32 v4, s12
	v_add_u32_e32 v5, 0x1800, v6
	v_pk_mov_b32 v[0:1], s[12:13], s[12:13] op_sel:[0,1]
	v_pk_mov_b32 v[2:3], s[16:17], s[16:17] op_sel:[0,1]
	ds_write2st64_b64 v6, v[2:3], v[0:1] offset0:8 offset1:12
	v_cndmask_b32_e64 v0, v4, v5, s[0:1]
	v_mov_b32_e32 v1, s2
	flat_load_dwordx2 v[4:5], v[0:1]
	s_xor_b64 s[4:5], s[0:1], -1
	v_add_u32_e32 v0, 0x1000, v6
	v_pk_mov_b32 v[6:7], s[14:15], s[14:15] op_sel:[0,1]
	s_cbranch_vccnz .LBB199_2
; %bb.1:
	v_pk_mov_b32 v[2:3], s[12:13], s[12:13] op_sel:[0,1]
	flat_load_dwordx2 v[6:7], v[2:3] offset:8
.LBB199_2:
	s_and_b64 s[10:11], s[0:1], exec
	s_cselect_b32 s2, s3, s17
	v_mov_b32_e32 v1, s16
	v_cndmask_b32_e64 v0, v1, v0, s[0:1]
	v_mov_b32_e32 v1, s2
	flat_load_dwordx2 v[10:11], v[0:1]
	s_andn2_b64 vcc, exec, s[4:5]
	v_pk_mov_b32 v[8:9], s[18:19], s[18:19] op_sel:[0,1]
	s_cbranch_vccnz .LBB199_4
; %bb.3:
	v_pk_mov_b32 v[0:1], s[16:17], s[16:17] op_sel:[0,1]
	flat_load_dwordx2 v[8:9], v[0:1] offset:8
.LBB199_4:
	s_waitcnt vmcnt(0) lgkmcnt(0)
	v_cmp_eq_f64_e32 vcc, 0, v[4:5]
	v_cmp_eq_f64_e64 s[0:1], 0, v[6:7]
	s_and_b64 s[4:5], vcc, s[0:1]
	s_mov_b64 s[0:1], -1
	s_and_saveexec_b64 s[2:3], s[4:5]
; %bb.5:
	v_cmp_neq_f64_e32 vcc, 1.0, v[10:11]
	v_cmp_neq_f64_e64 s[0:1], 0, v[8:9]
	s_or_b64 s[0:1], vcc, s[0:1]
	s_orn2_b64 s[0:1], s[0:1], exec
; %bb.6:
	s_or_b64 exec, exec, s[2:3]
	s_and_saveexec_b64 s[2:3], s[0:1]
	s_cbranch_execz .LBB199_44
; %bb.7:
	s_load_dword s22, s[6:7], 0x28
	s_load_dwordx2 s[0:1], s[6:7], 0x20
	s_mov_b32 s23, 0
	s_waitcnt lgkmcnt(0)
	s_lshl_b64 s[2:3], s[22:23], 2
	s_add_u32 s0, s0, s2
	s_addc_u32 s1, s1, s3
	s_lshl_b32 s2, -1, s22
	s_not_b32 s2, s2
	s_mul_hi_u32 s2, s2, 0x2aaaaaab
	s_lshr_b32 s2, s2, 7
	s_add_i32 s3, s2, 1
	v_cvt_f32_u32_e32 v0, s3
	s_load_dwordx4 s[12:15], s[6:7], 0x10
	s_load_dword s4, s[0:1], 0x0
	s_not_b32 s0, s2
	v_rcp_iflag_f32_e32 v0, v0
	v_mul_f32_e32 v0, 0x4f7ffffe, v0
	v_cvt_u32_f32_e32 v0, v0
	v_readfirstlane_b32 s1, v0
	s_mul_i32 s0, s0, s1
	s_mul_hi_u32 s0, s1, s0
	s_add_i32 s1, s1, s0
	s_mul_hi_u32 s0, s8, s1
	s_mul_i32 s1, s0, s3
	s_sub_i32 s1, s8, s1
	s_add_i32 s2, s0, 1
	s_sub_i32 s5, s1, s3
	s_cmp_ge_u32 s1, s3
	s_cselect_b32 s0, s2, s0
	s_cselect_b32 s1, s5, s1
	s_add_i32 s2, s0, 1
	s_cmp_ge_u32 s1, s3
	s_cselect_b32 s0, s2, s0
	s_mul_i32 s18, s0, s3
	s_waitcnt lgkmcnt(0)
	s_add_i32 s0, s0, s4
	s_ashr_i32 s1, s0, 31
	s_sub_i32 s28, s8, s18
	s_lshl_b64 s[0:1], s[0:1], 2
	s_add_u32 s0, s14, s0
	s_addc_u32 s1, s15, s1
	s_load_dword s14, s[0:1], 0x0
	s_load_dwordx2 s[2:3], s[6:7], 0x40
	s_load_dwordx2 s[4:5], s[6:7], 0x70
	v_or_b32_e32 v0, s28, v18
	v_cmp_eq_u32_e32 vcc, 0, v0
	s_waitcnt lgkmcnt(0)
	s_ashr_i32 s15, s14, 31
	s_lshl_b64 s[0:1], s[14:15], 3
	s_add_u32 s0, s2, s0
	s_addc_u32 s1, s3, s1
	s_ashr_i32 s9, s8, 31
	s_lshl_b64 s[8:9], s[8:9], 2
	s_add_u32 s16, s12, s8
	s_addc_u32 s17, s13, s9
	s_load_dwordx4 s[0:3], s[0:1], 0x0
	v_pk_mov_b32 v[0:1], 0, 0
	s_load_dword s21, s[16:17], 0x0
	v_pk_mov_b32 v[2:3], v[0:1], v[0:1] op_sel:[0,1]
	s_and_saveexec_b64 s[24:25], vcc
	s_cbranch_execz .LBB199_11
; %bb.8:
	s_lshl_b64 s[8:9], s[14:15], 4
	s_add_u32 s8, s4, s8
	s_addc_u32 s9, s5, s9
	s_load_dwordx4 s[8:11], s[8:9], 0x0
	s_mov_b64 s[26:27], exec
	v_mbcnt_lo_u32_b32 v12, s26, 0
	v_add_f64 v[10:11], v[10:11], -1.0
	v_mbcnt_hi_u32_b32 v12, s27, v12
	s_waitcnt lgkmcnt(0)
	v_mul_f64 v[0:1], s[10:11], -v[8:9]
	v_mul_f64 v[2:3], v[10:11], s[10:11]
	v_cmp_eq_u32_e32 vcc, 0, v12
	s_waitcnt vmcnt(0) expcnt(0) lgkmcnt(0)
	s_and_saveexec_b64 s[10:11], vcc
	s_cbranch_execz .LBB199_10
; %bb.9:
	s_ashr_i32 s19, s18, 31
	s_lshl_b64 s[30:31], s[18:19], 2
	s_add_u32 s30, s12, s30
	s_addc_u32 s31, s13, s31
	s_bcnt1_i32_b64 s19, s[26:27]
	s_and_b32 s19, s19, 1
	v_mov_b32_e32 v12, 0
	v_mov_b32_e32 v13, s19
	global_atomic_xor v12, v13, s[30:31]
.LBB199_10:
	s_or_b64 exec, exec, s[10:11]
	v_fmac_f64_e32 v[0:1], s[8:9], v[10:11]
	v_fmac_f64_e32 v[2:3], s[8:9], v[8:9]
.LBB199_11:
	s_or_b64 exec, exec, s[24:25]
	s_mul_i32 s22, s28, 3
	s_lshl_b64 s[8:9], s[22:23], 8
	s_waitcnt lgkmcnt(0)
	s_sub_u32 s0, s0, s20
	s_subb_u32 s1, s1, 0
	s_add_u32 s10, s0, s8
	s_addc_u32 s11, s1, s9
	s_sub_u32 s0, s2, s20
	s_subb_u32 s1, s3, 0
	s_add_u32 s2, s10, 0x300
	s_addc_u32 s3, s11, 0
	v_pk_mov_b32 v[8:9], s[0:1], s[0:1] op_sel:[0,1]
	v_cmp_lt_i64_e32 vcc, s[2:3], v[8:9]
	s_and_b64 s[8:9], vcc, exec
	v_mov_b32_e32 v9, s11
	v_add_co_u32_e32 v8, vcc, s10, v18
	s_cselect_b32 s3, s3, s1
	s_cselect_b32 s2, s2, s0
	v_addc_co_u32_e32 v9, vcc, 0, v9, vcc
	v_cmp_gt_i64_e32 vcc, s[2:3], v[8:9]
	s_and_saveexec_b64 s[8:9], vcc
	s_cbranch_execz .LBB199_15
; %bb.12:
	s_load_dwordx2 s[10:11], s[6:7], 0x58
	s_load_dwordx4 s[24:27], s[6:7], 0x48
	v_lshlrev_b64 v[14:15], 3, v[8:9]
	s_mov_b32 s0, 0
	s_brev_b32 s1, 1
	v_mul_f64 v[10:11], v[6:7], s[0:1]
	s_waitcnt lgkmcnt(0)
	v_mov_b32_e32 v16, s27
	v_add_co_u32_e32 v14, vcc, s26, v14
	v_addc_co_u32_e32 v15, vcc, v16, v15, vcc
	v_lshlrev_b64 v[16:17], 2, v[8:9]
	v_mov_b32_e32 v19, s25
	v_add_co_u32_e32 v16, vcc, s24, v16
	s_mov_b64 s[6:7], 0
	v_mul_f64 v[12:13], v[4:5], 0
	v_addc_co_u32_e32 v17, vcc, v19, v17, vcc
	v_mov_b32_e32 v19, s11
	s_movk_i32 s11, 0x100
.LBB199_13:                             ; =>This Inner Loop Header: Depth=1
	global_load_dword v20, v[16:17], off
	global_load_dwordx2 v[24:25], v[14:15], off
	s_waitcnt vmcnt(1)
	v_subrev_u32_e32 v20, s20, v20
	v_ashrrev_i32_e32 v21, 31, v20
	v_lshlrev_b64 v[20:21], 4, v[20:21]
	v_add_co_u32_e32 v20, vcc, s10, v20
	v_addc_co_u32_e32 v21, vcc, v19, v21, vcc
	global_load_dwordx4 v[20:23], v[20:21], off
	v_add_co_u32_e32 v8, vcc, s11, v8
	v_addc_co_u32_e32 v9, vcc, 0, v9, vcc
	v_add_co_u32_e32 v14, vcc, 0x800, v14
	v_addc_co_u32_e32 v15, vcc, 0, v15, vcc
	s_waitcnt vmcnt(1)
	v_fma_f64 v[26:27], v[4:5], v[24:25], v[10:11]
	v_fma_f64 v[24:25], v[6:7], v[24:25], v[12:13]
	v_add_co_u32_e32 v16, vcc, 0x400, v16
	v_cmp_le_i64_e64 s[0:1], s[2:3], v[8:9]
	v_addc_co_u32_e32 v17, vcc, 0, v17, vcc
	s_or_b64 s[6:7], s[0:1], s[6:7]
	s_waitcnt vmcnt(0)
	v_fmac_f64_e32 v[0:1], v[26:27], v[20:21]
	v_fmac_f64_e32 v[2:3], v[24:25], v[20:21]
	v_fma_f64 v[0:1], -v[24:25], v[22:23], v[0:1]
	v_fmac_f64_e32 v[2:3], v[26:27], v[22:23]
	s_andn2_b64 exec, exec, s[6:7]
	s_cbranch_execnz .LBB199_13
; %bb.14:
	s_or_b64 exec, exec, s[6:7]
.LBB199_15:
	s_or_b64 exec, exec, s[8:9]
	s_movk_i32 s0, 0x80
	v_lshlrev_b32_e32 v4, 4, v18
	v_cmp_gt_u32_e32 vcc, s0, v18
	ds_write_b128 v4, v[0:3]
	s_waitcnt lgkmcnt(0)
	s_barrier
	s_and_saveexec_b64 s[0:1], vcc
	s_cbranch_execz .LBB199_17
; %bb.16:
	ds_read_b128 v[0:3], v4 offset:2048
	ds_read_b128 v[6:9], v4
	s_waitcnt lgkmcnt(0)
	v_add_f64 v[0:1], v[0:1], v[6:7]
	v_add_f64 v[2:3], v[2:3], v[8:9]
	ds_write_b128 v4, v[0:3]
.LBB199_17:
	s_or_b64 exec, exec, s[0:1]
	v_cmp_gt_u32_e32 vcc, 64, v18
	s_waitcnt lgkmcnt(0)
	s_barrier
	s_and_saveexec_b64 s[0:1], vcc
	s_cbranch_execz .LBB199_19
; %bb.18:
	ds_read_b128 v[0:3], v4 offset:1024
	ds_read_b128 v[6:9], v4
	s_waitcnt lgkmcnt(0)
	v_add_f64 v[0:1], v[0:1], v[6:7]
	v_add_f64 v[2:3], v[2:3], v[8:9]
	ds_write_b128 v4, v[0:3]
.LBB199_19:
	s_or_b64 exec, exec, s[0:1]
	v_cmp_gt_u32_e32 vcc, 32, v18
	;; [unrolled: 14-line block ×6, first 2 shown]
	s_waitcnt lgkmcnt(0)
	s_barrier
	s_and_saveexec_b64 s[0:1], vcc
	s_cbranch_execz .LBB199_29
; %bb.28:
	ds_read_b128 v[0:3], v4
	ds_read_b128 v[6:9], v4 offset:32
	s_waitcnt lgkmcnt(0)
	v_add_f64 v[0:1], v[6:7], v[0:1]
	v_add_f64 v[2:3], v[8:9], v[2:3]
	ds_write_b128 v4, v[0:3]
.LBB199_29:
	s_or_b64 exec, exec, s[0:1]
	v_cmp_eq_u32_e32 vcc, 0, v18
	s_waitcnt lgkmcnt(0)
	s_barrier
	s_and_saveexec_b64 s[0:1], vcc
	s_cbranch_execz .LBB199_31
; %bb.30:
	v_mov_b32_e32 v8, 0
	ds_read_b128 v[0:3], v8
	ds_read_b128 v[4:7], v8 offset:16
	s_waitcnt lgkmcnt(0)
	v_add_f64 v[0:1], v[4:5], v[0:1]
	v_add_f64 v[2:3], v[6:7], v[2:3]
	ds_write_b128 v8, v[0:3]
.LBB199_31:
	s_or_b64 exec, exec, s[0:1]
	s_waitcnt lgkmcnt(0)
	s_barrier
	s_and_b64 exec, exec, vcc
	s_cbranch_execz .LBB199_44
; %bb.32:
	s_cmp_eq_u32 s28, 0
	s_cbranch_scc1 .LBB199_38
; %bb.33:
	s_ashr_i32 s19, s18, 31
	s_lshl_b64 s[0:1], s[18:19], 2
	s_add_u32 s0, s12, s0
	s_addc_u32 s1, s13, s1
	v_mov_b32_e32 v0, 0
	s_branch .LBB199_35
.LBB199_34:                             ;   in Loop: Header=BB199_35 Depth=1
	s_or_b64 exec, exec, s[2:3]
	s_waitcnt vmcnt(0)
	v_readfirstlane_b32 s2, v1
	s_cmp_eq_u32 s2, s21
	s_cbranch_scc0 .LBB199_37
.LBB199_35:                             ; =>This Inner Loop Header: Depth=1
	v_mbcnt_lo_u32_b32 v1, exec_lo, 0
	v_mbcnt_hi_u32_b32 v1, exec_hi, v1
	v_cmp_eq_u32_e32 vcc, 0, v1
                                        ; implicit-def: $vgpr1
	s_and_saveexec_b64 s[2:3], vcc
	s_cbranch_execz .LBB199_34
; %bb.36:                               ;   in Loop: Header=BB199_35 Depth=1
	global_load_dword v1, v0, s[0:1] glc
	s_branch .LBB199_34
.LBB199_37:
	v_mov_b32_e32 v0, 0
	global_load_dword v1, v0, s[16:17]
	s_waitcnt vmcnt(0)
	v_xor_b32_e32 v1, 1, v1
	global_store_dword v0, v1, s[16:17]
.LBB199_38:
	v_mov_b32_e32 v8, 0
	ds_read_b128 v[0:3], v8
	s_mov_b64 s[6:7], exec
	s_lshl_b64 s[0:1], s[14:15], 4
	v_mbcnt_lo_u32_b32 v4, s6, 0
	s_add_u32 s0, s4, s0
	v_mbcnt_hi_u32_b32 v4, s7, v4
	s_addc_u32 s1, s5, s1
	v_cmp_eq_u32_e32 vcc, 0, v4
	s_and_saveexec_b64 s[2:3], vcc
	s_cbranch_execz .LBB199_41
; %bb.39:
	global_load_dwordx2 v[6:7], v8, s[0:1]
	s_bcnt1_i32_b64 s4, s[6:7]
	v_cvt_f64_u32_e32 v[4:5], s4
	s_waitcnt lgkmcnt(0)
	v_mul_f64 v[0:1], v[0:1], v[4:5]
	s_mov_b64 s[4:5], 0
.LBB199_40:                             ; =>This Inner Loop Header: Depth=1
	s_waitcnt vmcnt(0)
	v_add_f64 v[4:5], v[6:7], v[0:1]
	global_atomic_cmpswap_x2 v[4:5], v8, v[4:7], s[0:1] glc
	s_waitcnt vmcnt(0)
	v_cmp_eq_u64_e32 vcc, v[4:5], v[6:7]
	s_or_b64 s[4:5], vcc, s[4:5]
	v_pk_mov_b32 v[6:7], v[4:5], v[4:5] op_sel:[0,1]
	s_andn2_b64 exec, exec, s[4:5]
	s_cbranch_execnz .LBB199_40
.LBB199_41:
	s_or_b64 exec, exec, s[2:3]
	s_mov_b64 s[2:3], exec
	s_waitcnt lgkmcnt(0)
	v_mbcnt_lo_u32_b32 v0, s2, 0
	v_mbcnt_hi_u32_b32 v0, s3, v0
	v_cmp_eq_u32_e32 vcc, 0, v0
	s_and_b64 s[4:5], exec, vcc
	s_mov_b64 exec, s[4:5]
	s_cbranch_execz .LBB199_44
; %bb.42:
	v_mov_b32_e32 v6, 0
	global_load_dwordx2 v[4:5], v6, s[0:1] offset:8
	s_bcnt1_i32_b64 s2, s[2:3]
	v_cvt_f64_u32_e32 v[0:1], s2
	v_mul_f64 v[0:1], v[2:3], v[0:1]
	s_mov_b64 s[2:3], 0
.LBB199_43:                             ; =>This Inner Loop Header: Depth=1
	s_waitcnt vmcnt(0)
	v_add_f64 v[2:3], v[4:5], v[0:1]
	global_atomic_cmpswap_x2 v[2:3], v6, v[2:5], s[0:1] offset:8 glc
	s_waitcnt vmcnt(0)
	v_cmp_eq_u64_e32 vcc, v[2:3], v[4:5]
	s_or_b64 s[2:3], vcc, s[2:3]
	v_pk_mov_b32 v[4:5], v[2:3], v[2:3] op_sel:[0,1]
	s_andn2_b64 exec, exec, s[2:3]
	s_cbranch_execnz .LBB199_43
.LBB199_44:
	s_endpgm
	.section	.rodata,"a",@progbits
	.p2align	6, 0x0
	.amdhsa_kernel _ZN9rocsparseL27csrmvn_lrb_long_rows_kernelIlid21rocsparse_complex_numIdES2_S2_EEvbT_PjPT0_S6_jNS_24const_host_device_scalarIT4_EEPKS3_PKS5_PKT1_PKT2_S9_PT3_21rocsparse_index_base_b
		.amdhsa_group_segment_fixed_size 8192
		.amdhsa_private_segment_fixed_size 0
		.amdhsa_kernarg_size 128
		.amdhsa_user_sgpr_count 8
		.amdhsa_user_sgpr_private_segment_buffer 1
		.amdhsa_user_sgpr_dispatch_ptr 1
		.amdhsa_user_sgpr_queue_ptr 0
		.amdhsa_user_sgpr_kernarg_segment_ptr 1
		.amdhsa_user_sgpr_dispatch_id 0
		.amdhsa_user_sgpr_flat_scratch_init 0
		.amdhsa_user_sgpr_kernarg_preload_length 0
		.amdhsa_user_sgpr_kernarg_preload_offset 0
		.amdhsa_user_sgpr_private_segment_size 0
		.amdhsa_uses_dynamic_stack 0
		.amdhsa_system_sgpr_private_segment_wavefront_offset 0
		.amdhsa_system_sgpr_workgroup_id_x 1
		.amdhsa_system_sgpr_workgroup_id_y 0
		.amdhsa_system_sgpr_workgroup_id_z 0
		.amdhsa_system_sgpr_workgroup_info 0
		.amdhsa_system_vgpr_workitem_id 2
		.amdhsa_next_free_vgpr 28
		.amdhsa_next_free_sgpr 32
		.amdhsa_accum_offset 28
		.amdhsa_reserve_vcc 1
		.amdhsa_reserve_flat_scratch 0
		.amdhsa_float_round_mode_32 0
		.amdhsa_float_round_mode_16_64 0
		.amdhsa_float_denorm_mode_32 3
		.amdhsa_float_denorm_mode_16_64 3
		.amdhsa_dx10_clamp 1
		.amdhsa_ieee_mode 1
		.amdhsa_fp16_overflow 0
		.amdhsa_tg_split 0
		.amdhsa_exception_fp_ieee_invalid_op 0
		.amdhsa_exception_fp_denorm_src 0
		.amdhsa_exception_fp_ieee_div_zero 0
		.amdhsa_exception_fp_ieee_overflow 0
		.amdhsa_exception_fp_ieee_underflow 0
		.amdhsa_exception_fp_ieee_inexact 0
		.amdhsa_exception_int_div_zero 0
	.end_amdhsa_kernel
	.section	.text._ZN9rocsparseL27csrmvn_lrb_long_rows_kernelIlid21rocsparse_complex_numIdES2_S2_EEvbT_PjPT0_S6_jNS_24const_host_device_scalarIT4_EEPKS3_PKS5_PKT1_PKT2_S9_PT3_21rocsparse_index_base_b,"axG",@progbits,_ZN9rocsparseL27csrmvn_lrb_long_rows_kernelIlid21rocsparse_complex_numIdES2_S2_EEvbT_PjPT0_S6_jNS_24const_host_device_scalarIT4_EEPKS3_PKS5_PKT1_PKT2_S9_PT3_21rocsparse_index_base_b,comdat
.Lfunc_end199:
	.size	_ZN9rocsparseL27csrmvn_lrb_long_rows_kernelIlid21rocsparse_complex_numIdES2_S2_EEvbT_PjPT0_S6_jNS_24const_host_device_scalarIT4_EEPKS3_PKS5_PKT1_PKT2_S9_PT3_21rocsparse_index_base_b, .Lfunc_end199-_ZN9rocsparseL27csrmvn_lrb_long_rows_kernelIlid21rocsparse_complex_numIdES2_S2_EEvbT_PjPT0_S6_jNS_24const_host_device_scalarIT4_EEPKS3_PKS5_PKT1_PKT2_S9_PT3_21rocsparse_index_base_b
                                        ; -- End function
	.section	.AMDGPU.csdata,"",@progbits
; Kernel info:
; codeLenInByte = 2084
; NumSgprs: 36
; NumVgprs: 28
; NumAgprs: 0
; TotalNumVgprs: 28
; ScratchSize: 0
; MemoryBound: 0
; FloatMode: 240
; IeeeMode: 1
; LDSByteSize: 8192 bytes/workgroup (compile time only)
; SGPRBlocks: 4
; VGPRBlocks: 3
; NumSGPRsForWavesPerEU: 36
; NumVGPRsForWavesPerEU: 28
; AccumOffset: 28
; Occupancy: 8
; WaveLimiterHint : 1
; COMPUTE_PGM_RSRC2:SCRATCH_EN: 0
; COMPUTE_PGM_RSRC2:USER_SGPR: 8
; COMPUTE_PGM_RSRC2:TRAP_HANDLER: 0
; COMPUTE_PGM_RSRC2:TGID_X_EN: 1
; COMPUTE_PGM_RSRC2:TGID_Y_EN: 0
; COMPUTE_PGM_RSRC2:TGID_Z_EN: 0
; COMPUTE_PGM_RSRC2:TIDIG_COMP_CNT: 2
; COMPUTE_PGM_RSRC3_GFX90A:ACCUM_OFFSET: 6
; COMPUTE_PGM_RSRC3_GFX90A:TG_SPLIT: 0
	.section	.text._ZN9rocsparseL28csrmvn_lrb_short_rows_kernelIlld21rocsparse_complex_numIdES2_S2_EEvbT_PT0_S5_jNS_24const_host_device_scalarIT4_EEPKS3_PKS4_PKT1_PKT2_S8_PT3_21rocsparse_index_base_b,"axG",@progbits,_ZN9rocsparseL28csrmvn_lrb_short_rows_kernelIlld21rocsparse_complex_numIdES2_S2_EEvbT_PT0_S5_jNS_24const_host_device_scalarIT4_EEPKS3_PKS4_PKT1_PKT2_S8_PT3_21rocsparse_index_base_b,comdat
	.globl	_ZN9rocsparseL28csrmvn_lrb_short_rows_kernelIlld21rocsparse_complex_numIdES2_S2_EEvbT_PT0_S5_jNS_24const_host_device_scalarIT4_EEPKS3_PKS4_PKT1_PKT2_S8_PT3_21rocsparse_index_base_b ; -- Begin function _ZN9rocsparseL28csrmvn_lrb_short_rows_kernelIlld21rocsparse_complex_numIdES2_S2_EEvbT_PT0_S5_jNS_24const_host_device_scalarIT4_EEPKS3_PKS4_PKT1_PKT2_S8_PT3_21rocsparse_index_base_b
	.p2align	8
	.type	_ZN9rocsparseL28csrmvn_lrb_short_rows_kernelIlld21rocsparse_complex_numIdES2_S2_EEvbT_PT0_S5_jNS_24const_host_device_scalarIT4_EEPKS3_PKS4_PKT1_PKT2_S8_PT3_21rocsparse_index_base_b,@function
_ZN9rocsparseL28csrmvn_lrb_short_rows_kernelIlld21rocsparse_complex_numIdES2_S2_EEvbT_PT0_S5_jNS_24const_host_device_scalarIT4_EEPKS3_PKS4_PKT1_PKT2_S8_PT3_21rocsparse_index_base_b: ; @_ZN9rocsparseL28csrmvn_lrb_short_rows_kernelIlld21rocsparse_complex_numIdES2_S2_EEvbT_PT0_S5_jNS_24const_host_device_scalarIT4_EEPKS3_PKS4_PKT1_PKT2_S8_PT3_21rocsparse_index_base_b
; %bb.0:
	s_add_u32 flat_scratch_lo, s6, s9
	s_load_dwordx2 s[20:21], s[4:5], 0x70
	s_load_dwordx4 s[16:19], s[4:5], 0x28
	s_addc_u32 flat_scratch_hi, s7, 0
	s_add_u32 s0, s0, s9
	s_load_dwordx4 s[12:15], s[4:5], 0x58
	s_addc_u32 s1, s1, 0
	s_waitcnt lgkmcnt(0)
	s_bitcmp1_b32 s21, 0
	v_mov_b32_e32 v1, 0
	v_mov_b32_e32 v3, s16
	s_cselect_b64 s[6:7], -1, 0
	v_cndmask_b32_e64 v2, v3, v1, s[6:7]
	v_mov_b32_e32 v1, s17
	s_mov_b64 s[10:11], src_private_base
	s_and_b64 vcc, s[6:7], exec
	buffer_store_dword v1, off, s[0:3], 0 offset:4
	buffer_store_dword v3, off, s[0:3], 0
	v_mov_b32_e32 v1, s13
	s_cselect_b32 s9, s11, s17
	buffer_store_dword v1, off, s[0:3], 0 offset:12
	v_mov_b32_e32 v1, s12
	buffer_store_dword v1, off, s[0:3], 0 offset:8
	v_mov_b32_e32 v3, s9
	flat_load_dwordx2 v[10:11], v[2:3]
	s_xor_b64 s[22:23], s[6:7], -1
	v_pk_mov_b32 v[12:13], s[18:19], s[18:19] op_sel:[0,1]
	s_cbranch_vccnz .LBB200_2
; %bb.1:
	v_pk_mov_b32 v[2:3], s[16:17], s[16:17] op_sel:[0,1]
	flat_load_dwordx2 v[12:13], v[2:3] offset:8
.LBB200_2:
	s_and_b64 s[16:17], s[6:7], exec
	s_cselect_b32 s9, s11, s13
	v_mov_b32_e32 v1, 8
	v_mov_b32_e32 v2, s12
	v_cndmask_b32_e64 v2, v2, v1, s[6:7]
	v_mov_b32_e32 v3, s9
	flat_load_dwordx2 v[6:7], v[2:3]
	s_andn2_b64 vcc, exec, s[22:23]
	v_pk_mov_b32 v[8:9], s[14:15], s[14:15] op_sel:[0,1]
	s_cbranch_vccnz .LBB200_4
; %bb.3:
	v_pk_mov_b32 v[2:3], s[12:13], s[12:13] op_sel:[0,1]
	flat_load_dwordx2 v[8:9], v[2:3] offset:8
.LBB200_4:
	s_waitcnt vmcnt(0) lgkmcnt(0)
	v_cmp_eq_f64_e32 vcc, 0, v[10:11]
	v_cmp_eq_f64_e64 s[6:7], 0, v[12:13]
	s_and_b64 s[12:13], vcc, s[6:7]
	s_mov_b64 s[6:7], -1
	s_and_saveexec_b64 s[10:11], s[12:13]
; %bb.5:
	v_cmp_neq_f64_e32 vcc, 1.0, v[6:7]
	v_cmp_neq_f64_e64 s[6:7], 0, v[8:9]
	s_or_b64 s[6:7], vcc, s[6:7]
	s_orn2_b64 s[6:7], s[6:7], exec
; %bb.6:
	s_or_b64 exec, exec, s[10:11]
	s_and_saveexec_b64 s[10:11], s[6:7]
	s_cbranch_execz .LBB200_20
; %bb.7:
	s_load_dword s6, s[4:5], 0x20
	s_load_dwordx4 s[16:19], s[4:5], 0x10
	s_mov_b32 s21, 0
	s_mov_b32 s7, s21
	;; [unrolled: 1-line block ×3, first 2 shown]
	s_waitcnt lgkmcnt(0)
	s_lshl_b64 s[10:11], s[6:7], 3
	s_add_u32 s10, s18, s10
	s_addc_u32 s11, s19, s11
	s_add_i32 s12, s6, 1
	s_lshl_b64 s[12:13], s[12:13], 3
	s_add_u32 s12, s18, s12
	s_addc_u32 s13, s19, s13
	s_load_dwordx2 s[18:19], s[10:11], 0x0
	s_load_dword s7, s[12:13], 0x0
	s_lshl_b32 s22, s8, 8
	s_add_i32 s8, s22, 0x100
	s_waitcnt lgkmcnt(0)
	s_sub_i32 s7, s7, s18
	s_min_u32 s7, s7, s8
	s_cmp_gt_u32 s6, 23
	s_cbranch_scc1 .LBB200_14
; %bb.8:
	s_load_dwordx8 s[8:15], s[4:5], 0x38
	s_lshl_b32 s23, 0x100, s6
	s_lshl_b64 s[24:25], s[18:19], 3
	s_add_u32 s28, s16, s24
	s_addc_u32 s29, s17, s25
	s_mov_b32 s24, 0
	v_mov_b32_e32 v17, 0
	s_brev_b32 s25, 1
	v_bfe_u32 v14, v0, 0, s6
	v_mov_b32_e32 v15, v17
	v_mul_f64 v[18:19], v[12:13], s[24:25]
	v_mul_f64 v[20:21], v[10:11], 0
	v_lshl_add_u32 v1, v0, 4, 0
	s_mov_b32 s30, s21
	s_branch .LBB200_11
.LBB200_9:                              ;   in Loop: Header=BB200_11 Depth=1
	s_or_b64 exec, exec, s[26:27]
	ds_write2_b64 v1, v[22:23], v[4:5] offset1:1
.LBB200_10:                             ;   in Loop: Header=BB200_11 Depth=1
	s_or_b64 exec, exec, s[24:25]
	s_addk_i32 s30, 0x100
	s_cmp_ge_u32 s30, s23
	v_add_u32_e32 v1, 0x1000, v1
	s_cbranch_scc1 .LBB200_14
.LBB200_11:                             ; =>This Inner Loop Header: Depth=1
	v_add_u32_e32 v2, s30, v0
	v_lshrrev_b32_e32 v2, s6, v2
	v_add_u32_e32 v16, s22, v2
	v_cmp_gt_u32_e32 vcc, s7, v16
	s_and_saveexec_b64 s[24:25], vcc
	s_cbranch_execz .LBB200_10
; %bb.12:                               ;   in Loop: Header=BB200_11 Depth=1
	v_lshlrev_b64 v[2:3], 3, v[16:17]
	v_mov_b32_e32 v4, s29
	v_add_co_u32_e32 v2, vcc, s28, v2
	v_addc_co_u32_e32 v3, vcc, v4, v3, vcc
	global_load_dwordx2 v[2:3], v[2:3], off
	s_waitcnt lgkmcnt(0)
	v_mov_b32_e32 v4, s9
	v_pk_mov_b32 v[22:23], 0, 0
	s_waitcnt vmcnt(0)
	v_lshlrev_b64 v[2:3], 3, v[2:3]
	v_add_co_u32_e32 v2, vcc, s8, v2
	v_addc_co_u32_e32 v3, vcc, v4, v3, vcc
	global_load_dwordx4 v[2:5], v[2:3], off
	s_waitcnt vmcnt(0)
	v_sub_co_u32_e32 v4, vcc, v4, v2
	v_subb_co_u32_e32 v5, vcc, v5, v3, vcc
	v_cmp_gt_i64_e32 vcc, v[4:5], v[14:15]
	v_pk_mov_b32 v[4:5], v[22:23], v[22:23] op_sel:[0,1]
	s_and_saveexec_b64 s[26:27], vcc
	s_cbranch_execz .LBB200_9
; %bb.13:                               ;   in Loop: Header=BB200_11 Depth=1
	v_mov_b32_e32 v16, s21
	v_subrev_co_u32_e32 v2, vcc, s20, v2
	v_subb_co_u32_e32 v3, vcc, v3, v16, vcc
	v_add_co_u32_e32 v2, vcc, v2, v14
	v_addc_co_u32_e32 v3, vcc, 0, v3, vcc
	v_lshlrev_b64 v[2:3], 3, v[2:3]
	v_mov_b32_e32 v5, s11
	v_add_co_u32_e32 v4, vcc, s10, v2
	v_addc_co_u32_e32 v5, vcc, v5, v3, vcc
	global_load_dwordx2 v[4:5], v[4:5], off
	v_mov_b32_e32 v22, s13
	v_add_co_u32_e32 v2, vcc, s12, v2
	v_addc_co_u32_e32 v3, vcc, v22, v3, vcc
	global_load_dwordx2 v[22:23], v[2:3], off
	v_mov_b32_e32 v24, s15
	s_waitcnt vmcnt(1)
	v_subrev_co_u32_e32 v2, vcc, s20, v4
	v_subb_co_u32_e32 v3, vcc, v5, v16, vcc
	v_lshlrev_b64 v[2:3], 4, v[2:3]
	v_add_co_u32_e32 v2, vcc, s14, v2
	v_addc_co_u32_e32 v3, vcc, v24, v3, vcc
	global_load_dwordx4 v[2:5], v[2:3], off
	s_waitcnt vmcnt(1)
	v_fma_f64 v[24:25], v[10:11], v[22:23], v[18:19]
	v_fma_f64 v[26:27], v[12:13], v[22:23], v[20:21]
	s_waitcnt vmcnt(0)
	v_mul_f64 v[22:23], v[4:5], -v[26:27]
	v_mul_f64 v[4:5], v[24:25], v[4:5]
	v_fmac_f64_e32 v[22:23], v[24:25], v[2:3]
	v_fmac_f64_e32 v[4:5], v[26:27], v[2:3]
	s_branch .LBB200_9
.LBB200_14:
	s_sub_i32 s7, s7, s22
	v_cmp_gt_u32_e32 vcc, s7, v0
	s_waitcnt lgkmcnt(0)
	s_barrier
	s_and_b64 exec, exec, vcc
	s_cbranch_execz .LBB200_20
; %bb.15:
	s_lshl_b64 s[8:9], s[18:19], 3
	s_mov_b32 s23, 0
	s_add_u32 s7, s16, s8
	s_addc_u32 s10, s17, s9
	s_lshl_b64 s[8:9], s[22:23], 3
	s_add_u32 s8, s7, s8
	s_addc_u32 s9, s10, s9
	v_lshlrev_b32_e32 v1, 3, v0
	global_load_dwordx2 v[4:5], v1, s[8:9]
	s_load_dwordx2 s[8:9], s[4:5], 0x68
	v_lshlrev_b32_e32 v0, s6, v0
	v_pk_mov_b32 v[2:3], 0, 0
	v_lshl_add_u32 v10, v0, 4, 0
	s_mov_b32 s4, 1
	v_pk_mov_b32 v[0:1], v[2:3], v[2:3] op_sel:[0,1]
.LBB200_16:                             ; =>This Inner Loop Header: Depth=1
	ds_read2_b64 v[12:15], v10 offset1:1
	s_lshr_b32 s5, s4, s6
	s_add_i32 s4, s4, 1
	v_add_u32_e32 v10, 16, v10
	s_cmp_lg_u32 s5, 0
	s_waitcnt lgkmcnt(0)
	v_add_f64 v[0:1], v[0:1], v[12:13]
	v_add_f64 v[2:3], v[2:3], v[14:15]
	s_cbranch_scc0 .LBB200_16
; %bb.17:
	v_cmp_neq_f64_e32 vcc, 0, v[6:7]
	v_cmp_neq_f64_e64 s[4:5], 0, v[8:9]
	s_or_b64 s[6:7], vcc, s[4:5]
	s_waitcnt vmcnt(0)
	v_lshlrev_b64 v[4:5], 4, v[4:5]
	s_and_saveexec_b64 s[4:5], s[6:7]
	s_cbranch_execz .LBB200_19
; %bb.18:
	v_mov_b32_e32 v11, s9
	v_add_co_u32_e32 v10, vcc, s8, v4
	v_addc_co_u32_e32 v11, vcc, v11, v5, vcc
	global_load_dwordx4 v[10:13], v[10:11], off
	s_waitcnt vmcnt(0)
	v_fmac_f64_e32 v[0:1], v[6:7], v[10:11]
	v_fmac_f64_e32 v[2:3], v[8:9], v[10:11]
	v_fma_f64 v[0:1], -v[8:9], v[12:13], v[0:1]
	v_fmac_f64_e32 v[2:3], v[6:7], v[12:13]
.LBB200_19:
	s_or_b64 exec, exec, s[4:5]
	v_mov_b32_e32 v6, s9
	v_add_co_u32_e32 v4, vcc, s8, v4
	v_addc_co_u32_e32 v5, vcc, v6, v5, vcc
	global_store_dwordx4 v[4:5], v[0:3], off
.LBB200_20:
	s_endpgm
	.section	.rodata,"a",@progbits
	.p2align	6, 0x0
	.amdhsa_kernel _ZN9rocsparseL28csrmvn_lrb_short_rows_kernelIlld21rocsparse_complex_numIdES2_S2_EEvbT_PT0_S5_jNS_24const_host_device_scalarIT4_EEPKS3_PKS4_PKT1_PKT2_S8_PT3_21rocsparse_index_base_b
		.amdhsa_group_segment_fixed_size 0
		.amdhsa_private_segment_fixed_size 24
		.amdhsa_kernarg_size 120
		.amdhsa_user_sgpr_count 8
		.amdhsa_user_sgpr_private_segment_buffer 1
		.amdhsa_user_sgpr_dispatch_ptr 0
		.amdhsa_user_sgpr_queue_ptr 0
		.amdhsa_user_sgpr_kernarg_segment_ptr 1
		.amdhsa_user_sgpr_dispatch_id 0
		.amdhsa_user_sgpr_flat_scratch_init 1
		.amdhsa_user_sgpr_kernarg_preload_length 0
		.amdhsa_user_sgpr_kernarg_preload_offset 0
		.amdhsa_user_sgpr_private_segment_size 0
		.amdhsa_uses_dynamic_stack 0
		.amdhsa_system_sgpr_private_segment_wavefront_offset 1
		.amdhsa_system_sgpr_workgroup_id_x 1
		.amdhsa_system_sgpr_workgroup_id_y 0
		.amdhsa_system_sgpr_workgroup_id_z 0
		.amdhsa_system_sgpr_workgroup_info 0
		.amdhsa_system_vgpr_workitem_id 0
		.amdhsa_next_free_vgpr 28
		.amdhsa_next_free_sgpr 31
		.amdhsa_accum_offset 28
		.amdhsa_reserve_vcc 1
		.amdhsa_reserve_flat_scratch 1
		.amdhsa_float_round_mode_32 0
		.amdhsa_float_round_mode_16_64 0
		.amdhsa_float_denorm_mode_32 3
		.amdhsa_float_denorm_mode_16_64 3
		.amdhsa_dx10_clamp 1
		.amdhsa_ieee_mode 1
		.amdhsa_fp16_overflow 0
		.amdhsa_tg_split 0
		.amdhsa_exception_fp_ieee_invalid_op 0
		.amdhsa_exception_fp_denorm_src 0
		.amdhsa_exception_fp_ieee_div_zero 0
		.amdhsa_exception_fp_ieee_overflow 0
		.amdhsa_exception_fp_ieee_underflow 0
		.amdhsa_exception_fp_ieee_inexact 0
		.amdhsa_exception_int_div_zero 0
	.end_amdhsa_kernel
	.section	.text._ZN9rocsparseL28csrmvn_lrb_short_rows_kernelIlld21rocsparse_complex_numIdES2_S2_EEvbT_PT0_S5_jNS_24const_host_device_scalarIT4_EEPKS3_PKS4_PKT1_PKT2_S8_PT3_21rocsparse_index_base_b,"axG",@progbits,_ZN9rocsparseL28csrmvn_lrb_short_rows_kernelIlld21rocsparse_complex_numIdES2_S2_EEvbT_PT0_S5_jNS_24const_host_device_scalarIT4_EEPKS3_PKS4_PKT1_PKT2_S8_PT3_21rocsparse_index_base_b,comdat
.Lfunc_end200:
	.size	_ZN9rocsparseL28csrmvn_lrb_short_rows_kernelIlld21rocsparse_complex_numIdES2_S2_EEvbT_PT0_S5_jNS_24const_host_device_scalarIT4_EEPKS3_PKS4_PKT1_PKT2_S8_PT3_21rocsparse_index_base_b, .Lfunc_end200-_ZN9rocsparseL28csrmvn_lrb_short_rows_kernelIlld21rocsparse_complex_numIdES2_S2_EEvbT_PT0_S5_jNS_24const_host_device_scalarIT4_EEPKS3_PKS4_PKT1_PKT2_S8_PT3_21rocsparse_index_base_b
                                        ; -- End function
	.section	.AMDGPU.csdata,"",@progbits
; Kernel info:
; codeLenInByte = 1072
; NumSgprs: 37
; NumVgprs: 28
; NumAgprs: 0
; TotalNumVgprs: 28
; ScratchSize: 24
; MemoryBound: 0
; FloatMode: 240
; IeeeMode: 1
; LDSByteSize: 0 bytes/workgroup (compile time only)
; SGPRBlocks: 4
; VGPRBlocks: 3
; NumSGPRsForWavesPerEU: 37
; NumVGPRsForWavesPerEU: 28
; AccumOffset: 28
; Occupancy: 8
; WaveLimiterHint : 1
; COMPUTE_PGM_RSRC2:SCRATCH_EN: 1
; COMPUTE_PGM_RSRC2:USER_SGPR: 8
; COMPUTE_PGM_RSRC2:TRAP_HANDLER: 0
; COMPUTE_PGM_RSRC2:TGID_X_EN: 1
; COMPUTE_PGM_RSRC2:TGID_Y_EN: 0
; COMPUTE_PGM_RSRC2:TGID_Z_EN: 0
; COMPUTE_PGM_RSRC2:TIDIG_COMP_CNT: 0
; COMPUTE_PGM_RSRC3_GFX90A:ACCUM_OFFSET: 6
; COMPUTE_PGM_RSRC3_GFX90A:TG_SPLIT: 0
	.section	.text._ZN9rocsparseL30csrmvn_lrb_short_rows_2_kernelIlld21rocsparse_complex_numIdES2_S2_EEvbT_PT0_S5_jNS_24const_host_device_scalarIT4_EEPKS3_PKS4_PKT1_PKT2_S8_PT3_21rocsparse_index_base_b,"axG",@progbits,_ZN9rocsparseL30csrmvn_lrb_short_rows_2_kernelIlld21rocsparse_complex_numIdES2_S2_EEvbT_PT0_S5_jNS_24const_host_device_scalarIT4_EEPKS3_PKS4_PKT1_PKT2_S8_PT3_21rocsparse_index_base_b,comdat
	.globl	_ZN9rocsparseL30csrmvn_lrb_short_rows_2_kernelIlld21rocsparse_complex_numIdES2_S2_EEvbT_PT0_S5_jNS_24const_host_device_scalarIT4_EEPKS3_PKS4_PKT1_PKT2_S8_PT3_21rocsparse_index_base_b ; -- Begin function _ZN9rocsparseL30csrmvn_lrb_short_rows_2_kernelIlld21rocsparse_complex_numIdES2_S2_EEvbT_PT0_S5_jNS_24const_host_device_scalarIT4_EEPKS3_PKS4_PKT1_PKT2_S8_PT3_21rocsparse_index_base_b
	.p2align	8
	.type	_ZN9rocsparseL30csrmvn_lrb_short_rows_2_kernelIlld21rocsparse_complex_numIdES2_S2_EEvbT_PT0_S5_jNS_24const_host_device_scalarIT4_EEPKS3_PKS4_PKT1_PKT2_S8_PT3_21rocsparse_index_base_b,@function
_ZN9rocsparseL30csrmvn_lrb_short_rows_2_kernelIlld21rocsparse_complex_numIdES2_S2_EEvbT_PT0_S5_jNS_24const_host_device_scalarIT4_EEPKS3_PKS4_PKT1_PKT2_S8_PT3_21rocsparse_index_base_b: ; @_ZN9rocsparseL30csrmvn_lrb_short_rows_2_kernelIlld21rocsparse_complex_numIdES2_S2_EEvbT_PT0_S5_jNS_24const_host_device_scalarIT4_EEPKS3_PKS4_PKT1_PKT2_S8_PT3_21rocsparse_index_base_b
; %bb.0:
	s_add_u32 flat_scratch_lo, s6, s9
	s_load_dwordx2 s[20:21], s[4:5], 0x70
	s_load_dwordx4 s[16:19], s[4:5], 0x28
	s_addc_u32 flat_scratch_hi, s7, 0
	s_add_u32 s0, s0, s9
	s_load_dwordx4 s[12:15], s[4:5], 0x58
	s_addc_u32 s1, s1, 0
	s_waitcnt lgkmcnt(0)
	s_bitcmp1_b32 s21, 0
	v_mov_b32_e32 v1, 0
	v_mov_b32_e32 v3, s16
	s_cselect_b64 s[6:7], -1, 0
	v_cndmask_b32_e64 v2, v3, v1, s[6:7]
	v_mov_b32_e32 v1, s17
	s_mov_b64 s[10:11], src_private_base
	s_and_b64 vcc, s[6:7], exec
	buffer_store_dword v1, off, s[0:3], 0 offset:4
	buffer_store_dword v3, off, s[0:3], 0
	v_mov_b32_e32 v1, s13
	s_cselect_b32 s9, s11, s17
	buffer_store_dword v1, off, s[0:3], 0 offset:12
	v_mov_b32_e32 v1, s12
	buffer_store_dword v1, off, s[0:3], 0 offset:8
	v_mov_b32_e32 v3, s9
	flat_load_dwordx2 v[14:15], v[2:3]
	s_xor_b64 s[22:23], s[6:7], -1
	v_pk_mov_b32 v[16:17], s[18:19], s[18:19] op_sel:[0,1]
	s_cbranch_vccnz .LBB201_2
; %bb.1:
	v_pk_mov_b32 v[2:3], s[16:17], s[16:17] op_sel:[0,1]
	flat_load_dwordx2 v[16:17], v[2:3] offset:8
.LBB201_2:
	s_and_b64 s[16:17], s[6:7], exec
	s_cselect_b32 s9, s11, s13
	v_mov_b32_e32 v1, 8
	v_mov_b32_e32 v2, s12
	v_cndmask_b32_e64 v2, v2, v1, s[6:7]
	v_mov_b32_e32 v3, s9
	flat_load_dwordx2 v[10:11], v[2:3]
	s_andn2_b64 vcc, exec, s[22:23]
	v_pk_mov_b32 v[12:13], s[14:15], s[14:15] op_sel:[0,1]
	s_cbranch_vccnz .LBB201_4
; %bb.3:
	v_pk_mov_b32 v[2:3], s[12:13], s[12:13] op_sel:[0,1]
	flat_load_dwordx2 v[12:13], v[2:3] offset:8
.LBB201_4:
	s_waitcnt vmcnt(0) lgkmcnt(0)
	v_cmp_eq_f64_e32 vcc, 0, v[14:15]
	v_cmp_eq_f64_e64 s[6:7], 0, v[16:17]
	s_and_b64 s[12:13], vcc, s[6:7]
	s_mov_b64 s[6:7], -1
	s_and_saveexec_b64 s[10:11], s[12:13]
; %bb.5:
	v_cmp_neq_f64_e32 vcc, 1.0, v[10:11]
	v_cmp_neq_f64_e64 s[6:7], 0, v[12:13]
	s_or_b64 s[6:7], vcc, s[6:7]
	s_orn2_b64 s[6:7], s[6:7], exec
; %bb.6:
	s_or_b64 exec, exec, s[10:11]
	s_and_saveexec_b64 s[10:11], s[6:7]
	s_cbranch_execz .LBB201_32
; %bb.7:
	s_load_dword s6, s[4:5], 0x20
	s_load_dwordx4 s[24:27], s[4:5], 0x10
	s_mov_b32 s7, 0
	s_mov_b32 s11, s7
	v_mov_b32_e32 v23, 0
	s_waitcnt lgkmcnt(0)
	s_lshl_b64 s[12:13], s[6:7], 3
	s_add_u32 s22, s26, s12
	s_addc_u32 s23, s27, s13
	s_add_i32 s10, s6, 1
	s_lshl_b64 s[10:11], s[10:11], 3
	s_add_u32 s26, s26, s10
	s_addc_u32 s27, s27, s11
	s_load_dwordx2 s[28:29], s[22:23], 0x0
	s_load_dword s9, s[26:27], 0x0
	s_load_dwordx2 s[10:11], s[4:5], 0x68
	s_load_dwordx8 s[12:19], s[4:5], 0x38
	s_lshr_b32 s7, 0x400, s6
	s_mul_i32 s8, s7, s8
	s_waitcnt lgkmcnt(0)
	s_sub_i32 s4, s9, s28
	s_add_i32 s5, s8, s7
	s_min_u32 s9, s4, s5
	s_lshl_b64 s[4:5], s[28:29], 3
	s_add_u32 s21, s24, s4
	s_addc_u32 s24, s25, s5
	s_mov_b32 s4, 0
	v_lshrrev_b32_e32 v1, s6, v0
	s_brev_b32 s5, 1
	v_add_u32_e32 v2, s8, v1
	v_bfe_u32 v22, v0, 0, s6
	v_mul_f64 v[20:21], v[16:17], s[4:5]
	v_mul_f64 v[18:19], v[14:15], 0
	v_cmp_gt_u32_e32 vcc, s9, v2
	s_and_saveexec_b64 s[4:5], vcc
	s_cbranch_execz .LBB201_11
; %bb.8:
	v_mov_b32_e32 v3, v23
	v_lshlrev_b64 v[2:3], 3, v[2:3]
	v_mov_b32_e32 v1, s24
	v_add_co_u32_e32 v2, vcc, s21, v2
	v_addc_co_u32_e32 v3, vcc, v1, v3, vcc
	global_load_dwordx2 v[2:3], v[2:3], off
	v_mov_b32_e32 v1, s13
	s_waitcnt vmcnt(0)
	v_lshlrev_b64 v[2:3], 3, v[2:3]
	v_add_co_u32_e32 v2, vcc, s12, v2
	v_addc_co_u32_e32 v3, vcc, v1, v3, vcc
	global_load_dwordx4 v[6:9], v[2:3], off
	v_pk_mov_b32 v[2:3], 0, 0
	s_waitcnt vmcnt(0)
	v_sub_co_u32_e32 v4, vcc, v8, v6
	v_subb_co_u32_e32 v5, vcc, v9, v7, vcc
	v_cmp_gt_i64_e32 vcc, v[4:5], v[22:23]
	v_pk_mov_b32 v[4:5], v[2:3], v[2:3] op_sel:[0,1]
	s_and_saveexec_b64 s[22:23], vcc
	s_cbranch_execz .LBB201_10
; %bb.9:
	v_subrev_co_u32_e32 v1, vcc, s20, v6
	v_subbrev_co_u32_e32 v3, vcc, 0, v7, vcc
	v_add_co_u32_e32 v2, vcc, v1, v22
	v_addc_co_u32_e32 v3, vcc, 0, v3, vcc
	v_lshlrev_b64 v[2:3], 3, v[2:3]
	v_mov_b32_e32 v1, s15
	v_add_co_u32_e32 v4, vcc, s14, v2
	v_addc_co_u32_e32 v5, vcc, v1, v3, vcc
	global_load_dwordx2 v[4:5], v[4:5], off
	v_mov_b32_e32 v1, s17
	v_add_co_u32_e32 v2, vcc, s16, v2
	v_addc_co_u32_e32 v3, vcc, v1, v3, vcc
	v_mov_b32_e32 v6, s19
	global_load_dwordx2 v[2:3], v[2:3], off
	s_waitcnt vmcnt(1)
	v_subrev_co_u32_e32 v4, vcc, s20, v4
	v_subbrev_co_u32_e32 v5, vcc, 0, v5, vcc
	v_lshlrev_b64 v[4:5], 4, v[4:5]
	v_add_co_u32_e32 v4, vcc, s18, v4
	v_addc_co_u32_e32 v5, vcc, v6, v5, vcc
	global_load_dwordx4 v[6:9], v[4:5], off
	s_waitcnt vmcnt(1)
	v_fma_f64 v[24:25], v[14:15], v[2:3], v[20:21]
	v_fma_f64 v[26:27], v[16:17], v[2:3], v[18:19]
	s_waitcnt vmcnt(0)
	v_mul_f64 v[2:3], v[8:9], -v[26:27]
	v_mul_f64 v[4:5], v[24:25], v[8:9]
	v_fmac_f64_e32 v[2:3], v[24:25], v[6:7]
	v_fmac_f64_e32 v[4:5], v[26:27], v[6:7]
.LBB201_10:
	s_or_b64 exec, exec, s[22:23]
	v_lshlrev_b32_e32 v1, 4, v0
	ds_write_b128 v1, v[2:5]
.LBB201_11:
	s_or_b64 exec, exec, s[4:5]
	v_or_b32_e32 v1, 0x100, v0
	v_lshrrev_b32_e32 v1, s6, v1
	v_add_u32_e32 v2, s8, v1
	v_cmp_gt_u32_e32 vcc, s9, v2
	s_and_saveexec_b64 s[4:5], vcc
	s_cbranch_execz .LBB201_15
; %bb.12:
	v_mov_b32_e32 v3, 0
	v_lshlrev_b64 v[2:3], 3, v[2:3]
	v_mov_b32_e32 v1, s24
	v_add_co_u32_e32 v2, vcc, s21, v2
	v_addc_co_u32_e32 v3, vcc, v1, v3, vcc
	global_load_dwordx2 v[2:3], v[2:3], off
	v_mov_b32_e32 v1, s13
	s_waitcnt vmcnt(0)
	v_lshlrev_b64 v[2:3], 3, v[2:3]
	v_add_co_u32_e32 v2, vcc, s12, v2
	v_addc_co_u32_e32 v3, vcc, v1, v3, vcc
	global_load_dwordx4 v[6:9], v[2:3], off
	v_pk_mov_b32 v[2:3], 0, 0
	s_waitcnt vmcnt(0)
	v_sub_co_u32_e32 v4, vcc, v8, v6
	v_subb_co_u32_e32 v5, vcc, v9, v7, vcc
	v_cmp_gt_i64_e32 vcc, v[4:5], v[22:23]
	v_pk_mov_b32 v[4:5], v[2:3], v[2:3] op_sel:[0,1]
	s_and_saveexec_b64 s[22:23], vcc
	s_cbranch_execz .LBB201_14
; %bb.13:
	v_subrev_co_u32_e32 v1, vcc, s20, v6
	v_subbrev_co_u32_e32 v3, vcc, 0, v7, vcc
	v_add_co_u32_e32 v2, vcc, v1, v22
	v_addc_co_u32_e32 v3, vcc, 0, v3, vcc
	v_lshlrev_b64 v[2:3], 3, v[2:3]
	v_mov_b32_e32 v1, s15
	v_add_co_u32_e32 v4, vcc, s14, v2
	v_addc_co_u32_e32 v5, vcc, v1, v3, vcc
	global_load_dwordx2 v[4:5], v[4:5], off
	v_mov_b32_e32 v1, s17
	v_add_co_u32_e32 v2, vcc, s16, v2
	v_addc_co_u32_e32 v3, vcc, v1, v3, vcc
	v_mov_b32_e32 v6, s19
	global_load_dwordx2 v[2:3], v[2:3], off
	s_waitcnt vmcnt(1)
	v_subrev_co_u32_e32 v4, vcc, s20, v4
	v_subbrev_co_u32_e32 v5, vcc, 0, v5, vcc
	v_lshlrev_b64 v[4:5], 4, v[4:5]
	v_add_co_u32_e32 v4, vcc, s18, v4
	v_addc_co_u32_e32 v5, vcc, v6, v5, vcc
	global_load_dwordx4 v[6:9], v[4:5], off
	s_waitcnt vmcnt(1)
	v_fma_f64 v[24:25], v[14:15], v[2:3], v[20:21]
	v_fma_f64 v[26:27], v[16:17], v[2:3], v[18:19]
	s_waitcnt vmcnt(0)
	v_mul_f64 v[2:3], v[8:9], -v[26:27]
	v_mul_f64 v[4:5], v[24:25], v[8:9]
	v_fmac_f64_e32 v[2:3], v[24:25], v[6:7]
	v_fmac_f64_e32 v[4:5], v[26:27], v[6:7]
.LBB201_14:
	s_or_b64 exec, exec, s[22:23]
	v_lshlrev_b32_e32 v1, 4, v0
	ds_write_b128 v1, v[2:5] offset:4096
.LBB201_15:
	s_or_b64 exec, exec, s[4:5]
	v_or_b32_e32 v1, 0x200, v0
	v_lshrrev_b32_e32 v1, s6, v1
	v_add_u32_e32 v2, s8, v1
	v_cmp_gt_u32_e32 vcc, s9, v2
	s_and_saveexec_b64 s[4:5], vcc
	s_cbranch_execz .LBB201_19
; %bb.16:
	v_mov_b32_e32 v3, 0
	v_lshlrev_b64 v[2:3], 3, v[2:3]
	v_mov_b32_e32 v1, s24
	v_add_co_u32_e32 v2, vcc, s21, v2
	v_addc_co_u32_e32 v3, vcc, v1, v3, vcc
	global_load_dwordx2 v[2:3], v[2:3], off
	v_mov_b32_e32 v1, s13
	s_waitcnt vmcnt(0)
	v_lshlrev_b64 v[2:3], 3, v[2:3]
	v_add_co_u32_e32 v2, vcc, s12, v2
	v_addc_co_u32_e32 v3, vcc, v1, v3, vcc
	global_load_dwordx4 v[6:9], v[2:3], off
	v_pk_mov_b32 v[2:3], 0, 0
	s_waitcnt vmcnt(0)
	v_sub_co_u32_e32 v4, vcc, v8, v6
	v_subb_co_u32_e32 v5, vcc, v9, v7, vcc
	v_cmp_gt_i64_e32 vcc, v[4:5], v[22:23]
	v_pk_mov_b32 v[4:5], v[2:3], v[2:3] op_sel:[0,1]
	s_and_saveexec_b64 s[22:23], vcc
	s_cbranch_execz .LBB201_18
; %bb.17:
	v_subrev_co_u32_e32 v1, vcc, s20, v6
	v_subbrev_co_u32_e32 v3, vcc, 0, v7, vcc
	v_add_co_u32_e32 v2, vcc, v1, v22
	v_addc_co_u32_e32 v3, vcc, 0, v3, vcc
	v_lshlrev_b64 v[2:3], 3, v[2:3]
	v_mov_b32_e32 v1, s15
	v_add_co_u32_e32 v4, vcc, s14, v2
	v_addc_co_u32_e32 v5, vcc, v1, v3, vcc
	global_load_dwordx2 v[4:5], v[4:5], off
	v_mov_b32_e32 v1, s17
	v_add_co_u32_e32 v2, vcc, s16, v2
	v_addc_co_u32_e32 v3, vcc, v1, v3, vcc
	v_mov_b32_e32 v6, s19
	global_load_dwordx2 v[2:3], v[2:3], off
	s_waitcnt vmcnt(1)
	v_subrev_co_u32_e32 v4, vcc, s20, v4
	v_subbrev_co_u32_e32 v5, vcc, 0, v5, vcc
	v_lshlrev_b64 v[4:5], 4, v[4:5]
	v_add_co_u32_e32 v4, vcc, s18, v4
	v_addc_co_u32_e32 v5, vcc, v6, v5, vcc
	global_load_dwordx4 v[6:9], v[4:5], off
	s_waitcnt vmcnt(1)
	v_fma_f64 v[24:25], v[14:15], v[2:3], v[20:21]
	v_fma_f64 v[26:27], v[16:17], v[2:3], v[18:19]
	s_waitcnt vmcnt(0)
	v_mul_f64 v[2:3], v[8:9], -v[26:27]
	v_mul_f64 v[4:5], v[24:25], v[8:9]
	v_fmac_f64_e32 v[2:3], v[24:25], v[6:7]
	v_fmac_f64_e32 v[4:5], v[26:27], v[6:7]
.LBB201_18:
	s_or_b64 exec, exec, s[22:23]
	v_lshlrev_b32_e32 v1, 4, v0
	ds_write_b128 v1, v[2:5] offset:8192
.LBB201_19:
	s_or_b64 exec, exec, s[4:5]
	v_or_b32_e32 v1, 0x300, v0
	v_lshrrev_b32_e32 v1, s6, v1
	v_add_u32_e32 v2, s8, v1
	v_cmp_gt_u32_e32 vcc, s9, v2
	s_and_saveexec_b64 s[4:5], vcc
	s_cbranch_execz .LBB201_23
; %bb.20:
	v_mov_b32_e32 v3, 0
	v_lshlrev_b64 v[2:3], 3, v[2:3]
	v_mov_b32_e32 v1, s24
	v_add_co_u32_e32 v2, vcc, s21, v2
	v_addc_co_u32_e32 v3, vcc, v1, v3, vcc
	global_load_dwordx2 v[2:3], v[2:3], off
	v_mov_b32_e32 v1, s13
	s_waitcnt vmcnt(0)
	v_lshlrev_b64 v[2:3], 3, v[2:3]
	v_add_co_u32_e32 v2, vcc, s12, v2
	v_addc_co_u32_e32 v3, vcc, v1, v3, vcc
	global_load_dwordx4 v[6:9], v[2:3], off
	v_pk_mov_b32 v[2:3], 0, 0
	s_waitcnt vmcnt(0)
	v_sub_co_u32_e32 v4, vcc, v8, v6
	v_subb_co_u32_e32 v5, vcc, v9, v7, vcc
	v_cmp_gt_i64_e32 vcc, v[4:5], v[22:23]
	v_pk_mov_b32 v[4:5], v[2:3], v[2:3] op_sel:[0,1]
	s_and_saveexec_b64 s[12:13], vcc
	s_cbranch_execz .LBB201_22
; %bb.21:
	v_subrev_co_u32_e32 v1, vcc, s20, v6
	v_subbrev_co_u32_e32 v3, vcc, 0, v7, vcc
	v_add_co_u32_e32 v2, vcc, v1, v22
	v_addc_co_u32_e32 v3, vcc, 0, v3, vcc
	v_lshlrev_b64 v[2:3], 3, v[2:3]
	v_mov_b32_e32 v1, s15
	v_add_co_u32_e32 v4, vcc, s14, v2
	v_addc_co_u32_e32 v5, vcc, v1, v3, vcc
	global_load_dwordx2 v[4:5], v[4:5], off
	v_mov_b32_e32 v1, s17
	v_add_co_u32_e32 v2, vcc, s16, v2
	v_addc_co_u32_e32 v3, vcc, v1, v3, vcc
	v_mov_b32_e32 v6, s19
	global_load_dwordx2 v[2:3], v[2:3], off
	s_waitcnt vmcnt(1)
	v_subrev_co_u32_e32 v4, vcc, s20, v4
	v_subbrev_co_u32_e32 v5, vcc, 0, v5, vcc
	v_lshlrev_b64 v[4:5], 4, v[4:5]
	v_add_co_u32_e32 v4, vcc, s18, v4
	v_addc_co_u32_e32 v5, vcc, v6, v5, vcc
	global_load_dwordx4 v[6:9], v[4:5], off
	s_waitcnt vmcnt(1)
	v_fmac_f64_e32 v[20:21], v[14:15], v[2:3]
	v_fmac_f64_e32 v[18:19], v[16:17], v[2:3]
	s_waitcnt vmcnt(0)
	v_mul_f64 v[2:3], v[8:9], -v[18:19]
	v_mul_f64 v[4:5], v[20:21], v[8:9]
	v_fmac_f64_e32 v[2:3], v[20:21], v[6:7]
	v_fmac_f64_e32 v[4:5], v[18:19], v[6:7]
.LBB201_22:
	s_or_b64 exec, exec, s[12:13]
	v_lshlrev_b32_e32 v1, 4, v0
	ds_write_b128 v1, v[2:5] offset:12288
.LBB201_23:
	s_or_b64 exec, exec, s[4:5]
	s_cmp_lt_u32 s6, 11
	s_waitcnt lgkmcnt(0)
	s_barrier
	s_cbranch_scc0 .LBB201_32
; %bb.24:
	s_sub_i32 s16, s9, s8
	s_mov_b32 s9, 0
	s_lshl_b64 s[4:5], s[8:9], 3
	s_add_u32 s8, s21, s4
	s_addc_u32 s17, s24, s5
	v_cmp_neq_f64_e32 vcc, 0, v[10:11]
	v_cmp_neq_f64_e64 s[4:5], 0, v[12:13]
	s_or_b64 s[4:5], vcc, s[4:5]
	v_mov_b32_e32 v7, 0
	s_branch .LBB201_27
.LBB201_25:                             ;   in Loop: Header=BB201_27 Depth=1
	s_or_b64 exec, exec, s[14:15]
	v_mov_b32_e32 v1, s11
	v_add_co_u32_e32 v8, vcc, s10, v8
	v_addc_co_u32_e32 v9, vcc, v1, v9, vcc
	global_store_dwordx4 v[8:9], v[2:5], off
.LBB201_26:                             ;   in Loop: Header=BB201_27 Depth=1
	s_or_b64 exec, exec, s[12:13]
	s_addk_i32 s9, 0x100
	s_cmp_lt_u32 s9, s7
	s_cbranch_scc0 .LBB201_32
.LBB201_27:                             ; =>This Loop Header: Depth=1
                                        ;     Child Loop BB201_29 Depth 2
	v_add_u32_e32 v6, s9, v0
	v_cmp_gt_u32_e32 vcc, s16, v6
	s_and_saveexec_b64 s[12:13], vcc
	s_cbranch_execz .LBB201_26
; %bb.28:                               ;   in Loop: Header=BB201_27 Depth=1
	v_lshlrev_b64 v[2:3], 3, v[6:7]
	v_mov_b32_e32 v1, s17
	v_add_co_u32_e32 v2, vcc, s8, v2
	v_addc_co_u32_e32 v3, vcc, v1, v3, vcc
	global_load_dwordx2 v[8:9], v[2:3], off
	v_lshlrev_b32_e32 v1, s6, v6
	v_pk_mov_b32 v[4:5], 0, 0
	v_lshlrev_b32_e32 v1, 4, v1
	s_mov_b32 s14, 1
	v_pk_mov_b32 v[2:3], v[4:5], v[4:5] op_sel:[0,1]
.LBB201_29:                             ;   Parent Loop BB201_27 Depth=1
                                        ; =>  This Inner Loop Header: Depth=2
	ds_read_b128 v[14:17], v1
	s_lshr_b32 s15, s14, s6
	s_add_i32 s14, s14, 1
	v_add_u32_e32 v1, 16, v1
	s_cmp_lg_u32 s15, 0
	s_waitcnt lgkmcnt(0)
	v_add_f64 v[2:3], v[2:3], v[14:15]
	v_add_f64 v[4:5], v[4:5], v[16:17]
	s_cbranch_scc0 .LBB201_29
; %bb.30:                               ;   in Loop: Header=BB201_27 Depth=1
	s_waitcnt vmcnt(0)
	v_lshlrev_b64 v[8:9], 4, v[8:9]
	s_and_saveexec_b64 s[14:15], s[4:5]
	s_cbranch_execz .LBB201_25
; %bb.31:                               ;   in Loop: Header=BB201_27 Depth=1
	v_mov_b32_e32 v1, s11
	v_add_co_u32_e32 v14, vcc, s10, v8
	v_addc_co_u32_e32 v15, vcc, v1, v9, vcc
	global_load_dwordx4 v[14:17], v[14:15], off
	s_waitcnt vmcnt(0)
	v_fmac_f64_e32 v[2:3], v[10:11], v[14:15]
	v_fmac_f64_e32 v[4:5], v[12:13], v[14:15]
	v_fma_f64 v[2:3], -v[12:13], v[16:17], v[2:3]
	v_fmac_f64_e32 v[4:5], v[10:11], v[16:17]
	s_branch .LBB201_25
.LBB201_32:
	s_endpgm
	.section	.rodata,"a",@progbits
	.p2align	6, 0x0
	.amdhsa_kernel _ZN9rocsparseL30csrmvn_lrb_short_rows_2_kernelIlld21rocsparse_complex_numIdES2_S2_EEvbT_PT0_S5_jNS_24const_host_device_scalarIT4_EEPKS3_PKS4_PKT1_PKT2_S8_PT3_21rocsparse_index_base_b
		.amdhsa_group_segment_fixed_size 16384
		.amdhsa_private_segment_fixed_size 24
		.amdhsa_kernarg_size 120
		.amdhsa_user_sgpr_count 8
		.amdhsa_user_sgpr_private_segment_buffer 1
		.amdhsa_user_sgpr_dispatch_ptr 0
		.amdhsa_user_sgpr_queue_ptr 0
		.amdhsa_user_sgpr_kernarg_segment_ptr 1
		.amdhsa_user_sgpr_dispatch_id 0
		.amdhsa_user_sgpr_flat_scratch_init 1
		.amdhsa_user_sgpr_kernarg_preload_length 0
		.amdhsa_user_sgpr_kernarg_preload_offset 0
		.amdhsa_user_sgpr_private_segment_size 0
		.amdhsa_uses_dynamic_stack 0
		.amdhsa_system_sgpr_private_segment_wavefront_offset 1
		.amdhsa_system_sgpr_workgroup_id_x 1
		.amdhsa_system_sgpr_workgroup_id_y 0
		.amdhsa_system_sgpr_workgroup_id_z 0
		.amdhsa_system_sgpr_workgroup_info 0
		.amdhsa_system_vgpr_workitem_id 0
		.amdhsa_next_free_vgpr 28
		.amdhsa_next_free_sgpr 30
		.amdhsa_accum_offset 28
		.amdhsa_reserve_vcc 1
		.amdhsa_reserve_flat_scratch 1
		.amdhsa_float_round_mode_32 0
		.amdhsa_float_round_mode_16_64 0
		.amdhsa_float_denorm_mode_32 3
		.amdhsa_float_denorm_mode_16_64 3
		.amdhsa_dx10_clamp 1
		.amdhsa_ieee_mode 1
		.amdhsa_fp16_overflow 0
		.amdhsa_tg_split 0
		.amdhsa_exception_fp_ieee_invalid_op 0
		.amdhsa_exception_fp_denorm_src 0
		.amdhsa_exception_fp_ieee_div_zero 0
		.amdhsa_exception_fp_ieee_overflow 0
		.amdhsa_exception_fp_ieee_underflow 0
		.amdhsa_exception_fp_ieee_inexact 0
		.amdhsa_exception_int_div_zero 0
	.end_amdhsa_kernel
	.section	.text._ZN9rocsparseL30csrmvn_lrb_short_rows_2_kernelIlld21rocsparse_complex_numIdES2_S2_EEvbT_PT0_S5_jNS_24const_host_device_scalarIT4_EEPKS3_PKS4_PKT1_PKT2_S8_PT3_21rocsparse_index_base_b,"axG",@progbits,_ZN9rocsparseL30csrmvn_lrb_short_rows_2_kernelIlld21rocsparse_complex_numIdES2_S2_EEvbT_PT0_S5_jNS_24const_host_device_scalarIT4_EEPKS3_PKS4_PKT1_PKT2_S8_PT3_21rocsparse_index_base_b,comdat
.Lfunc_end201:
	.size	_ZN9rocsparseL30csrmvn_lrb_short_rows_2_kernelIlld21rocsparse_complex_numIdES2_S2_EEvbT_PT0_S5_jNS_24const_host_device_scalarIT4_EEPKS3_PKS4_PKT1_PKT2_S8_PT3_21rocsparse_index_base_b, .Lfunc_end201-_ZN9rocsparseL30csrmvn_lrb_short_rows_2_kernelIlld21rocsparse_complex_numIdES2_S2_EEvbT_PT0_S5_jNS_24const_host_device_scalarIT4_EEPKS3_PKS4_PKT1_PKT2_S8_PT3_21rocsparse_index_base_b
                                        ; -- End function
	.section	.AMDGPU.csdata,"",@progbits
; Kernel info:
; codeLenInByte = 1952
; NumSgprs: 36
; NumVgprs: 28
; NumAgprs: 0
; TotalNumVgprs: 28
; ScratchSize: 24
; MemoryBound: 0
; FloatMode: 240
; IeeeMode: 1
; LDSByteSize: 16384 bytes/workgroup (compile time only)
; SGPRBlocks: 4
; VGPRBlocks: 3
; NumSGPRsForWavesPerEU: 36
; NumVGPRsForWavesPerEU: 28
; AccumOffset: 28
; Occupancy: 4
; WaveLimiterHint : 1
; COMPUTE_PGM_RSRC2:SCRATCH_EN: 1
; COMPUTE_PGM_RSRC2:USER_SGPR: 8
; COMPUTE_PGM_RSRC2:TRAP_HANDLER: 0
; COMPUTE_PGM_RSRC2:TGID_X_EN: 1
; COMPUTE_PGM_RSRC2:TGID_Y_EN: 0
; COMPUTE_PGM_RSRC2:TGID_Z_EN: 0
; COMPUTE_PGM_RSRC2:TIDIG_COMP_CNT: 0
; COMPUTE_PGM_RSRC3_GFX90A:ACCUM_OFFSET: 6
; COMPUTE_PGM_RSRC3_GFX90A:TG_SPLIT: 0
	.section	.text._ZN9rocsparseL41csrmvn_lrb_medium_rows_warp_reduce_kernelILj256ELj32Elld21rocsparse_complex_numIdES2_S2_EEvbT1_lPT2_S5_jNS_24const_host_device_scalarIT6_EEPKS3_PKS4_PKT3_PKT4_S8_PT5_21rocsparse_index_base_b,"axG",@progbits,_ZN9rocsparseL41csrmvn_lrb_medium_rows_warp_reduce_kernelILj256ELj32Elld21rocsparse_complex_numIdES2_S2_EEvbT1_lPT2_S5_jNS_24const_host_device_scalarIT6_EEPKS3_PKS4_PKT3_PKT4_S8_PT5_21rocsparse_index_base_b,comdat
	.globl	_ZN9rocsparseL41csrmvn_lrb_medium_rows_warp_reduce_kernelILj256ELj32Elld21rocsparse_complex_numIdES2_S2_EEvbT1_lPT2_S5_jNS_24const_host_device_scalarIT6_EEPKS3_PKS4_PKT3_PKT4_S8_PT5_21rocsparse_index_base_b ; -- Begin function _ZN9rocsparseL41csrmvn_lrb_medium_rows_warp_reduce_kernelILj256ELj32Elld21rocsparse_complex_numIdES2_S2_EEvbT1_lPT2_S5_jNS_24const_host_device_scalarIT6_EEPKS3_PKS4_PKT3_PKT4_S8_PT5_21rocsparse_index_base_b
	.p2align	8
	.type	_ZN9rocsparseL41csrmvn_lrb_medium_rows_warp_reduce_kernelILj256ELj32Elld21rocsparse_complex_numIdES2_S2_EEvbT1_lPT2_S5_jNS_24const_host_device_scalarIT6_EEPKS3_PKS4_PKT3_PKT4_S8_PT5_21rocsparse_index_base_b,@function
_ZN9rocsparseL41csrmvn_lrb_medium_rows_warp_reduce_kernelILj256ELj32Elld21rocsparse_complex_numIdES2_S2_EEvbT1_lPT2_S5_jNS_24const_host_device_scalarIT6_EEPKS3_PKS4_PKT3_PKT4_S8_PT5_21rocsparse_index_base_b: ; @_ZN9rocsparseL41csrmvn_lrb_medium_rows_warp_reduce_kernelILj256ELj32Elld21rocsparse_complex_numIdES2_S2_EEvbT1_lPT2_S5_jNS_24const_host_device_scalarIT6_EEPKS3_PKS4_PKT3_PKT4_S8_PT5_21rocsparse_index_base_b
; %bb.0:
	s_load_dwordx2 s[2:3], s[6:7], 0x78
	s_load_dwordx4 s[12:15], s[6:7], 0x30
	s_load_dwordx2 s[20:21], s[4:5], 0x4
	s_load_dwordx4 s[16:19], s[6:7], 0x60
	s_mov_b64 s[10:11], src_shared_base
	v_and_b32_e32 v10, 0x3ff, v0
	s_waitcnt lgkmcnt(0)
	s_bitcmp1_b32 s3, 0
	s_cselect_b64 s[0:1], -1, 0
	s_and_b64 vcc, s[0:1], exec
	s_cselect_b32 s3, s11, s13
	s_lshr_b32 s4, s20, 16
	s_mul_i32 s4, s4, s21
	v_mul_lo_u32 v1, s4, v10
	v_bfe_u32 v2, v0, 10, 10
	v_mad_u32_u24 v1, v2, s21, v1
	v_bfe_u32 v0, v0, 20, 10
	v_add_lshl_u32 v4, v1, v0, 3
	v_mov_b32_e32 v5, s12
	v_add_u32_e32 v6, 0x800, v4
	v_pk_mov_b32 v[0:1], s[12:13], s[12:13] op_sel:[0,1]
	v_pk_mov_b32 v[2:3], s[16:17], s[16:17] op_sel:[0,1]
	ds_write2st64_b64 v4, v[2:3], v[0:1] offset1:4
	v_cndmask_b32_e64 v0, v5, v6, s[0:1]
	v_mov_b32_e32 v1, s3
	flat_load_dwordx2 v[0:1], v[0:1]
	s_xor_b64 s[4:5], s[0:1], -1
	v_pk_mov_b32 v[2:3], s[14:15], s[14:15] op_sel:[0,1]
	s_cbranch_vccnz .LBB202_2
; %bb.1:
	v_pk_mov_b32 v[2:3], s[12:13], s[12:13] op_sel:[0,1]
	flat_load_dwordx2 v[2:3], v[2:3] offset:8
.LBB202_2:
	s_and_b64 s[12:13], s[0:1], exec
	s_cselect_b32 s3, s11, s17
	v_mov_b32_e32 v5, s16
	v_cndmask_b32_e64 v4, v5, v4, s[0:1]
	v_mov_b32_e32 v5, s3
	flat_load_dwordx2 v[4:5], v[4:5]
	s_andn2_b64 vcc, exec, s[4:5]
	v_pk_mov_b32 v[6:7], s[18:19], s[18:19] op_sel:[0,1]
	s_cbranch_vccnz .LBB202_4
; %bb.3:
	v_pk_mov_b32 v[6:7], s[16:17], s[16:17] op_sel:[0,1]
	flat_load_dwordx2 v[6:7], v[6:7] offset:8
.LBB202_4:
	s_waitcnt vmcnt(0) lgkmcnt(0)
	v_cmp_eq_f64_e32 vcc, 0, v[0:1]
	v_cmp_eq_f64_e64 s[0:1], 0, v[2:3]
	s_and_b64 s[10:11], vcc, s[0:1]
	s_mov_b64 s[0:1], -1
	s_and_saveexec_b64 s[4:5], s[10:11]
; %bb.5:
	v_cmp_neq_f64_e32 vcc, 1.0, v[4:5]
	v_cmp_neq_f64_e64 s[0:1], 0, v[6:7]
	s_or_b64 s[0:1], vcc, s[0:1]
	s_orn2_b64 s[0:1], s[0:1], exec
; %bb.6:
	s_or_b64 exec, exec, s[4:5]
	s_and_saveexec_b64 s[4:5], s[0:1]
	s_cbranch_execz .LBB202_16
; %bb.7:
	s_load_dwordx2 s[0:1], s[6:7], 0x10
	v_lshrrev_b32_e32 v8, 5, v10
	v_lshl_or_b32 v8, s8, 3, v8
	v_ashrrev_i32_e32 v9, 31, v8
	s_waitcnt lgkmcnt(0)
	v_cmp_gt_i64_e32 vcc, s[0:1], v[8:9]
	s_and_b64 exec, exec, vcc
	s_cbranch_execz .LBB202_16
; %bb.8:
	s_load_dword s0, s[6:7], 0x28
	s_load_dwordx4 s[8:11], s[6:7], 0x18
	s_mov_b32 s1, 0
	v_lshlrev_b64 v[8:9], 3, v[8:9]
	v_and_b32_e32 v26, 31, v10
	s_waitcnt lgkmcnt(0)
	s_lshl_b64 s[4:5], s[0:1], 3
	s_add_u32 s4, s10, s4
	s_addc_u32 s5, s11, s5
	s_load_dwordx2 s[4:5], s[4:5], 0x0
	s_waitcnt lgkmcnt(0)
	s_lshl_b64 s[4:5], s[4:5], 3
	s_add_u32 s0, s8, s4
	s_addc_u32 s3, s9, s5
	v_mov_b32_e32 v11, s3
	v_add_co_u32_e32 v8, vcc, s0, v8
	v_addc_co_u32_e32 v9, vcc, v11, v9, vcc
	global_load_dwordx2 v[8:9], v[8:9], off
	s_load_dwordx2 s[4:5], s[6:7], 0x40
	s_mov_b64 s[8:9], 0
	s_waitcnt lgkmcnt(0)
	v_mov_b32_e32 v11, s5
	s_waitcnt vmcnt(0)
	v_lshlrev_b64 v[12:13], 3, v[8:9]
	v_add_co_u32_e32 v12, vcc, s4, v12
	v_addc_co_u32_e32 v13, vcc, v11, v13, vcc
	global_load_dwordx4 v[14:17], v[12:13], off
	v_subrev_co_u32_e32 v18, vcc, s2, v26
	s_load_dwordx2 s[4:5], s[6:7], 0x70
	v_subb_co_u32_e64 v19, s[10:11], 0, 0, vcc
	v_pk_mov_b32 v[10:11], 0, 0
	v_pk_mov_b32 v[20:21], v[10:11], v[10:11] op_sel:[0,1]
	s_waitcnt vmcnt(0)
	v_subrev_co_u32_e32 v12, vcc, s2, v16
	v_subbrev_co_u32_e32 v13, vcc, 0, v17, vcc
	v_add_co_u32_e32 v14, vcc, v14, v18
	v_addc_co_u32_e32 v15, vcc, v15, v19, vcc
	v_cmp_lt_i64_e32 vcc, v[14:15], v[12:13]
	s_and_saveexec_b64 s[10:11], vcc
	s_cbranch_execz .LBB202_12
; %bb.9:
	s_load_dwordx2 s[12:13], s[6:7], 0x58
	s_load_dwordx4 s[16:19], s[6:7], 0x48
	v_lshlrev_b64 v[10:11], 3, v[14:15]
	s_mov_b32 s6, 0
	s_brev_b32 s7, 1
	v_mul_f64 v[16:17], v[2:3], s[6:7]
	s_waitcnt lgkmcnt(0)
	v_mov_b32_e32 v20, s19
	v_add_co_u32_e32 v22, vcc, s18, v10
	v_addc_co_u32_e32 v23, vcc, v20, v11, vcc
	v_mov_b32_e32 v20, s17
	v_add_co_u32_e32 v24, vcc, s16, v10
	v_addc_co_u32_e32 v25, vcc, v20, v11, vcc
	v_pk_mov_b32 v[10:11], 0, 0
	v_mul_f64 v[18:19], v[0:1], 0
	v_mov_b32_e32 v27, s1
	v_mov_b32_e32 v28, s13
	v_pk_mov_b32 v[20:21], v[10:11], v[10:11] op_sel:[0,1]
.LBB202_10:                             ; =>This Inner Loop Header: Depth=1
	global_load_dwordx2 v[30:31], v[24:25], off
	global_load_dwordx2 v[34:35], v[22:23], off
	s_waitcnt vmcnt(1)
	v_subrev_co_u32_e32 v30, vcc, s2, v30
	v_subb_co_u32_e32 v31, vcc, v31, v27, vcc
	v_lshlrev_b64 v[30:31], 4, v[30:31]
	v_add_co_u32_e32 v30, vcc, s12, v30
	v_addc_co_u32_e32 v31, vcc, v28, v31, vcc
	global_load_dwordx4 v[30:33], v[30:31], off
	v_add_co_u32_e32 v14, vcc, 32, v14
	v_addc_co_u32_e32 v15, vcc, 0, v15, vcc
	v_add_co_u32_e32 v22, vcc, 0x100, v22
	v_addc_co_u32_e32 v23, vcc, 0, v23, vcc
	s_waitcnt vmcnt(1)
	v_fma_f64 v[36:37], v[0:1], v[34:35], v[16:17]
	v_fma_f64 v[34:35], v[2:3], v[34:35], v[18:19]
	v_add_co_u32_e32 v24, vcc, 0x100, v24
	v_cmp_ge_i64_e64 s[0:1], v[14:15], v[12:13]
	v_addc_co_u32_e32 v25, vcc, 0, v25, vcc
	s_or_b64 s[8:9], s[0:1], s[8:9]
	s_waitcnt vmcnt(0)
	v_fmac_f64_e32 v[20:21], v[36:37], v[30:31]
	v_fmac_f64_e32 v[10:11], v[34:35], v[30:31]
	v_fma_f64 v[20:21], -v[34:35], v[32:33], v[20:21]
	v_fmac_f64_e32 v[10:11], v[36:37], v[32:33]
	s_andn2_b64 exec, exec, s[8:9]
	s_cbranch_execnz .LBB202_10
; %bb.11:
	s_or_b64 exec, exec, s[8:9]
.LBB202_12:
	s_or_b64 exec, exec, s[10:11]
	v_mov_b32_dpp v0, v20 row_shr:1 row_mask:0xf bank_mask:0xf
	v_mov_b32_dpp v1, v21 row_shr:1 row_mask:0xf bank_mask:0xf
	;; [unrolled: 1-line block ×4, first 2 shown]
	v_add_f64 v[0:1], v[20:21], v[0:1]
	v_add_f64 v[10:11], v[10:11], v[12:13]
	v_cmp_eq_u32_e32 vcc, 31, v26
	v_mov_b32_dpp v2, v0 row_shr:2 row_mask:0xf bank_mask:0xf
	v_mov_b32_dpp v3, v1 row_shr:2 row_mask:0xf bank_mask:0xf
	v_mov_b32_dpp v12, v10 row_shr:2 row_mask:0xf bank_mask:0xf
	v_mov_b32_dpp v13, v11 row_shr:2 row_mask:0xf bank_mask:0xf
	v_add_f64 v[0:1], v[0:1], v[2:3]
	v_add_f64 v[10:11], v[10:11], v[12:13]
	s_nop 0
	v_mov_b32_dpp v2, v0 row_shr:4 row_mask:0xf bank_mask:0xe
	v_mov_b32_dpp v3, v1 row_shr:4 row_mask:0xf bank_mask:0xe
	v_mov_b32_dpp v12, v10 row_shr:4 row_mask:0xf bank_mask:0xe
	v_mov_b32_dpp v13, v11 row_shr:4 row_mask:0xf bank_mask:0xe
	v_add_f64 v[0:1], v[0:1], v[2:3]
	v_add_f64 v[10:11], v[10:11], v[12:13]
	s_nop 0
	;; [unrolled: 7-line block ×3, first 2 shown]
	v_mov_b32_dpp v2, v0 row_bcast:15 row_mask:0xa bank_mask:0xf
	v_mov_b32_dpp v3, v1 row_bcast:15 row_mask:0xa bank_mask:0xf
	;; [unrolled: 1-line block ×4, first 2 shown]
	s_and_b64 exec, exec, vcc
	s_cbranch_execz .LBB202_16
; %bb.13:
	v_cmp_neq_f64_e32 vcc, 0, v[4:5]
	v_cmp_neq_f64_e64 s[0:1], 0, v[6:7]
	v_add_f64 v[0:1], v[0:1], v[2:3]
	v_add_f64 v[2:3], v[10:11], v[12:13]
	s_or_b64 s[2:3], vcc, s[0:1]
	v_lshlrev_b64 v[8:9], 4, v[8:9]
	s_and_saveexec_b64 s[0:1], s[2:3]
	s_cbranch_execz .LBB202_15
; %bb.14:
	s_waitcnt lgkmcnt(0)
	v_mov_b32_e32 v11, s5
	v_add_co_u32_e32 v10, vcc, s4, v8
	v_addc_co_u32_e32 v11, vcc, v11, v9, vcc
	global_load_dwordx4 v[10:13], v[10:11], off
	s_waitcnt vmcnt(0)
	v_fmac_f64_e32 v[0:1], v[4:5], v[10:11]
	v_fmac_f64_e32 v[2:3], v[6:7], v[10:11]
	v_fma_f64 v[0:1], -v[6:7], v[12:13], v[0:1]
	v_fmac_f64_e32 v[2:3], v[4:5], v[12:13]
.LBB202_15:
	s_or_b64 exec, exec, s[0:1]
	s_waitcnt lgkmcnt(0)
	v_mov_b32_e32 v5, s5
	v_add_co_u32_e32 v4, vcc, s4, v8
	v_addc_co_u32_e32 v5, vcc, v5, v9, vcc
	global_store_dwordx4 v[4:5], v[0:3], off
.LBB202_16:
	s_endpgm
	.section	.rodata,"a",@progbits
	.p2align	6, 0x0
	.amdhsa_kernel _ZN9rocsparseL41csrmvn_lrb_medium_rows_warp_reduce_kernelILj256ELj32Elld21rocsparse_complex_numIdES2_S2_EEvbT1_lPT2_S5_jNS_24const_host_device_scalarIT6_EEPKS3_PKS4_PKT3_PKT4_S8_PT5_21rocsparse_index_base_b
		.amdhsa_group_segment_fixed_size 4096
		.amdhsa_private_segment_fixed_size 0
		.amdhsa_kernarg_size 128
		.amdhsa_user_sgpr_count 8
		.amdhsa_user_sgpr_private_segment_buffer 1
		.amdhsa_user_sgpr_dispatch_ptr 1
		.amdhsa_user_sgpr_queue_ptr 0
		.amdhsa_user_sgpr_kernarg_segment_ptr 1
		.amdhsa_user_sgpr_dispatch_id 0
		.amdhsa_user_sgpr_flat_scratch_init 0
		.amdhsa_user_sgpr_kernarg_preload_length 0
		.amdhsa_user_sgpr_kernarg_preload_offset 0
		.amdhsa_user_sgpr_private_segment_size 0
		.amdhsa_uses_dynamic_stack 0
		.amdhsa_system_sgpr_private_segment_wavefront_offset 0
		.amdhsa_system_sgpr_workgroup_id_x 1
		.amdhsa_system_sgpr_workgroup_id_y 0
		.amdhsa_system_sgpr_workgroup_id_z 0
		.amdhsa_system_sgpr_workgroup_info 0
		.amdhsa_system_vgpr_workitem_id 2
		.amdhsa_next_free_vgpr 38
		.amdhsa_next_free_sgpr 22
		.amdhsa_accum_offset 40
		.amdhsa_reserve_vcc 1
		.amdhsa_reserve_flat_scratch 0
		.amdhsa_float_round_mode_32 0
		.amdhsa_float_round_mode_16_64 0
		.amdhsa_float_denorm_mode_32 3
		.amdhsa_float_denorm_mode_16_64 3
		.amdhsa_dx10_clamp 1
		.amdhsa_ieee_mode 1
		.amdhsa_fp16_overflow 0
		.amdhsa_tg_split 0
		.amdhsa_exception_fp_ieee_invalid_op 0
		.amdhsa_exception_fp_denorm_src 0
		.amdhsa_exception_fp_ieee_div_zero 0
		.amdhsa_exception_fp_ieee_overflow 0
		.amdhsa_exception_fp_ieee_underflow 0
		.amdhsa_exception_fp_ieee_inexact 0
		.amdhsa_exception_int_div_zero 0
	.end_amdhsa_kernel
	.section	.text._ZN9rocsparseL41csrmvn_lrb_medium_rows_warp_reduce_kernelILj256ELj32Elld21rocsparse_complex_numIdES2_S2_EEvbT1_lPT2_S5_jNS_24const_host_device_scalarIT6_EEPKS3_PKS4_PKT3_PKT4_S8_PT5_21rocsparse_index_base_b,"axG",@progbits,_ZN9rocsparseL41csrmvn_lrb_medium_rows_warp_reduce_kernelILj256ELj32Elld21rocsparse_complex_numIdES2_S2_EEvbT1_lPT2_S5_jNS_24const_host_device_scalarIT6_EEPKS3_PKS4_PKT3_PKT4_S8_PT5_21rocsparse_index_base_b,comdat
.Lfunc_end202:
	.size	_ZN9rocsparseL41csrmvn_lrb_medium_rows_warp_reduce_kernelILj256ELj32Elld21rocsparse_complex_numIdES2_S2_EEvbT1_lPT2_S5_jNS_24const_host_device_scalarIT6_EEPKS3_PKS4_PKT3_PKT4_S8_PT5_21rocsparse_index_base_b, .Lfunc_end202-_ZN9rocsparseL41csrmvn_lrb_medium_rows_warp_reduce_kernelILj256ELj32Elld21rocsparse_complex_numIdES2_S2_EEvbT1_lPT2_S5_jNS_24const_host_device_scalarIT6_EEPKS3_PKS4_PKT3_PKT4_S8_PT5_21rocsparse_index_base_b
                                        ; -- End function
	.section	.AMDGPU.csdata,"",@progbits
; Kernel info:
; codeLenInByte = 1204
; NumSgprs: 26
; NumVgprs: 38
; NumAgprs: 0
; TotalNumVgprs: 38
; ScratchSize: 0
; MemoryBound: 0
; FloatMode: 240
; IeeeMode: 1
; LDSByteSize: 4096 bytes/workgroup (compile time only)
; SGPRBlocks: 3
; VGPRBlocks: 4
; NumSGPRsForWavesPerEU: 26
; NumVGPRsForWavesPerEU: 38
; AccumOffset: 40
; Occupancy: 8
; WaveLimiterHint : 1
; COMPUTE_PGM_RSRC2:SCRATCH_EN: 0
; COMPUTE_PGM_RSRC2:USER_SGPR: 8
; COMPUTE_PGM_RSRC2:TRAP_HANDLER: 0
; COMPUTE_PGM_RSRC2:TGID_X_EN: 1
; COMPUTE_PGM_RSRC2:TGID_Y_EN: 0
; COMPUTE_PGM_RSRC2:TGID_Z_EN: 0
; COMPUTE_PGM_RSRC2:TIDIG_COMP_CNT: 2
; COMPUTE_PGM_RSRC3_GFX90A:ACCUM_OFFSET: 9
; COMPUTE_PGM_RSRC3_GFX90A:TG_SPLIT: 0
	.section	.text._ZN9rocsparseL41csrmvn_lrb_medium_rows_warp_reduce_kernelILj256ELj64Elld21rocsparse_complex_numIdES2_S2_EEvbT1_lPT2_S5_jNS_24const_host_device_scalarIT6_EEPKS3_PKS4_PKT3_PKT4_S8_PT5_21rocsparse_index_base_b,"axG",@progbits,_ZN9rocsparseL41csrmvn_lrb_medium_rows_warp_reduce_kernelILj256ELj64Elld21rocsparse_complex_numIdES2_S2_EEvbT1_lPT2_S5_jNS_24const_host_device_scalarIT6_EEPKS3_PKS4_PKT3_PKT4_S8_PT5_21rocsparse_index_base_b,comdat
	.globl	_ZN9rocsparseL41csrmvn_lrb_medium_rows_warp_reduce_kernelILj256ELj64Elld21rocsparse_complex_numIdES2_S2_EEvbT1_lPT2_S5_jNS_24const_host_device_scalarIT6_EEPKS3_PKS4_PKT3_PKT4_S8_PT5_21rocsparse_index_base_b ; -- Begin function _ZN9rocsparseL41csrmvn_lrb_medium_rows_warp_reduce_kernelILj256ELj64Elld21rocsparse_complex_numIdES2_S2_EEvbT1_lPT2_S5_jNS_24const_host_device_scalarIT6_EEPKS3_PKS4_PKT3_PKT4_S8_PT5_21rocsparse_index_base_b
	.p2align	8
	.type	_ZN9rocsparseL41csrmvn_lrb_medium_rows_warp_reduce_kernelILj256ELj64Elld21rocsparse_complex_numIdES2_S2_EEvbT1_lPT2_S5_jNS_24const_host_device_scalarIT6_EEPKS3_PKS4_PKT3_PKT4_S8_PT5_21rocsparse_index_base_b,@function
_ZN9rocsparseL41csrmvn_lrb_medium_rows_warp_reduce_kernelILj256ELj64Elld21rocsparse_complex_numIdES2_S2_EEvbT1_lPT2_S5_jNS_24const_host_device_scalarIT6_EEPKS3_PKS4_PKT3_PKT4_S8_PT5_21rocsparse_index_base_b: ; @_ZN9rocsparseL41csrmvn_lrb_medium_rows_warp_reduce_kernelILj256ELj64Elld21rocsparse_complex_numIdES2_S2_EEvbT1_lPT2_S5_jNS_24const_host_device_scalarIT6_EEPKS3_PKS4_PKT3_PKT4_S8_PT5_21rocsparse_index_base_b
; %bb.0:
	s_load_dwordx2 s[2:3], s[6:7], 0x78
	s_load_dwordx4 s[12:15], s[6:7], 0x30
	s_load_dwordx2 s[20:21], s[4:5], 0x4
	s_load_dwordx4 s[16:19], s[6:7], 0x60
	s_mov_b64 s[10:11], src_shared_base
	v_and_b32_e32 v10, 0x3ff, v0
	s_waitcnt lgkmcnt(0)
	s_bitcmp1_b32 s3, 0
	s_cselect_b64 s[0:1], -1, 0
	s_and_b64 vcc, s[0:1], exec
	s_cselect_b32 s3, s11, s13
	s_lshr_b32 s4, s20, 16
	s_mul_i32 s4, s4, s21
	v_mul_lo_u32 v1, s4, v10
	v_bfe_u32 v2, v0, 10, 10
	v_mad_u32_u24 v1, v2, s21, v1
	v_bfe_u32 v0, v0, 20, 10
	v_add_lshl_u32 v4, v1, v0, 3
	v_mov_b32_e32 v5, s12
	v_add_u32_e32 v6, 0x800, v4
	v_pk_mov_b32 v[0:1], s[12:13], s[12:13] op_sel:[0,1]
	v_pk_mov_b32 v[2:3], s[16:17], s[16:17] op_sel:[0,1]
	ds_write2st64_b64 v4, v[2:3], v[0:1] offset1:4
	v_cndmask_b32_e64 v0, v5, v6, s[0:1]
	v_mov_b32_e32 v1, s3
	flat_load_dwordx2 v[0:1], v[0:1]
	s_xor_b64 s[4:5], s[0:1], -1
	v_pk_mov_b32 v[2:3], s[14:15], s[14:15] op_sel:[0,1]
	s_cbranch_vccnz .LBB203_2
; %bb.1:
	v_pk_mov_b32 v[2:3], s[12:13], s[12:13] op_sel:[0,1]
	flat_load_dwordx2 v[2:3], v[2:3] offset:8
.LBB203_2:
	s_and_b64 s[12:13], s[0:1], exec
	s_cselect_b32 s3, s11, s17
	v_mov_b32_e32 v5, s16
	v_cndmask_b32_e64 v4, v5, v4, s[0:1]
	v_mov_b32_e32 v5, s3
	flat_load_dwordx2 v[4:5], v[4:5]
	s_andn2_b64 vcc, exec, s[4:5]
	v_pk_mov_b32 v[6:7], s[18:19], s[18:19] op_sel:[0,1]
	s_cbranch_vccnz .LBB203_4
; %bb.3:
	v_pk_mov_b32 v[6:7], s[16:17], s[16:17] op_sel:[0,1]
	flat_load_dwordx2 v[6:7], v[6:7] offset:8
.LBB203_4:
	s_waitcnt vmcnt(0) lgkmcnt(0)
	v_cmp_eq_f64_e32 vcc, 0, v[0:1]
	v_cmp_eq_f64_e64 s[0:1], 0, v[2:3]
	s_and_b64 s[10:11], vcc, s[0:1]
	s_mov_b64 s[0:1], -1
	s_and_saveexec_b64 s[4:5], s[10:11]
; %bb.5:
	v_cmp_neq_f64_e32 vcc, 1.0, v[4:5]
	v_cmp_neq_f64_e64 s[0:1], 0, v[6:7]
	s_or_b64 s[0:1], vcc, s[0:1]
	s_orn2_b64 s[0:1], s[0:1], exec
; %bb.6:
	s_or_b64 exec, exec, s[4:5]
	s_and_saveexec_b64 s[4:5], s[0:1]
	s_cbranch_execz .LBB203_16
; %bb.7:
	s_load_dwordx2 s[0:1], s[6:7], 0x10
	v_lshrrev_b32_e32 v8, 6, v10
	v_lshl_or_b32 v8, s8, 2, v8
	v_ashrrev_i32_e32 v9, 31, v8
	s_waitcnt lgkmcnt(0)
	v_cmp_gt_i64_e32 vcc, s[0:1], v[8:9]
	s_and_b64 exec, exec, vcc
	s_cbranch_execz .LBB203_16
; %bb.8:
	s_load_dword s0, s[6:7], 0x28
	s_load_dwordx4 s[8:11], s[6:7], 0x18
	s_mov_b32 s1, 0
	v_lshlrev_b64 v[8:9], 3, v[8:9]
	v_and_b32_e32 v26, 63, v10
	s_waitcnt lgkmcnt(0)
	s_lshl_b64 s[4:5], s[0:1], 3
	s_add_u32 s4, s10, s4
	s_addc_u32 s5, s11, s5
	s_load_dwordx2 s[4:5], s[4:5], 0x0
	s_waitcnt lgkmcnt(0)
	s_lshl_b64 s[4:5], s[4:5], 3
	s_add_u32 s0, s8, s4
	s_addc_u32 s3, s9, s5
	v_mov_b32_e32 v11, s3
	v_add_co_u32_e32 v8, vcc, s0, v8
	v_addc_co_u32_e32 v9, vcc, v11, v9, vcc
	global_load_dwordx2 v[8:9], v[8:9], off
	s_load_dwordx2 s[4:5], s[6:7], 0x40
	s_mov_b64 s[8:9], 0
	s_waitcnt lgkmcnt(0)
	v_mov_b32_e32 v11, s5
	s_waitcnt vmcnt(0)
	v_lshlrev_b64 v[12:13], 3, v[8:9]
	v_add_co_u32_e32 v12, vcc, s4, v12
	v_addc_co_u32_e32 v13, vcc, v11, v13, vcc
	global_load_dwordx4 v[14:17], v[12:13], off
	v_subrev_co_u32_e32 v18, vcc, s2, v26
	s_load_dwordx2 s[4:5], s[6:7], 0x70
	v_subb_co_u32_e64 v19, s[10:11], 0, 0, vcc
	v_pk_mov_b32 v[10:11], 0, 0
	v_pk_mov_b32 v[20:21], v[10:11], v[10:11] op_sel:[0,1]
	s_waitcnt vmcnt(0)
	v_subrev_co_u32_e32 v12, vcc, s2, v16
	v_subbrev_co_u32_e32 v13, vcc, 0, v17, vcc
	v_add_co_u32_e32 v14, vcc, v14, v18
	v_addc_co_u32_e32 v15, vcc, v15, v19, vcc
	v_cmp_lt_i64_e32 vcc, v[14:15], v[12:13]
	s_and_saveexec_b64 s[10:11], vcc
	s_cbranch_execz .LBB203_12
; %bb.9:
	s_load_dwordx2 s[12:13], s[6:7], 0x58
	s_load_dwordx4 s[16:19], s[6:7], 0x48
	v_lshlrev_b64 v[10:11], 3, v[14:15]
	s_mov_b32 s6, 0
	s_brev_b32 s7, 1
	v_mul_f64 v[16:17], v[2:3], s[6:7]
	s_waitcnt lgkmcnt(0)
	v_mov_b32_e32 v20, s19
	v_add_co_u32_e32 v22, vcc, s18, v10
	v_addc_co_u32_e32 v23, vcc, v20, v11, vcc
	v_mov_b32_e32 v20, s17
	v_add_co_u32_e32 v24, vcc, s16, v10
	v_addc_co_u32_e32 v25, vcc, v20, v11, vcc
	v_pk_mov_b32 v[10:11], 0, 0
	v_mul_f64 v[18:19], v[0:1], 0
	v_mov_b32_e32 v27, s1
	v_mov_b32_e32 v28, s13
	v_pk_mov_b32 v[20:21], v[10:11], v[10:11] op_sel:[0,1]
.LBB203_10:                             ; =>This Inner Loop Header: Depth=1
	global_load_dwordx2 v[30:31], v[24:25], off
	global_load_dwordx2 v[34:35], v[22:23], off
	s_waitcnt vmcnt(1)
	v_subrev_co_u32_e32 v30, vcc, s2, v30
	v_subb_co_u32_e32 v31, vcc, v31, v27, vcc
	v_lshlrev_b64 v[30:31], 4, v[30:31]
	v_add_co_u32_e32 v30, vcc, s12, v30
	v_addc_co_u32_e32 v31, vcc, v28, v31, vcc
	global_load_dwordx4 v[30:33], v[30:31], off
	v_add_co_u32_e32 v14, vcc, 64, v14
	v_addc_co_u32_e32 v15, vcc, 0, v15, vcc
	v_add_co_u32_e32 v22, vcc, 0x200, v22
	v_addc_co_u32_e32 v23, vcc, 0, v23, vcc
	s_waitcnt vmcnt(1)
	v_fma_f64 v[36:37], v[0:1], v[34:35], v[16:17]
	v_fma_f64 v[34:35], v[2:3], v[34:35], v[18:19]
	v_add_co_u32_e32 v24, vcc, 0x200, v24
	v_cmp_ge_i64_e64 s[0:1], v[14:15], v[12:13]
	v_addc_co_u32_e32 v25, vcc, 0, v25, vcc
	s_or_b64 s[8:9], s[0:1], s[8:9]
	s_waitcnt vmcnt(0)
	v_fmac_f64_e32 v[20:21], v[36:37], v[30:31]
	v_fmac_f64_e32 v[10:11], v[34:35], v[30:31]
	v_fma_f64 v[20:21], -v[34:35], v[32:33], v[20:21]
	v_fmac_f64_e32 v[10:11], v[36:37], v[32:33]
	s_andn2_b64 exec, exec, s[8:9]
	s_cbranch_execnz .LBB203_10
; %bb.11:
	s_or_b64 exec, exec, s[8:9]
.LBB203_12:
	s_or_b64 exec, exec, s[10:11]
	v_mov_b32_dpp v0, v20 row_shr:1 row_mask:0xf bank_mask:0xf
	v_mov_b32_dpp v1, v21 row_shr:1 row_mask:0xf bank_mask:0xf
	;; [unrolled: 1-line block ×4, first 2 shown]
	v_add_f64 v[0:1], v[20:21], v[0:1]
	v_add_f64 v[10:11], v[10:11], v[12:13]
	v_cmp_eq_u32_e32 vcc, 63, v26
	v_mov_b32_dpp v2, v0 row_shr:2 row_mask:0xf bank_mask:0xf
	v_mov_b32_dpp v3, v1 row_shr:2 row_mask:0xf bank_mask:0xf
	v_mov_b32_dpp v12, v10 row_shr:2 row_mask:0xf bank_mask:0xf
	v_mov_b32_dpp v13, v11 row_shr:2 row_mask:0xf bank_mask:0xf
	v_add_f64 v[0:1], v[0:1], v[2:3]
	v_add_f64 v[10:11], v[10:11], v[12:13]
	s_nop 0
	v_mov_b32_dpp v2, v0 row_shr:4 row_mask:0xf bank_mask:0xe
	v_mov_b32_dpp v3, v1 row_shr:4 row_mask:0xf bank_mask:0xe
	v_mov_b32_dpp v12, v10 row_shr:4 row_mask:0xf bank_mask:0xe
	v_mov_b32_dpp v13, v11 row_shr:4 row_mask:0xf bank_mask:0xe
	v_add_f64 v[0:1], v[0:1], v[2:3]
	v_add_f64 v[10:11], v[10:11], v[12:13]
	s_nop 0
	;; [unrolled: 7-line block ×3, first 2 shown]
	v_mov_b32_dpp v2, v0 row_bcast:15 row_mask:0xa bank_mask:0xf
	v_mov_b32_dpp v3, v1 row_bcast:15 row_mask:0xa bank_mask:0xf
	;; [unrolled: 1-line block ×4, first 2 shown]
	v_add_f64 v[0:1], v[0:1], v[2:3]
	v_add_f64 v[10:11], v[10:11], v[12:13]
	s_nop 0
	v_mov_b32_dpp v2, v0 row_bcast:31 row_mask:0xc bank_mask:0xf
	v_mov_b32_dpp v3, v1 row_bcast:31 row_mask:0xc bank_mask:0xf
	;; [unrolled: 1-line block ×4, first 2 shown]
	s_and_b64 exec, exec, vcc
	s_cbranch_execz .LBB203_16
; %bb.13:
	v_cmp_neq_f64_e32 vcc, 0, v[4:5]
	v_cmp_neq_f64_e64 s[0:1], 0, v[6:7]
	v_add_f64 v[0:1], v[0:1], v[2:3]
	v_add_f64 v[2:3], v[10:11], v[12:13]
	s_or_b64 s[2:3], vcc, s[0:1]
	v_lshlrev_b64 v[8:9], 4, v[8:9]
	s_and_saveexec_b64 s[0:1], s[2:3]
	s_cbranch_execz .LBB203_15
; %bb.14:
	s_waitcnt lgkmcnt(0)
	v_mov_b32_e32 v11, s5
	v_add_co_u32_e32 v10, vcc, s4, v8
	v_addc_co_u32_e32 v11, vcc, v11, v9, vcc
	global_load_dwordx4 v[10:13], v[10:11], off
	s_waitcnt vmcnt(0)
	v_fmac_f64_e32 v[0:1], v[4:5], v[10:11]
	v_fmac_f64_e32 v[2:3], v[6:7], v[10:11]
	v_fma_f64 v[0:1], -v[6:7], v[12:13], v[0:1]
	v_fmac_f64_e32 v[2:3], v[4:5], v[12:13]
.LBB203_15:
	s_or_b64 exec, exec, s[0:1]
	s_waitcnt lgkmcnt(0)
	v_mov_b32_e32 v5, s5
	v_add_co_u32_e32 v4, vcc, s4, v8
	v_addc_co_u32_e32 v5, vcc, v5, v9, vcc
	global_store_dwordx4 v[4:5], v[0:3], off
.LBB203_16:
	s_endpgm
	.section	.rodata,"a",@progbits
	.p2align	6, 0x0
	.amdhsa_kernel _ZN9rocsparseL41csrmvn_lrb_medium_rows_warp_reduce_kernelILj256ELj64Elld21rocsparse_complex_numIdES2_S2_EEvbT1_lPT2_S5_jNS_24const_host_device_scalarIT6_EEPKS3_PKS4_PKT3_PKT4_S8_PT5_21rocsparse_index_base_b
		.amdhsa_group_segment_fixed_size 4096
		.amdhsa_private_segment_fixed_size 0
		.amdhsa_kernarg_size 128
		.amdhsa_user_sgpr_count 8
		.amdhsa_user_sgpr_private_segment_buffer 1
		.amdhsa_user_sgpr_dispatch_ptr 1
		.amdhsa_user_sgpr_queue_ptr 0
		.amdhsa_user_sgpr_kernarg_segment_ptr 1
		.amdhsa_user_sgpr_dispatch_id 0
		.amdhsa_user_sgpr_flat_scratch_init 0
		.amdhsa_user_sgpr_kernarg_preload_length 0
		.amdhsa_user_sgpr_kernarg_preload_offset 0
		.amdhsa_user_sgpr_private_segment_size 0
		.amdhsa_uses_dynamic_stack 0
		.amdhsa_system_sgpr_private_segment_wavefront_offset 0
		.amdhsa_system_sgpr_workgroup_id_x 1
		.amdhsa_system_sgpr_workgroup_id_y 0
		.amdhsa_system_sgpr_workgroup_id_z 0
		.amdhsa_system_sgpr_workgroup_info 0
		.amdhsa_system_vgpr_workitem_id 2
		.amdhsa_next_free_vgpr 38
		.amdhsa_next_free_sgpr 22
		.amdhsa_accum_offset 40
		.amdhsa_reserve_vcc 1
		.amdhsa_reserve_flat_scratch 0
		.amdhsa_float_round_mode_32 0
		.amdhsa_float_round_mode_16_64 0
		.amdhsa_float_denorm_mode_32 3
		.amdhsa_float_denorm_mode_16_64 3
		.amdhsa_dx10_clamp 1
		.amdhsa_ieee_mode 1
		.amdhsa_fp16_overflow 0
		.amdhsa_tg_split 0
		.amdhsa_exception_fp_ieee_invalid_op 0
		.amdhsa_exception_fp_denorm_src 0
		.amdhsa_exception_fp_ieee_div_zero 0
		.amdhsa_exception_fp_ieee_overflow 0
		.amdhsa_exception_fp_ieee_underflow 0
		.amdhsa_exception_fp_ieee_inexact 0
		.amdhsa_exception_int_div_zero 0
	.end_amdhsa_kernel
	.section	.text._ZN9rocsparseL41csrmvn_lrb_medium_rows_warp_reduce_kernelILj256ELj64Elld21rocsparse_complex_numIdES2_S2_EEvbT1_lPT2_S5_jNS_24const_host_device_scalarIT6_EEPKS3_PKS4_PKT3_PKT4_S8_PT5_21rocsparse_index_base_b,"axG",@progbits,_ZN9rocsparseL41csrmvn_lrb_medium_rows_warp_reduce_kernelILj256ELj64Elld21rocsparse_complex_numIdES2_S2_EEvbT1_lPT2_S5_jNS_24const_host_device_scalarIT6_EEPKS3_PKS4_PKT3_PKT4_S8_PT5_21rocsparse_index_base_b,comdat
.Lfunc_end203:
	.size	_ZN9rocsparseL41csrmvn_lrb_medium_rows_warp_reduce_kernelILj256ELj64Elld21rocsparse_complex_numIdES2_S2_EEvbT1_lPT2_S5_jNS_24const_host_device_scalarIT6_EEPKS3_PKS4_PKT3_PKT4_S8_PT5_21rocsparse_index_base_b, .Lfunc_end203-_ZN9rocsparseL41csrmvn_lrb_medium_rows_warp_reduce_kernelILj256ELj64Elld21rocsparse_complex_numIdES2_S2_EEvbT1_lPT2_S5_jNS_24const_host_device_scalarIT6_EEPKS3_PKS4_PKT3_PKT4_S8_PT5_21rocsparse_index_base_b
                                        ; -- End function
	.section	.AMDGPU.csdata,"",@progbits
; Kernel info:
; codeLenInByte = 1256
; NumSgprs: 26
; NumVgprs: 38
; NumAgprs: 0
; TotalNumVgprs: 38
; ScratchSize: 0
; MemoryBound: 0
; FloatMode: 240
; IeeeMode: 1
; LDSByteSize: 4096 bytes/workgroup (compile time only)
; SGPRBlocks: 3
; VGPRBlocks: 4
; NumSGPRsForWavesPerEU: 26
; NumVGPRsForWavesPerEU: 38
; AccumOffset: 40
; Occupancy: 8
; WaveLimiterHint : 1
; COMPUTE_PGM_RSRC2:SCRATCH_EN: 0
; COMPUTE_PGM_RSRC2:USER_SGPR: 8
; COMPUTE_PGM_RSRC2:TRAP_HANDLER: 0
; COMPUTE_PGM_RSRC2:TGID_X_EN: 1
; COMPUTE_PGM_RSRC2:TGID_Y_EN: 0
; COMPUTE_PGM_RSRC2:TGID_Z_EN: 0
; COMPUTE_PGM_RSRC2:TIDIG_COMP_CNT: 2
; COMPUTE_PGM_RSRC3_GFX90A:ACCUM_OFFSET: 9
; COMPUTE_PGM_RSRC3_GFX90A:TG_SPLIT: 0
	.section	.text._ZN9rocsparseL29csrmvn_lrb_medium_rows_kernelILj256Elld21rocsparse_complex_numIdES2_S2_EEvbT0_PT1_S5_jNS_24const_host_device_scalarIT5_EEPKS3_PKS4_PKT2_PKT3_S8_PT4_21rocsparse_index_base_b,"axG",@progbits,_ZN9rocsparseL29csrmvn_lrb_medium_rows_kernelILj256Elld21rocsparse_complex_numIdES2_S2_EEvbT0_PT1_S5_jNS_24const_host_device_scalarIT5_EEPKS3_PKS4_PKT2_PKT3_S8_PT4_21rocsparse_index_base_b,comdat
	.globl	_ZN9rocsparseL29csrmvn_lrb_medium_rows_kernelILj256Elld21rocsparse_complex_numIdES2_S2_EEvbT0_PT1_S5_jNS_24const_host_device_scalarIT5_EEPKS3_PKS4_PKT2_PKT3_S8_PT4_21rocsparse_index_base_b ; -- Begin function _ZN9rocsparseL29csrmvn_lrb_medium_rows_kernelILj256Elld21rocsparse_complex_numIdES2_S2_EEvbT0_PT1_S5_jNS_24const_host_device_scalarIT5_EEPKS3_PKS4_PKT2_PKT3_S8_PT4_21rocsparse_index_base_b
	.p2align	8
	.type	_ZN9rocsparseL29csrmvn_lrb_medium_rows_kernelILj256Elld21rocsparse_complex_numIdES2_S2_EEvbT0_PT1_S5_jNS_24const_host_device_scalarIT5_EEPKS3_PKS4_PKT2_PKT3_S8_PT4_21rocsparse_index_base_b,@function
_ZN9rocsparseL29csrmvn_lrb_medium_rows_kernelILj256Elld21rocsparse_complex_numIdES2_S2_EEvbT0_PT1_S5_jNS_24const_host_device_scalarIT5_EEPKS3_PKS4_PKT2_PKT3_S8_PT4_21rocsparse_index_base_b: ; @_ZN9rocsparseL29csrmvn_lrb_medium_rows_kernelILj256Elld21rocsparse_complex_numIdES2_S2_EEvbT0_PT1_S5_jNS_24const_host_device_scalarIT5_EEPKS3_PKS4_PKT2_PKT3_S8_PT4_21rocsparse_index_base_b
; %bb.0:
	s_load_dwordx2 s[10:11], s[6:7], 0x70
	s_load_dwordx4 s[12:15], s[6:7], 0x28
	s_load_dwordx2 s[20:21], s[4:5], 0x4
	s_load_dwordx4 s[16:19], s[6:7], 0x58
	s_mov_b64 s[2:3], src_shared_base
	v_and_b32_e32 v22, 0x3ff, v0
	s_waitcnt lgkmcnt(0)
	s_bitcmp1_b32 s11, 0
	s_cselect_b64 s[0:1], -1, 0
	s_and_b64 vcc, s[0:1], exec
	s_cselect_b32 s2, s3, s13
	s_lshr_b32 s4, s20, 16
	s_mul_i32 s4, s4, s21
	v_mul_lo_u32 v1, s4, v22
	v_bfe_u32 v2, v0, 10, 10
	v_mad_u32_u24 v1, v2, s21, v1
	v_bfe_u32 v0, v0, 20, 10
	v_add_lshl_u32 v5, v1, v0, 3
	v_mov_b32_e32 v4, s12
	v_add_u32_e32 v6, 0x1800, v5
	v_pk_mov_b32 v[0:1], s[12:13], s[12:13] op_sel:[0,1]
	v_pk_mov_b32 v[2:3], s[16:17], s[16:17] op_sel:[0,1]
	ds_write2st64_b64 v5, v[2:3], v[0:1] offset0:8 offset1:12
	v_cndmask_b32_e64 v0, v4, v6, s[0:1]
	v_mov_b32_e32 v1, s2
	flat_load_dwordx2 v[8:9], v[0:1]
	s_xor_b64 s[4:5], s[0:1], -1
	v_add_u32_e32 v0, 0x1000, v5
	v_pk_mov_b32 v[10:11], s[14:15], s[14:15] op_sel:[0,1]
	s_cbranch_vccnz .LBB204_2
; %bb.1:
	v_pk_mov_b32 v[2:3], s[12:13], s[12:13] op_sel:[0,1]
	flat_load_dwordx2 v[10:11], v[2:3] offset:8
.LBB204_2:
	s_and_b64 s[12:13], s[0:1], exec
	s_cselect_b32 s2, s3, s17
	v_mov_b32_e32 v1, s16
	v_cndmask_b32_e64 v0, v1, v0, s[0:1]
	v_mov_b32_e32 v1, s2
	flat_load_dwordx2 v[4:5], v[0:1]
	s_andn2_b64 vcc, exec, s[4:5]
	v_pk_mov_b32 v[6:7], s[18:19], s[18:19] op_sel:[0,1]
	s_cbranch_vccnz .LBB204_4
; %bb.3:
	v_pk_mov_b32 v[0:1], s[16:17], s[16:17] op_sel:[0,1]
	flat_load_dwordx2 v[6:7], v[0:1] offset:8
.LBB204_4:
	s_waitcnt vmcnt(0) lgkmcnt(0)
	v_cmp_eq_f64_e32 vcc, 0, v[8:9]
	v_cmp_eq_f64_e64 s[0:1], 0, v[10:11]
	s_and_b64 s[4:5], vcc, s[0:1]
	s_mov_b64 s[0:1], -1
	s_and_saveexec_b64 s[2:3], s[4:5]
; %bb.5:
	v_cmp_neq_f64_e32 vcc, 1.0, v[4:5]
	v_cmp_neq_f64_e64 s[0:1], 0, v[6:7]
	s_or_b64 s[0:1], vcc, s[0:1]
	s_orn2_b64 s[0:1], s[0:1], exec
; %bb.6:
	s_or_b64 exec, exec, s[2:3]
	s_and_saveexec_b64 s[2:3], s[0:1]
	s_cbranch_execz .LBB204_31
; %bb.7:
	s_load_dword s16, s[6:7], 0x20
	s_load_dwordx4 s[0:3], s[6:7], 0x10
	s_mov_b32 s17, 0
	v_subrev_co_u32_e32 v0, vcc, s10, v22
	s_waitcnt lgkmcnt(0)
	s_lshl_b64 s[4:5], s[16:17], 3
	s_add_u32 s2, s2, s4
	s_addc_u32 s3, s3, s5
	s_load_dwordx2 s[2:3], s[2:3], 0x0
	s_ashr_i32 s9, s8, 31
	s_waitcnt lgkmcnt(0)
	s_lshl_b64 s[2:3], s[2:3], 3
	s_add_u32 s2, s0, s2
	s_addc_u32 s3, s1, s3
	s_lshl_b64 s[0:1], s[8:9], 3
	s_add_u32 s0, s2, s0
	s_addc_u32 s1, s3, s1
	s_load_dwordx2 s[4:5], s[0:1], 0x0
	s_load_dwordx2 s[8:9], s[6:7], 0x38
	s_load_dwordx2 s[2:3], s[6:7], 0x68
	s_waitcnt lgkmcnt(0)
	s_lshl_b64 s[0:1], s[4:5], 3
	s_add_u32 s0, s8, s0
	s_addc_u32 s1, s9, s1
	s_load_dwordx4 s[12:15], s[0:1], 0x0
	v_subb_co_u32_e64 v1, s[0:1], 0, 0, vcc
	s_waitcnt lgkmcnt(0)
	s_sub_u32 s8, s14, s10
	v_mov_b32_e32 v2, s13
	v_add_co_u32_e32 v12, vcc, s12, v0
	s_subb_u32 s9, s15, 0
	v_addc_co_u32_e32 v13, vcc, v2, v1, vcc
	v_pk_mov_b32 v[2:3], 0, 0
	v_cmp_gt_i64_e32 vcc, s[8:9], v[12:13]
	s_mov_b64 s[14:15], 0
	v_pk_mov_b32 v[0:1], v[2:3], v[2:3] op_sel:[0,1]
	s_and_saveexec_b64 s[12:13], vcc
	s_cbranch_execz .LBB204_11
; %bb.8:
	s_mov_b32 s0, s17
	s_load_dwordx2 s[16:17], s[6:7], 0x50
	s_load_dwordx4 s[20:23], s[6:7], 0x40
	v_lshlrev_b64 v[0:1], 3, v[12:13]
	s_mov_b32 s6, 0
	s_brev_b32 s7, 1
	v_mul_f64 v[14:15], v[10:11], s[6:7]
	s_waitcnt lgkmcnt(0)
	v_mov_b32_e32 v2, s23
	v_add_co_u32_e32 v18, vcc, s22, v0
	v_addc_co_u32_e32 v19, vcc, v2, v1, vcc
	v_mov_b32_e32 v2, s21
	v_add_co_u32_e32 v20, vcc, s20, v0
	v_addc_co_u32_e32 v21, vcc, v2, v1, vcc
	v_pk_mov_b32 v[2:3], 0, 0
	v_mul_f64 v[16:17], v[8:9], 0
	v_mov_b32_e32 v23, s0
	v_mov_b32_e32 v24, s17
	s_movk_i32 s6, 0x100
	v_pk_mov_b32 v[0:1], v[2:3], v[2:3] op_sel:[0,1]
.LBB204_9:                              ; =>This Inner Loop Header: Depth=1
	global_load_dwordx2 v[26:27], v[20:21], off
	global_load_dwordx2 v[30:31], v[18:19], off
	s_waitcnt vmcnt(1)
	v_subrev_co_u32_e32 v26, vcc, s10, v26
	v_subb_co_u32_e32 v27, vcc, v27, v23, vcc
	v_lshlrev_b64 v[26:27], 4, v[26:27]
	v_add_co_u32_e32 v26, vcc, s16, v26
	v_addc_co_u32_e32 v27, vcc, v24, v27, vcc
	global_load_dwordx4 v[26:29], v[26:27], off
	v_add_co_u32_e32 v12, vcc, s6, v12
	v_addc_co_u32_e32 v13, vcc, 0, v13, vcc
	v_add_co_u32_e32 v18, vcc, 0x800, v18
	v_addc_co_u32_e32 v19, vcc, 0, v19, vcc
	s_waitcnt vmcnt(1)
	v_fma_f64 v[32:33], v[8:9], v[30:31], v[14:15]
	v_fma_f64 v[30:31], v[10:11], v[30:31], v[16:17]
	v_add_co_u32_e32 v20, vcc, 0x800, v20
	v_cmp_le_i64_e64 s[0:1], s[8:9], v[12:13]
	v_addc_co_u32_e32 v21, vcc, 0, v21, vcc
	s_or_b64 s[14:15], s[0:1], s[14:15]
	s_waitcnt vmcnt(0)
	v_fmac_f64_e32 v[0:1], v[32:33], v[26:27]
	v_fmac_f64_e32 v[2:3], v[30:31], v[26:27]
	v_fma_f64 v[0:1], -v[30:31], v[28:29], v[0:1]
	v_fmac_f64_e32 v[2:3], v[32:33], v[28:29]
	s_andn2_b64 exec, exec, s[14:15]
	s_cbranch_execnz .LBB204_9
; %bb.10:
	s_or_b64 exec, exec, s[14:15]
.LBB204_11:
	s_or_b64 exec, exec, s[12:13]
	s_movk_i32 s0, 0x80
	v_lshlrev_b32_e32 v8, 4, v22
	v_cmp_gt_u32_e32 vcc, s0, v22
	ds_write_b128 v8, v[0:3]
	s_waitcnt lgkmcnt(0)
	s_barrier
	s_and_saveexec_b64 s[0:1], vcc
	s_cbranch_execz .LBB204_13
; %bb.12:
	ds_read_b128 v[0:3], v8 offset:2048
	ds_read_b128 v[10:13], v8
	s_waitcnt lgkmcnt(0)
	v_add_f64 v[0:1], v[0:1], v[10:11]
	v_add_f64 v[2:3], v[2:3], v[12:13]
	ds_write_b128 v8, v[0:3]
.LBB204_13:
	s_or_b64 exec, exec, s[0:1]
	v_cmp_gt_u32_e32 vcc, 64, v22
	s_waitcnt lgkmcnt(0)
	s_barrier
	s_and_saveexec_b64 s[0:1], vcc
	s_cbranch_execz .LBB204_15
; %bb.14:
	ds_read_b128 v[0:3], v8 offset:1024
	ds_read_b128 v[10:13], v8
	s_waitcnt lgkmcnt(0)
	v_add_f64 v[0:1], v[0:1], v[10:11]
	v_add_f64 v[2:3], v[2:3], v[12:13]
	ds_write_b128 v8, v[0:3]
.LBB204_15:
	s_or_b64 exec, exec, s[0:1]
	v_cmp_gt_u32_e32 vcc, 32, v22
	;; [unrolled: 14-line block ×6, first 2 shown]
	s_waitcnt lgkmcnt(0)
	s_barrier
	s_and_saveexec_b64 s[0:1], vcc
	s_cbranch_execz .LBB204_25
; %bb.24:
	ds_read_b128 v[0:3], v8
	ds_read_b128 v[10:13], v8 offset:32
	s_waitcnt lgkmcnt(0)
	v_add_f64 v[0:1], v[10:11], v[0:1]
	v_add_f64 v[2:3], v[12:13], v[2:3]
	ds_write_b128 v8, v[0:3]
.LBB204_25:
	s_or_b64 exec, exec, s[0:1]
	v_cmp_eq_u32_e32 vcc, 0, v22
	s_waitcnt lgkmcnt(0)
	s_barrier
	s_and_saveexec_b64 s[0:1], vcc
	s_cbranch_execz .LBB204_27
; %bb.26:
	v_mov_b32_e32 v12, 0
	ds_read_b128 v[0:3], v12
	ds_read_b128 v[8:11], v12 offset:16
	s_waitcnt lgkmcnt(0)
	v_add_f64 v[0:1], v[8:9], v[0:1]
	v_add_f64 v[2:3], v[10:11], v[2:3]
	ds_write_b128 v12, v[0:3]
.LBB204_27:
	s_or_b64 exec, exec, s[0:1]
	s_waitcnt lgkmcnt(0)
	s_barrier
	s_and_b64 exec, exec, vcc
	s_cbranch_execz .LBB204_31
; %bb.28:
	v_mov_b32_e32 v8, 0
	ds_read_b128 v[0:3], v8
	v_cmp_neq_f64_e32 vcc, 0, v[4:5]
	v_cmp_neq_f64_e64 s[0:1], 0, v[6:7]
	s_or_b64 s[6:7], vcc, s[0:1]
	s_and_saveexec_b64 s[0:1], s[6:7]
	s_cbranch_execz .LBB204_30
; %bb.29:
	s_lshl_b64 s[6:7], s[4:5], 4
	s_add_u32 s6, s2, s6
	s_addc_u32 s7, s3, s7
	s_load_dwordx4 s[8:11], s[6:7], 0x0
	s_waitcnt lgkmcnt(0)
	v_fmac_f64_e32 v[0:1], s[8:9], v[4:5]
	v_fmac_f64_e32 v[2:3], s[8:9], v[6:7]
	v_fma_f64 v[0:1], -v[6:7], s[10:11], v[0:1]
	v_fmac_f64_e32 v[2:3], s[10:11], v[4:5]
.LBB204_30:
	s_or_b64 exec, exec, s[0:1]
	s_lshl_b64 s[0:1], s[4:5], 4
	s_add_u32 s0, s2, s0
	s_addc_u32 s1, s3, s1
	s_waitcnt lgkmcnt(0)
	global_store_dwordx4 v8, v[0:3], s[0:1]
.LBB204_31:
	s_endpgm
	.section	.rodata,"a",@progbits
	.p2align	6, 0x0
	.amdhsa_kernel _ZN9rocsparseL29csrmvn_lrb_medium_rows_kernelILj256Elld21rocsparse_complex_numIdES2_S2_EEvbT0_PT1_S5_jNS_24const_host_device_scalarIT5_EEPKS3_PKS4_PKT2_PKT3_S8_PT4_21rocsparse_index_base_b
		.amdhsa_group_segment_fixed_size 8192
		.amdhsa_private_segment_fixed_size 0
		.amdhsa_kernarg_size 120
		.amdhsa_user_sgpr_count 8
		.amdhsa_user_sgpr_private_segment_buffer 1
		.amdhsa_user_sgpr_dispatch_ptr 1
		.amdhsa_user_sgpr_queue_ptr 0
		.amdhsa_user_sgpr_kernarg_segment_ptr 1
		.amdhsa_user_sgpr_dispatch_id 0
		.amdhsa_user_sgpr_flat_scratch_init 0
		.amdhsa_user_sgpr_kernarg_preload_length 0
		.amdhsa_user_sgpr_kernarg_preload_offset 0
		.amdhsa_user_sgpr_private_segment_size 0
		.amdhsa_uses_dynamic_stack 0
		.amdhsa_system_sgpr_private_segment_wavefront_offset 0
		.amdhsa_system_sgpr_workgroup_id_x 1
		.amdhsa_system_sgpr_workgroup_id_y 0
		.amdhsa_system_sgpr_workgroup_id_z 0
		.amdhsa_system_sgpr_workgroup_info 0
		.amdhsa_system_vgpr_workitem_id 2
		.amdhsa_next_free_vgpr 34
		.amdhsa_next_free_sgpr 24
		.amdhsa_accum_offset 36
		.amdhsa_reserve_vcc 1
		.amdhsa_reserve_flat_scratch 0
		.amdhsa_float_round_mode_32 0
		.amdhsa_float_round_mode_16_64 0
		.amdhsa_float_denorm_mode_32 3
		.amdhsa_float_denorm_mode_16_64 3
		.amdhsa_dx10_clamp 1
		.amdhsa_ieee_mode 1
		.amdhsa_fp16_overflow 0
		.amdhsa_tg_split 0
		.amdhsa_exception_fp_ieee_invalid_op 0
		.amdhsa_exception_fp_denorm_src 0
		.amdhsa_exception_fp_ieee_div_zero 0
		.amdhsa_exception_fp_ieee_overflow 0
		.amdhsa_exception_fp_ieee_underflow 0
		.amdhsa_exception_fp_ieee_inexact 0
		.amdhsa_exception_int_div_zero 0
	.end_amdhsa_kernel
	.section	.text._ZN9rocsparseL29csrmvn_lrb_medium_rows_kernelILj256Elld21rocsparse_complex_numIdES2_S2_EEvbT0_PT1_S5_jNS_24const_host_device_scalarIT5_EEPKS3_PKS4_PKT2_PKT3_S8_PT4_21rocsparse_index_base_b,"axG",@progbits,_ZN9rocsparseL29csrmvn_lrb_medium_rows_kernelILj256Elld21rocsparse_complex_numIdES2_S2_EEvbT0_PT1_S5_jNS_24const_host_device_scalarIT5_EEPKS3_PKS4_PKT2_PKT3_S8_PT4_21rocsparse_index_base_b,comdat
.Lfunc_end204:
	.size	_ZN9rocsparseL29csrmvn_lrb_medium_rows_kernelILj256Elld21rocsparse_complex_numIdES2_S2_EEvbT0_PT1_S5_jNS_24const_host_device_scalarIT5_EEPKS3_PKS4_PKT2_PKT3_S8_PT4_21rocsparse_index_base_b, .Lfunc_end204-_ZN9rocsparseL29csrmvn_lrb_medium_rows_kernelILj256Elld21rocsparse_complex_numIdES2_S2_EEvbT0_PT1_S5_jNS_24const_host_device_scalarIT5_EEPKS3_PKS4_PKT2_PKT3_S8_PT4_21rocsparse_index_base_b
                                        ; -- End function
	.section	.AMDGPU.csdata,"",@progbits
; Kernel info:
; codeLenInByte = 1480
; NumSgprs: 28
; NumVgprs: 34
; NumAgprs: 0
; TotalNumVgprs: 34
; ScratchSize: 0
; MemoryBound: 0
; FloatMode: 240
; IeeeMode: 1
; LDSByteSize: 8192 bytes/workgroup (compile time only)
; SGPRBlocks: 3
; VGPRBlocks: 4
; NumSGPRsForWavesPerEU: 28
; NumVGPRsForWavesPerEU: 34
; AccumOffset: 36
; Occupancy: 8
; WaveLimiterHint : 1
; COMPUTE_PGM_RSRC2:SCRATCH_EN: 0
; COMPUTE_PGM_RSRC2:USER_SGPR: 8
; COMPUTE_PGM_RSRC2:TRAP_HANDLER: 0
; COMPUTE_PGM_RSRC2:TGID_X_EN: 1
; COMPUTE_PGM_RSRC2:TGID_Y_EN: 0
; COMPUTE_PGM_RSRC2:TGID_Z_EN: 0
; COMPUTE_PGM_RSRC2:TIDIG_COMP_CNT: 2
; COMPUTE_PGM_RSRC3_GFX90A:ACCUM_OFFSET: 8
; COMPUTE_PGM_RSRC3_GFX90A:TG_SPLIT: 0
	.section	.text._ZN9rocsparseL27csrmvn_lrb_long_rows_kernelIlld21rocsparse_complex_numIdES2_S2_EEvbT_PjPT0_S6_jNS_24const_host_device_scalarIT4_EEPKS3_PKS5_PKT1_PKT2_S9_PT3_21rocsparse_index_base_b,"axG",@progbits,_ZN9rocsparseL27csrmvn_lrb_long_rows_kernelIlld21rocsparse_complex_numIdES2_S2_EEvbT_PjPT0_S6_jNS_24const_host_device_scalarIT4_EEPKS3_PKS5_PKT1_PKT2_S9_PT3_21rocsparse_index_base_b,comdat
	.globl	_ZN9rocsparseL27csrmvn_lrb_long_rows_kernelIlld21rocsparse_complex_numIdES2_S2_EEvbT_PjPT0_S6_jNS_24const_host_device_scalarIT4_EEPKS3_PKS5_PKT1_PKT2_S9_PT3_21rocsparse_index_base_b ; -- Begin function _ZN9rocsparseL27csrmvn_lrb_long_rows_kernelIlld21rocsparse_complex_numIdES2_S2_EEvbT_PjPT0_S6_jNS_24const_host_device_scalarIT4_EEPKS3_PKS5_PKT1_PKT2_S9_PT3_21rocsparse_index_base_b
	.p2align	8
	.type	_ZN9rocsparseL27csrmvn_lrb_long_rows_kernelIlld21rocsparse_complex_numIdES2_S2_EEvbT_PjPT0_S6_jNS_24const_host_device_scalarIT4_EEPKS3_PKS5_PKT1_PKT2_S9_PT3_21rocsparse_index_base_b,@function
_ZN9rocsparseL27csrmvn_lrb_long_rows_kernelIlld21rocsparse_complex_numIdES2_S2_EEvbT_PjPT0_S6_jNS_24const_host_device_scalarIT4_EEPKS3_PKS5_PKT1_PKT2_S9_PT3_21rocsparse_index_base_b: ; @_ZN9rocsparseL27csrmvn_lrb_long_rows_kernelIlld21rocsparse_complex_numIdES2_S2_EEvbT_PjPT0_S6_jNS_24const_host_device_scalarIT4_EEPKS3_PKS5_PKT1_PKT2_S9_PT3_21rocsparse_index_base_b
; %bb.0:
	s_load_dwordx2 s[20:21], s[6:7], 0x78
	s_load_dwordx4 s[12:15], s[6:7], 0x30
	s_load_dwordx2 s[10:11], s[4:5], 0x4
	s_load_dwordx4 s[16:19], s[6:7], 0x60
	s_mov_b64 s[2:3], src_shared_base
	v_and_b32_e32 v18, 0x3ff, v0
	s_waitcnt lgkmcnt(0)
	s_bitcmp1_b32 s21, 0
	s_cselect_b64 s[0:1], -1, 0
	s_and_b64 vcc, s[0:1], exec
	s_cselect_b32 s2, s3, s13
	s_lshr_b32 s4, s10, 16
	s_mul_i32 s4, s4, s11
	v_mul_lo_u32 v1, s4, v18
	v_bfe_u32 v2, v0, 10, 10
	v_mad_u32_u24 v1, v2, s11, v1
	v_bfe_u32 v0, v0, 20, 10
	v_add_lshl_u32 v6, v1, v0, 3
	v_mov_b32_e32 v4, s12
	v_add_u32_e32 v5, 0x1800, v6
	v_pk_mov_b32 v[0:1], s[12:13], s[12:13] op_sel:[0,1]
	v_pk_mov_b32 v[2:3], s[16:17], s[16:17] op_sel:[0,1]
	ds_write2st64_b64 v6, v[2:3], v[0:1] offset0:8 offset1:12
	v_cndmask_b32_e64 v0, v4, v5, s[0:1]
	v_mov_b32_e32 v1, s2
	flat_load_dwordx2 v[4:5], v[0:1]
	s_xor_b64 s[4:5], s[0:1], -1
	v_add_u32_e32 v0, 0x1000, v6
	v_pk_mov_b32 v[6:7], s[14:15], s[14:15] op_sel:[0,1]
	s_cbranch_vccnz .LBB205_2
; %bb.1:
	v_pk_mov_b32 v[2:3], s[12:13], s[12:13] op_sel:[0,1]
	flat_load_dwordx2 v[6:7], v[2:3] offset:8
.LBB205_2:
	s_and_b64 s[10:11], s[0:1], exec
	s_cselect_b32 s2, s3, s17
	v_mov_b32_e32 v1, s16
	v_cndmask_b32_e64 v0, v1, v0, s[0:1]
	v_mov_b32_e32 v1, s2
	flat_load_dwordx2 v[10:11], v[0:1]
	s_andn2_b64 vcc, exec, s[4:5]
	v_pk_mov_b32 v[8:9], s[18:19], s[18:19] op_sel:[0,1]
	s_cbranch_vccnz .LBB205_4
; %bb.3:
	v_pk_mov_b32 v[0:1], s[16:17], s[16:17] op_sel:[0,1]
	flat_load_dwordx2 v[8:9], v[0:1] offset:8
.LBB205_4:
	s_waitcnt vmcnt(0) lgkmcnt(0)
	v_cmp_eq_f64_e32 vcc, 0, v[4:5]
	v_cmp_eq_f64_e64 s[0:1], 0, v[6:7]
	s_and_b64 s[4:5], vcc, s[0:1]
	s_mov_b64 s[0:1], -1
	s_and_saveexec_b64 s[2:3], s[4:5]
; %bb.5:
	v_cmp_neq_f64_e32 vcc, 1.0, v[10:11]
	v_cmp_neq_f64_e64 s[0:1], 0, v[8:9]
	s_or_b64 s[0:1], vcc, s[0:1]
	s_orn2_b64 s[0:1], s[0:1], exec
; %bb.6:
	s_or_b64 exec, exec, s[2:3]
	s_and_saveexec_b64 s[2:3], s[0:1]
	s_cbranch_execz .LBB205_44
; %bb.7:
	s_load_dword s0, s[6:7], 0x28
	s_load_dwordx2 s[2:3], s[6:7], 0x20
	s_mov_b32 s27, 0
	s_mov_b32 s1, s27
	s_load_dwordx4 s[12:15], s[6:7], 0x10
	s_waitcnt lgkmcnt(0)
	s_lshl_b64 s[4:5], s[0:1], 3
	s_add_u32 s2, s2, s4
	s_addc_u32 s3, s3, s5
	s_lshl_b32 s0, -1, s0
	s_not_b32 s0, s0
	s_mul_hi_u32 s0, s0, 0x2aaaaaab
	s_lshr_b32 s0, s0, 7
	s_add_i32 s4, s0, 1
	v_cvt_f32_u32_e32 v0, s4
	s_not_b32 s0, s0
	s_load_dwordx2 s[2:3], s[2:3], 0x0
	v_rcp_iflag_f32_e32 v0, v0
	v_mul_f32_e32 v0, 0x4f7ffffe, v0
	v_cvt_u32_f32_e32 v0, v0
	v_readfirstlane_b32 s5, v0
	s_mul_i32 s0, s0, s5
	s_mul_hi_u32 s0, s5, s0
	s_add_i32 s5, s5, s0
	s_mul_hi_u32 s0, s8, s5
	s_mul_i32 s5, s0, s4
	s_sub_i32 s5, s8, s5
	s_add_i32 s9, s0, 1
	s_sub_i32 s10, s5, s4
	s_cmp_ge_u32 s5, s4
	s_cselect_b32 s0, s9, s0
	s_cselect_b32 s5, s10, s5
	s_add_i32 s9, s0, 1
	s_cmp_ge_u32 s5, s4
	s_cselect_b32 s0, s9, s0
	s_mul_i32 s4, s0, s4
	s_waitcnt lgkmcnt(0)
	s_lshl_b64 s[2:3], s[2:3], 3
	s_sub_i32 s21, s8, s4
	s_add_u32 s2, s14, s2
	s_addc_u32 s3, s15, s3
	s_lshl_b64 s[0:1], s[0:1], 3
	s_add_u32 s0, s2, s0
	s_addc_u32 s1, s3, s1
	s_load_dwordx2 s[14:15], s[0:1], 0x0
	s_load_dwordx2 s[2:3], s[6:7], 0x40
	;; [unrolled: 1-line block ×3, first 2 shown]
	v_or_b32_e32 v0, s21, v18
	v_cmp_eq_u32_e32 vcc, 0, v0
	s_waitcnt lgkmcnt(0)
	s_lshl_b64 s[0:1], s[14:15], 3
	s_add_u32 s0, s2, s0
	s_addc_u32 s1, s3, s1
	s_ashr_i32 s9, s8, 31
	s_sub_u32 s18, s8, s21
	s_subb_u32 s19, s9, 0
	s_lshl_b64 s[8:9], s[8:9], 2
	s_add_u32 s16, s12, s8
	s_addc_u32 s17, s13, s9
	s_load_dwordx4 s[0:3], s[0:1], 0x0
	v_pk_mov_b32 v[0:1], 0, 0
	s_load_dword s26, s[16:17], 0x0
	v_pk_mov_b32 v[2:3], v[0:1], v[0:1] op_sel:[0,1]
	s_and_saveexec_b64 s[22:23], vcc
	s_cbranch_execz .LBB205_11
; %bb.8:
	s_lshl_b64 s[8:9], s[14:15], 4
	s_add_u32 s8, s4, s8
	s_addc_u32 s9, s5, s9
	s_load_dwordx4 s[8:11], s[8:9], 0x0
	s_mov_b64 s[24:25], exec
	v_mbcnt_lo_u32_b32 v12, s24, 0
	v_add_f64 v[10:11], v[10:11], -1.0
	v_mbcnt_hi_u32_b32 v12, s25, v12
	s_waitcnt lgkmcnt(0)
	v_mul_f64 v[0:1], s[10:11], -v[8:9]
	v_mul_f64 v[2:3], v[10:11], s[10:11]
	v_cmp_eq_u32_e32 vcc, 0, v12
	s_waitcnt vmcnt(0) expcnt(0) lgkmcnt(0)
	s_and_saveexec_b64 s[10:11], vcc
	s_cbranch_execz .LBB205_10
; %bb.9:
	s_lshl_b64 s[28:29], s[18:19], 2
	s_add_u32 s28, s12, s28
	s_addc_u32 s29, s13, s29
	s_bcnt1_i32_b64 s24, s[24:25]
	s_and_b32 s24, s24, 1
	v_mov_b32_e32 v12, 0
	v_mov_b32_e32 v13, s24
	global_atomic_xor v12, v13, s[28:29]
.LBB205_10:
	s_or_b64 exec, exec, s[10:11]
	v_fmac_f64_e32 v[0:1], s[8:9], v[10:11]
	v_fmac_f64_e32 v[2:3], s[8:9], v[8:9]
.LBB205_11:
	s_or_b64 exec, exec, s[22:23]
	s_waitcnt lgkmcnt(0)
	s_sub_u32 s0, s0, s20
	s_mul_i32 s9, s21, 0x300
	s_subb_u32 s1, s1, 0
	s_mul_hi_u32 s8, s21, 0x300
	s_add_u32 s10, s0, s9
	s_addc_u32 s11, s1, s8
	s_sub_u32 s0, s2, s20
	s_subb_u32 s1, s3, 0
	s_add_u32 s2, s10, 0x300
	s_addc_u32 s3, s11, 0
	v_pk_mov_b32 v[8:9], s[0:1], s[0:1] op_sel:[0,1]
	v_cmp_lt_i64_e32 vcc, s[2:3], v[8:9]
	s_and_b64 s[8:9], vcc, exec
	v_mov_b32_e32 v9, s11
	v_add_co_u32_e32 v8, vcc, s10, v18
	s_cselect_b32 s3, s3, s1
	s_cselect_b32 s2, s2, s0
	v_addc_co_u32_e32 v9, vcc, 0, v9, vcc
	v_cmp_gt_i64_e32 vcc, s[2:3], v[8:9]
	s_and_saveexec_b64 s[8:9], vcc
	s_cbranch_execz .LBB205_15
; %bb.12:
	s_load_dwordx2 s[10:11], s[6:7], 0x58
	s_load_dwordx4 s[28:31], s[6:7], 0x48
	v_lshlrev_b64 v[16:17], 3, v[8:9]
	s_mov_b32 s0, 0
	s_brev_b32 s1, 1
	v_mul_f64 v[10:11], v[6:7], s[0:1]
	s_waitcnt lgkmcnt(0)
	v_mov_b32_e32 v15, s31
	v_add_co_u32_e32 v14, vcc, s30, v16
	v_addc_co_u32_e32 v15, vcc, v15, v17, vcc
	v_mov_b32_e32 v19, s29
	v_add_co_u32_e32 v16, vcc, s28, v16
	s_mov_b64 s[6:7], 0
	v_mul_f64 v[12:13], v[4:5], 0
	v_addc_co_u32_e32 v17, vcc, v19, v17, vcc
	v_mov_b32_e32 v19, s27
	v_mov_b32_e32 v20, s11
	s_movk_i32 s11, 0x100
.LBB205_13:                             ; =>This Inner Loop Header: Depth=1
	global_load_dwordx2 v[22:23], v[16:17], off
	global_load_dwordx2 v[26:27], v[14:15], off
	s_waitcnt vmcnt(1)
	v_subrev_co_u32_e32 v22, vcc, s20, v22
	v_subb_co_u32_e32 v23, vcc, v23, v19, vcc
	v_lshlrev_b64 v[22:23], 4, v[22:23]
	v_add_co_u32_e32 v22, vcc, s10, v22
	v_addc_co_u32_e32 v23, vcc, v20, v23, vcc
	global_load_dwordx4 v[22:25], v[22:23], off
	v_add_co_u32_e32 v8, vcc, s11, v8
	v_addc_co_u32_e32 v9, vcc, 0, v9, vcc
	v_add_co_u32_e32 v14, vcc, 0x800, v14
	v_addc_co_u32_e32 v15, vcc, 0, v15, vcc
	s_waitcnt vmcnt(1)
	v_fma_f64 v[28:29], v[4:5], v[26:27], v[10:11]
	v_fma_f64 v[26:27], v[6:7], v[26:27], v[12:13]
	v_add_co_u32_e32 v16, vcc, 0x800, v16
	v_cmp_le_i64_e64 s[0:1], s[2:3], v[8:9]
	v_addc_co_u32_e32 v17, vcc, 0, v17, vcc
	s_or_b64 s[6:7], s[0:1], s[6:7]
	s_waitcnt vmcnt(0)
	v_fmac_f64_e32 v[0:1], v[28:29], v[22:23]
	v_fmac_f64_e32 v[2:3], v[26:27], v[22:23]
	v_fma_f64 v[0:1], -v[26:27], v[24:25], v[0:1]
	v_fmac_f64_e32 v[2:3], v[28:29], v[24:25]
	s_andn2_b64 exec, exec, s[6:7]
	s_cbranch_execnz .LBB205_13
; %bb.14:
	s_or_b64 exec, exec, s[6:7]
.LBB205_15:
	s_or_b64 exec, exec, s[8:9]
	s_movk_i32 s0, 0x80
	v_lshlrev_b32_e32 v4, 4, v18
	v_cmp_gt_u32_e32 vcc, s0, v18
	ds_write_b128 v4, v[0:3]
	s_waitcnt lgkmcnt(0)
	s_barrier
	s_and_saveexec_b64 s[0:1], vcc
	s_cbranch_execz .LBB205_17
; %bb.16:
	ds_read_b128 v[0:3], v4 offset:2048
	ds_read_b128 v[6:9], v4
	s_waitcnt lgkmcnt(0)
	v_add_f64 v[0:1], v[0:1], v[6:7]
	v_add_f64 v[2:3], v[2:3], v[8:9]
	ds_write_b128 v4, v[0:3]
.LBB205_17:
	s_or_b64 exec, exec, s[0:1]
	v_cmp_gt_u32_e32 vcc, 64, v18
	s_waitcnt lgkmcnt(0)
	s_barrier
	s_and_saveexec_b64 s[0:1], vcc
	s_cbranch_execz .LBB205_19
; %bb.18:
	ds_read_b128 v[0:3], v4 offset:1024
	ds_read_b128 v[6:9], v4
	s_waitcnt lgkmcnt(0)
	v_add_f64 v[0:1], v[0:1], v[6:7]
	v_add_f64 v[2:3], v[2:3], v[8:9]
	ds_write_b128 v4, v[0:3]
.LBB205_19:
	s_or_b64 exec, exec, s[0:1]
	v_cmp_gt_u32_e32 vcc, 32, v18
	s_waitcnt lgkmcnt(0)
	s_barrier
	s_and_saveexec_b64 s[0:1], vcc
	s_cbranch_execz .LBB205_21
; %bb.20:
	ds_read_b128 v[0:3], v4 offset:512
	ds_read_b128 v[6:9], v4
	s_waitcnt lgkmcnt(0)
	v_add_f64 v[0:1], v[0:1], v[6:7]
	v_add_f64 v[2:3], v[2:3], v[8:9]
	ds_write_b128 v4, v[0:3]
.LBB205_21:
	s_or_b64 exec, exec, s[0:1]
	v_cmp_gt_u32_e32 vcc, 16, v18
	s_waitcnt lgkmcnt(0)
	s_barrier
	s_and_saveexec_b64 s[0:1], vcc
	s_cbranch_execz .LBB205_23
; %bb.22:
	ds_read_b128 v[0:3], v4 offset:256
	ds_read_b128 v[6:9], v4
	s_waitcnt lgkmcnt(0)
	v_add_f64 v[0:1], v[0:1], v[6:7]
	v_add_f64 v[2:3], v[2:3], v[8:9]
	ds_write_b128 v4, v[0:3]
.LBB205_23:
	s_or_b64 exec, exec, s[0:1]
	v_cmp_gt_u32_e32 vcc, 8, v18
	s_waitcnt lgkmcnt(0)
	s_barrier
	s_and_saveexec_b64 s[0:1], vcc
	s_cbranch_execz .LBB205_25
; %bb.24:
	ds_read_b128 v[0:3], v4 offset:128
	ds_read_b128 v[6:9], v4
	s_waitcnt lgkmcnt(0)
	v_add_f64 v[0:1], v[0:1], v[6:7]
	v_add_f64 v[2:3], v[2:3], v[8:9]
	ds_write_b128 v4, v[0:3]
.LBB205_25:
	s_or_b64 exec, exec, s[0:1]
	v_cmp_gt_u32_e32 vcc, 4, v18
	s_waitcnt lgkmcnt(0)
	s_barrier
	s_and_saveexec_b64 s[0:1], vcc
	s_cbranch_execz .LBB205_27
; %bb.26:
	ds_read_b128 v[0:3], v4 offset:64
	ds_read_b128 v[6:9], v4
	s_waitcnt lgkmcnt(0)
	v_add_f64 v[0:1], v[0:1], v[6:7]
	v_add_f64 v[2:3], v[2:3], v[8:9]
	ds_write_b128 v4, v[0:3]
.LBB205_27:
	s_or_b64 exec, exec, s[0:1]
	v_cmp_gt_u32_e32 vcc, 2, v18
	s_waitcnt lgkmcnt(0)
	s_barrier
	s_and_saveexec_b64 s[0:1], vcc
	s_cbranch_execz .LBB205_29
; %bb.28:
	ds_read_b128 v[0:3], v4
	ds_read_b128 v[6:9], v4 offset:32
	s_waitcnt lgkmcnt(0)
	v_add_f64 v[0:1], v[6:7], v[0:1]
	v_add_f64 v[2:3], v[8:9], v[2:3]
	ds_write_b128 v4, v[0:3]
.LBB205_29:
	s_or_b64 exec, exec, s[0:1]
	v_cmp_eq_u32_e32 vcc, 0, v18
	s_waitcnt lgkmcnt(0)
	s_barrier
	s_and_saveexec_b64 s[0:1], vcc
	s_cbranch_execz .LBB205_31
; %bb.30:
	v_mov_b32_e32 v8, 0
	ds_read_b128 v[0:3], v8
	ds_read_b128 v[4:7], v8 offset:16
	s_waitcnt lgkmcnt(0)
	v_add_f64 v[0:1], v[4:5], v[0:1]
	v_add_f64 v[2:3], v[6:7], v[2:3]
	ds_write_b128 v8, v[0:3]
.LBB205_31:
	s_or_b64 exec, exec, s[0:1]
	s_waitcnt lgkmcnt(0)
	s_barrier
	s_and_b64 exec, exec, vcc
	s_cbranch_execz .LBB205_44
; %bb.32:
	s_cmp_eq_u32 s21, 0
	s_cbranch_scc1 .LBB205_38
; %bb.33:
	s_lshl_b64 s[0:1], s[18:19], 2
	s_add_u32 s0, s12, s0
	s_addc_u32 s1, s13, s1
	v_mov_b32_e32 v0, 0
	s_branch .LBB205_35
.LBB205_34:                             ;   in Loop: Header=BB205_35 Depth=1
	s_or_b64 exec, exec, s[2:3]
	s_waitcnt vmcnt(0)
	v_readfirstlane_b32 s2, v1
	s_cmp_eq_u32 s2, s26
	s_cbranch_scc0 .LBB205_37
.LBB205_35:                             ; =>This Inner Loop Header: Depth=1
	v_mbcnt_lo_u32_b32 v1, exec_lo, 0
	v_mbcnt_hi_u32_b32 v1, exec_hi, v1
	v_cmp_eq_u32_e32 vcc, 0, v1
                                        ; implicit-def: $vgpr1
	s_and_saveexec_b64 s[2:3], vcc
	s_cbranch_execz .LBB205_34
; %bb.36:                               ;   in Loop: Header=BB205_35 Depth=1
	global_load_dword v1, v0, s[0:1] glc
	s_branch .LBB205_34
.LBB205_37:
	v_mov_b32_e32 v0, 0
	global_load_dword v1, v0, s[16:17]
	s_waitcnt vmcnt(0)
	v_xor_b32_e32 v1, 1, v1
	global_store_dword v0, v1, s[16:17]
.LBB205_38:
	v_mov_b32_e32 v8, 0
	ds_read_b128 v[0:3], v8
	s_mov_b64 s[6:7], exec
	s_lshl_b64 s[0:1], s[14:15], 4
	v_mbcnt_lo_u32_b32 v4, s6, 0
	s_add_u32 s0, s4, s0
	v_mbcnt_hi_u32_b32 v4, s7, v4
	s_addc_u32 s1, s5, s1
	v_cmp_eq_u32_e32 vcc, 0, v4
	s_and_saveexec_b64 s[2:3], vcc
	s_cbranch_execz .LBB205_41
; %bb.39:
	global_load_dwordx2 v[6:7], v8, s[0:1]
	s_bcnt1_i32_b64 s4, s[6:7]
	v_cvt_f64_u32_e32 v[4:5], s4
	s_waitcnt lgkmcnt(0)
	v_mul_f64 v[0:1], v[0:1], v[4:5]
	s_mov_b64 s[4:5], 0
.LBB205_40:                             ; =>This Inner Loop Header: Depth=1
	s_waitcnt vmcnt(0)
	v_add_f64 v[4:5], v[6:7], v[0:1]
	global_atomic_cmpswap_x2 v[4:5], v8, v[4:7], s[0:1] glc
	s_waitcnt vmcnt(0)
	v_cmp_eq_u64_e32 vcc, v[4:5], v[6:7]
	s_or_b64 s[4:5], vcc, s[4:5]
	v_pk_mov_b32 v[6:7], v[4:5], v[4:5] op_sel:[0,1]
	s_andn2_b64 exec, exec, s[4:5]
	s_cbranch_execnz .LBB205_40
.LBB205_41:
	s_or_b64 exec, exec, s[2:3]
	s_mov_b64 s[2:3], exec
	s_waitcnt lgkmcnt(0)
	v_mbcnt_lo_u32_b32 v0, s2, 0
	v_mbcnt_hi_u32_b32 v0, s3, v0
	v_cmp_eq_u32_e32 vcc, 0, v0
	s_and_b64 s[4:5], exec, vcc
	s_mov_b64 exec, s[4:5]
	s_cbranch_execz .LBB205_44
; %bb.42:
	v_mov_b32_e32 v6, 0
	global_load_dwordx2 v[4:5], v6, s[0:1] offset:8
	s_bcnt1_i32_b64 s2, s[2:3]
	v_cvt_f64_u32_e32 v[0:1], s2
	v_mul_f64 v[0:1], v[2:3], v[0:1]
	s_mov_b64 s[2:3], 0
.LBB205_43:                             ; =>This Inner Loop Header: Depth=1
	s_waitcnt vmcnt(0)
	v_add_f64 v[2:3], v[4:5], v[0:1]
	global_atomic_cmpswap_x2 v[2:3], v6, v[2:5], s[0:1] offset:8 glc
	s_waitcnt vmcnt(0)
	v_cmp_eq_u64_e32 vcc, v[2:3], v[4:5]
	s_or_b64 s[2:3], vcc, s[2:3]
	v_pk_mov_b32 v[4:5], v[2:3], v[2:3] op_sel:[0,1]
	s_andn2_b64 exec, exec, s[2:3]
	s_cbranch_execnz .LBB205_43
.LBB205_44:
	s_endpgm
	.section	.rodata,"a",@progbits
	.p2align	6, 0x0
	.amdhsa_kernel _ZN9rocsparseL27csrmvn_lrb_long_rows_kernelIlld21rocsparse_complex_numIdES2_S2_EEvbT_PjPT0_S6_jNS_24const_host_device_scalarIT4_EEPKS3_PKS5_PKT1_PKT2_S9_PT3_21rocsparse_index_base_b
		.amdhsa_group_segment_fixed_size 8192
		.amdhsa_private_segment_fixed_size 0
		.amdhsa_kernarg_size 128
		.amdhsa_user_sgpr_count 8
		.amdhsa_user_sgpr_private_segment_buffer 1
		.amdhsa_user_sgpr_dispatch_ptr 1
		.amdhsa_user_sgpr_queue_ptr 0
		.amdhsa_user_sgpr_kernarg_segment_ptr 1
		.amdhsa_user_sgpr_dispatch_id 0
		.amdhsa_user_sgpr_flat_scratch_init 0
		.amdhsa_user_sgpr_kernarg_preload_length 0
		.amdhsa_user_sgpr_kernarg_preload_offset 0
		.amdhsa_user_sgpr_private_segment_size 0
		.amdhsa_uses_dynamic_stack 0
		.amdhsa_system_sgpr_private_segment_wavefront_offset 0
		.amdhsa_system_sgpr_workgroup_id_x 1
		.amdhsa_system_sgpr_workgroup_id_y 0
		.amdhsa_system_sgpr_workgroup_id_z 0
		.amdhsa_system_sgpr_workgroup_info 0
		.amdhsa_system_vgpr_workitem_id 2
		.amdhsa_next_free_vgpr 30
		.amdhsa_next_free_sgpr 32
		.amdhsa_accum_offset 32
		.amdhsa_reserve_vcc 1
		.amdhsa_reserve_flat_scratch 0
		.amdhsa_float_round_mode_32 0
		.amdhsa_float_round_mode_16_64 0
		.amdhsa_float_denorm_mode_32 3
		.amdhsa_float_denorm_mode_16_64 3
		.amdhsa_dx10_clamp 1
		.amdhsa_ieee_mode 1
		.amdhsa_fp16_overflow 0
		.amdhsa_tg_split 0
		.amdhsa_exception_fp_ieee_invalid_op 0
		.amdhsa_exception_fp_denorm_src 0
		.amdhsa_exception_fp_ieee_div_zero 0
		.amdhsa_exception_fp_ieee_overflow 0
		.amdhsa_exception_fp_ieee_underflow 0
		.amdhsa_exception_fp_ieee_inexact 0
		.amdhsa_exception_int_div_zero 0
	.end_amdhsa_kernel
	.section	.text._ZN9rocsparseL27csrmvn_lrb_long_rows_kernelIlld21rocsparse_complex_numIdES2_S2_EEvbT_PjPT0_S6_jNS_24const_host_device_scalarIT4_EEPKS3_PKS5_PKT1_PKT2_S9_PT3_21rocsparse_index_base_b,"axG",@progbits,_ZN9rocsparseL27csrmvn_lrb_long_rows_kernelIlld21rocsparse_complex_numIdES2_S2_EEvbT_PjPT0_S6_jNS_24const_host_device_scalarIT4_EEPKS3_PKS5_PKT1_PKT2_S9_PT3_21rocsparse_index_base_b,comdat
.Lfunc_end205:
	.size	_ZN9rocsparseL27csrmvn_lrb_long_rows_kernelIlld21rocsparse_complex_numIdES2_S2_EEvbT_PjPT0_S6_jNS_24const_host_device_scalarIT4_EEPKS3_PKS5_PKT1_PKT2_S9_PT3_21rocsparse_index_base_b, .Lfunc_end205-_ZN9rocsparseL27csrmvn_lrb_long_rows_kernelIlld21rocsparse_complex_numIdES2_S2_EEvbT_PjPT0_S6_jNS_24const_host_device_scalarIT4_EEPKS3_PKS5_PKT1_PKT2_S9_PT3_21rocsparse_index_base_b
                                        ; -- End function
	.section	.AMDGPU.csdata,"",@progbits
; Kernel info:
; codeLenInByte = 2092
; NumSgprs: 36
; NumVgprs: 30
; NumAgprs: 0
; TotalNumVgprs: 30
; ScratchSize: 0
; MemoryBound: 0
; FloatMode: 240
; IeeeMode: 1
; LDSByteSize: 8192 bytes/workgroup (compile time only)
; SGPRBlocks: 4
; VGPRBlocks: 3
; NumSGPRsForWavesPerEU: 36
; NumVGPRsForWavesPerEU: 30
; AccumOffset: 32
; Occupancy: 8
; WaveLimiterHint : 1
; COMPUTE_PGM_RSRC2:SCRATCH_EN: 0
; COMPUTE_PGM_RSRC2:USER_SGPR: 8
; COMPUTE_PGM_RSRC2:TRAP_HANDLER: 0
; COMPUTE_PGM_RSRC2:TGID_X_EN: 1
; COMPUTE_PGM_RSRC2:TGID_Y_EN: 0
; COMPUTE_PGM_RSRC2:TGID_Z_EN: 0
; COMPUTE_PGM_RSRC2:TIDIG_COMP_CNT: 2
; COMPUTE_PGM_RSRC3_GFX90A:ACCUM_OFFSET: 7
; COMPUTE_PGM_RSRC3_GFX90A:TG_SPLIT: 0
	.section	.text._ZN9rocsparseL28csrmvn_lrb_short_rows_kernelIii21rocsparse_complex_numIfES1_IdES3_S3_EEvbT_PT0_S6_jNS_24const_host_device_scalarIT4_EEPKS4_PKS5_PKT1_PKT2_S9_PT3_21rocsparse_index_base_b,"axG",@progbits,_ZN9rocsparseL28csrmvn_lrb_short_rows_kernelIii21rocsparse_complex_numIfES1_IdES3_S3_EEvbT_PT0_S6_jNS_24const_host_device_scalarIT4_EEPKS4_PKS5_PKT1_PKT2_S9_PT3_21rocsparse_index_base_b,comdat
	.globl	_ZN9rocsparseL28csrmvn_lrb_short_rows_kernelIii21rocsparse_complex_numIfES1_IdES3_S3_EEvbT_PT0_S6_jNS_24const_host_device_scalarIT4_EEPKS4_PKS5_PKT1_PKT2_S9_PT3_21rocsparse_index_base_b ; -- Begin function _ZN9rocsparseL28csrmvn_lrb_short_rows_kernelIii21rocsparse_complex_numIfES1_IdES3_S3_EEvbT_PT0_S6_jNS_24const_host_device_scalarIT4_EEPKS4_PKS5_PKT1_PKT2_S9_PT3_21rocsparse_index_base_b
	.p2align	8
	.type	_ZN9rocsparseL28csrmvn_lrb_short_rows_kernelIii21rocsparse_complex_numIfES1_IdES3_S3_EEvbT_PT0_S6_jNS_24const_host_device_scalarIT4_EEPKS4_PKS5_PKT1_PKT2_S9_PT3_21rocsparse_index_base_b,@function
_ZN9rocsparseL28csrmvn_lrb_short_rows_kernelIii21rocsparse_complex_numIfES1_IdES3_S3_EEvbT_PT0_S6_jNS_24const_host_device_scalarIT4_EEPKS4_PKS5_PKT1_PKT2_S9_PT3_21rocsparse_index_base_b: ; @_ZN9rocsparseL28csrmvn_lrb_short_rows_kernelIii21rocsparse_complex_numIfES1_IdES3_S3_EEvbT_PT0_S6_jNS_24const_host_device_scalarIT4_EEPKS4_PKS5_PKT1_PKT2_S9_PT3_21rocsparse_index_base_b
; %bb.0:
	s_add_u32 flat_scratch_lo, s6, s9
	s_load_dwordx2 s[20:21], s[4:5], 0x68
	s_load_dwordx4 s[16:19], s[4:5], 0x20
	s_addc_u32 flat_scratch_hi, s7, 0
	s_add_u32 s0, s0, s9
	s_load_dwordx4 s[12:15], s[4:5], 0x50
	s_addc_u32 s1, s1, 0
	s_waitcnt lgkmcnt(0)
	s_bitcmp1_b32 s21, 0
	v_mov_b32_e32 v1, 0
	v_mov_b32_e32 v3, s16
	s_cselect_b64 s[6:7], -1, 0
	v_cndmask_b32_e64 v2, v3, v1, s[6:7]
	v_mov_b32_e32 v1, s17
	s_mov_b64 s[10:11], src_private_base
	s_and_b64 vcc, s[6:7], exec
	buffer_store_dword v1, off, s[0:3], 0 offset:4
	buffer_store_dword v3, off, s[0:3], 0
	v_mov_b32_e32 v1, s13
	s_cselect_b32 s9, s11, s17
	buffer_store_dword v1, off, s[0:3], 0 offset:12
	v_mov_b32_e32 v1, s12
	buffer_store_dword v1, off, s[0:3], 0 offset:8
	v_mov_b32_e32 v3, s9
	flat_load_dwordx2 v[2:3], v[2:3]
	s_xor_b64 s[22:23], s[6:7], -1
	v_pk_mov_b32 v[8:9], s[18:19], s[18:19] op_sel:[0,1]
	s_cbranch_vccnz .LBB206_2
; %bb.1:
	v_pk_mov_b32 v[4:5], s[16:17], s[16:17] op_sel:[0,1]
	flat_load_dwordx2 v[8:9], v[4:5] offset:8
.LBB206_2:
	s_and_b64 s[16:17], s[6:7], exec
	s_cselect_b32 s9, s11, s13
	v_mov_b32_e32 v1, 8
	v_mov_b32_e32 v4, s12
	v_cndmask_b32_e64 v4, v4, v1, s[6:7]
	v_mov_b32_e32 v5, s9
	flat_load_dwordx2 v[4:5], v[4:5]
	s_andn2_b64 vcc, exec, s[22:23]
	v_pk_mov_b32 v[6:7], s[14:15], s[14:15] op_sel:[0,1]
	s_cbranch_vccnz .LBB206_4
; %bb.3:
	v_pk_mov_b32 v[6:7], s[12:13], s[12:13] op_sel:[0,1]
	flat_load_dwordx2 v[6:7], v[6:7] offset:8
.LBB206_4:
	s_waitcnt vmcnt(0) lgkmcnt(0)
	v_cmp_eq_f64_e32 vcc, 0, v[2:3]
	v_cmp_eq_f64_e64 s[6:7], 0, v[8:9]
	s_and_b64 s[12:13], vcc, s[6:7]
	s_mov_b64 s[6:7], -1
	s_and_saveexec_b64 s[10:11], s[12:13]
; %bb.5:
	v_cmp_neq_f64_e32 vcc, 1.0, v[4:5]
	v_cmp_neq_f64_e64 s[6:7], 0, v[6:7]
	s_or_b64 s[6:7], vcc, s[6:7]
	s_orn2_b64 s[6:7], s[6:7], exec
; %bb.6:
	s_or_b64 exec, exec, s[10:11]
	s_and_saveexec_b64 s[10:11], s[6:7]
	s_cbranch_execz .LBB206_20
; %bb.7:
	s_load_dword s6, s[4:5], 0x18
	s_load_dwordx4 s[16:19], s[4:5], 0x8
	s_mov_b32 s7, 0
	s_mov_b32 s11, s7
	s_waitcnt lgkmcnt(0)
	s_lshl_b64 s[12:13], s[6:7], 2
	s_add_u32 s12, s18, s12
	s_addc_u32 s13, s19, s13
	s_add_i32 s10, s6, 1
	s_lshl_b64 s[10:11], s[10:11], 2
	s_add_u32 s10, s18, s10
	s_addc_u32 s11, s19, s11
	s_load_dword s21, s[12:13], 0x0
	s_load_dword s9, s[10:11], 0x0
	s_lshl_b32 s26, s8, 8
	s_waitcnt lgkmcnt(0)
	s_sub_i32 s8, s9, s21
	s_add_i32 s9, s26, 0x100
	s_min_u32 s27, s8, s9
	s_cmp_gt_u32 s6, 23
	s_cbranch_scc1 .LBB206_14
; %bb.8:
	s_load_dword s18, s[4:5], 0x0
	s_load_dwordx8 s[8:15], s[4:5], 0x30
	s_lshl_b32 s28, 0x100, s6
	v_bfe_u32 v1, v0, 0, s6
	v_subrev_u32_e32 v18, s20, v1
	s_waitcnt lgkmcnt(0)
	s_bitcmp1_b32 s18, 0
	s_cselect_b64 s[18:19], -1, 0
	v_lshl_add_u32 v19, v0, 4, 0
	v_mov_b32_e32 v11, 0
	s_branch .LBB206_11
.LBB206_9:                              ;   in Loop: Header=BB206_11 Depth=1
	s_or_b64 exec, exec, s[24:25]
	ds_write2_b64 v19, v[12:13], v[14:15] offset1:1
.LBB206_10:                             ;   in Loop: Header=BB206_11 Depth=1
	s_or_b64 exec, exec, s[22:23]
	s_addk_i32 s7, 0x100
	s_cmp_ge_u32 s7, s28
	v_add_u32_e32 v19, 0x1000, v19
	s_cbranch_scc1 .LBB206_14
.LBB206_11:                             ; =>This Inner Loop Header: Depth=1
	v_add_u32_e32 v10, s7, v0
	v_lshrrev_b32_e32 v10, s6, v10
	v_add_u32_e32 v10, s26, v10
	v_cmp_gt_u32_e32 vcc, s27, v10
	s_and_saveexec_b64 s[22:23], vcc
	s_cbranch_execz .LBB206_10
; %bb.12:                               ;   in Loop: Header=BB206_11 Depth=1
	v_add_u32_e32 v10, s21, v10
	v_lshlrev_b64 v[12:13], 2, v[10:11]
	v_mov_b32_e32 v10, s17
	v_add_co_u32_e32 v12, vcc, s16, v12
	v_addc_co_u32_e32 v13, vcc, v10, v13, vcc
	global_load_dword v12, v[12:13], off
	v_mov_b32_e32 v10, s9
	s_waitcnt vmcnt(0)
	v_ashrrev_i32_e32 v13, 31, v12
	v_lshlrev_b64 v[12:13], 2, v[12:13]
	v_add_co_u32_e32 v12, vcc, s8, v12
	v_addc_co_u32_e32 v13, vcc, v10, v13, vcc
	global_load_dwordx2 v[16:17], v[12:13], off
	v_pk_mov_b32 v[12:13], 0, 0
	v_pk_mov_b32 v[14:15], v[12:13], v[12:13] op_sel:[0,1]
	s_waitcnt vmcnt(0)
	v_sub_u32_e32 v10, v17, v16
	v_cmp_lt_u32_e32 vcc, v1, v10
	s_and_saveexec_b64 s[24:25], vcc
	s_cbranch_execz .LBB206_9
; %bb.13:                               ;   in Loop: Header=BB206_11 Depth=1
	v_add_u32_e32 v10, v18, v16
	v_lshlrev_b64 v[12:13], 2, v[10:11]
	v_mov_b32_e32 v14, s11
	v_add_co_u32_e32 v12, vcc, s10, v12
	v_addc_co_u32_e32 v13, vcc, v14, v13, vcc
	global_load_dword v14, v[12:13], off
	v_lshlrev_b64 v[12:13], 3, v[10:11]
	v_mov_b32_e32 v15, s13
	v_add_co_u32_e32 v12, vcc, s12, v12
	v_addc_co_u32_e32 v13, vcc, v15, v13, vcc
	global_load_dwordx2 v[12:13], v[12:13], off
	v_mov_b32_e32 v16, s15
	s_waitcnt vmcnt(1)
	v_subrev_u32_e32 v14, s20, v14
	v_ashrrev_i32_e32 v15, 31, v14
	v_lshlrev_b64 v[14:15], 4, v[14:15]
	v_add_co_u32_e32 v14, vcc, s14, v14
	v_addc_co_u32_e32 v15, vcc, v16, v15, vcc
	global_load_dwordx4 v[20:23], v[14:15], off
	s_waitcnt vmcnt(1)
	v_cndmask_b32_e64 v10, v13, -v13, s[18:19]
	v_cvt_f64_f32_e32 v[14:15], v10
	v_cvt_f64_f32_e32 v[12:13], v12
	v_mul_f64 v[16:17], -v[8:9], v[14:15]
	v_mul_f64 v[24:25], v[2:3], v[14:15]
	v_fmac_f64_e32 v[16:17], v[2:3], v[12:13]
	v_fmac_f64_e32 v[24:25], v[8:9], v[12:13]
	s_waitcnt vmcnt(0)
	v_mul_f64 v[12:13], v[22:23], -v[24:25]
	v_mul_f64 v[14:15], v[22:23], v[16:17]
	v_fmac_f64_e32 v[12:13], v[16:17], v[20:21]
	v_fmac_f64_e32 v[14:15], v[24:25], v[20:21]
	s_branch .LBB206_9
.LBB206_14:
	s_sub_i32 s7, s27, s26
	v_cmp_gt_u32_e32 vcc, s7, v0
	s_waitcnt lgkmcnt(0)
	s_barrier
	s_and_b64 exec, exec, vcc
	s_cbranch_execz .LBB206_20
; %bb.15:
	s_add_i32 s21, s21, s26
	v_add_u32_e32 v2, s21, v0
	v_mov_b32_e32 v3, 0
	v_lshlrev_b64 v[2:3], 2, v[2:3]
	v_mov_b32_e32 v1, s17
	v_add_co_u32_e32 v2, vcc, s16, v2
	v_addc_co_u32_e32 v3, vcc, v1, v3, vcc
	global_load_dword v8, v[2:3], off
	s_load_dwordx2 s[8:9], s[4:5], 0x60
	v_lshlrev_b32_e32 v0, s6, v0
	v_pk_mov_b32 v[2:3], 0, 0
	v_lshl_add_u32 v9, v0, 4, 0
	s_mov_b32 s4, 1
	v_pk_mov_b32 v[0:1], v[2:3], v[2:3] op_sel:[0,1]
.LBB206_16:                             ; =>This Inner Loop Header: Depth=1
	ds_read2_b64 v[10:13], v9 offset1:1
	s_lshr_b32 s5, s4, s6
	s_add_i32 s4, s4, 1
	v_add_u32_e32 v9, 16, v9
	s_cmp_lg_u32 s5, 0
	s_waitcnt lgkmcnt(0)
	v_add_f64 v[0:1], v[0:1], v[10:11]
	v_add_f64 v[2:3], v[2:3], v[12:13]
	s_cbranch_scc0 .LBB206_16
; %bb.17:
	v_cmp_neq_f64_e32 vcc, 0, v[4:5]
	v_cmp_neq_f64_e64 s[4:5], 0, v[6:7]
	s_waitcnt vmcnt(0)
	v_ashrrev_i32_e32 v9, 31, v8
	s_or_b64 s[6:7], vcc, s[4:5]
	v_lshlrev_b64 v[8:9], 4, v[8:9]
	s_and_saveexec_b64 s[4:5], s[6:7]
	s_cbranch_execz .LBB206_19
; %bb.18:
	v_mov_b32_e32 v11, s9
	v_add_co_u32_e32 v10, vcc, s8, v8
	v_addc_co_u32_e32 v11, vcc, v11, v9, vcc
	global_load_dwordx4 v[10:13], v[10:11], off
	s_waitcnt vmcnt(0)
	v_fmac_f64_e32 v[0:1], v[4:5], v[10:11]
	v_fmac_f64_e32 v[2:3], v[6:7], v[10:11]
	v_fma_f64 v[0:1], -v[6:7], v[12:13], v[0:1]
	v_fmac_f64_e32 v[2:3], v[4:5], v[12:13]
.LBB206_19:
	s_or_b64 exec, exec, s[4:5]
	v_mov_b32_e32 v5, s9
	v_add_co_u32_e32 v4, vcc, s8, v8
	v_addc_co_u32_e32 v5, vcc, v5, v9, vcc
	global_store_dwordx4 v[4:5], v[0:3], off
.LBB206_20:
	s_endpgm
	.section	.rodata,"a",@progbits
	.p2align	6, 0x0
	.amdhsa_kernel _ZN9rocsparseL28csrmvn_lrb_short_rows_kernelIii21rocsparse_complex_numIfES1_IdES3_S3_EEvbT_PT0_S6_jNS_24const_host_device_scalarIT4_EEPKS4_PKS5_PKT1_PKT2_S9_PT3_21rocsparse_index_base_b
		.amdhsa_group_segment_fixed_size 0
		.amdhsa_private_segment_fixed_size 24
		.amdhsa_kernarg_size 112
		.amdhsa_user_sgpr_count 8
		.amdhsa_user_sgpr_private_segment_buffer 1
		.amdhsa_user_sgpr_dispatch_ptr 0
		.amdhsa_user_sgpr_queue_ptr 0
		.amdhsa_user_sgpr_kernarg_segment_ptr 1
		.amdhsa_user_sgpr_dispatch_id 0
		.amdhsa_user_sgpr_flat_scratch_init 1
		.amdhsa_user_sgpr_kernarg_preload_length 0
		.amdhsa_user_sgpr_kernarg_preload_offset 0
		.amdhsa_user_sgpr_private_segment_size 0
		.amdhsa_uses_dynamic_stack 0
		.amdhsa_system_sgpr_private_segment_wavefront_offset 1
		.amdhsa_system_sgpr_workgroup_id_x 1
		.amdhsa_system_sgpr_workgroup_id_y 0
		.amdhsa_system_sgpr_workgroup_id_z 0
		.amdhsa_system_sgpr_workgroup_info 0
		.amdhsa_system_vgpr_workitem_id 0
		.amdhsa_next_free_vgpr 26
		.amdhsa_next_free_sgpr 29
		.amdhsa_accum_offset 28
		.amdhsa_reserve_vcc 1
		.amdhsa_reserve_flat_scratch 1
		.amdhsa_float_round_mode_32 0
		.amdhsa_float_round_mode_16_64 0
		.amdhsa_float_denorm_mode_32 3
		.amdhsa_float_denorm_mode_16_64 3
		.amdhsa_dx10_clamp 1
		.amdhsa_ieee_mode 1
		.amdhsa_fp16_overflow 0
		.amdhsa_tg_split 0
		.amdhsa_exception_fp_ieee_invalid_op 0
		.amdhsa_exception_fp_denorm_src 0
		.amdhsa_exception_fp_ieee_div_zero 0
		.amdhsa_exception_fp_ieee_overflow 0
		.amdhsa_exception_fp_ieee_underflow 0
		.amdhsa_exception_fp_ieee_inexact 0
		.amdhsa_exception_int_div_zero 0
	.end_amdhsa_kernel
	.section	.text._ZN9rocsparseL28csrmvn_lrb_short_rows_kernelIii21rocsparse_complex_numIfES1_IdES3_S3_EEvbT_PT0_S6_jNS_24const_host_device_scalarIT4_EEPKS4_PKS5_PKT1_PKT2_S9_PT3_21rocsparse_index_base_b,"axG",@progbits,_ZN9rocsparseL28csrmvn_lrb_short_rows_kernelIii21rocsparse_complex_numIfES1_IdES3_S3_EEvbT_PT0_S6_jNS_24const_host_device_scalarIT4_EEPKS4_PKS5_PKT1_PKT2_S9_PT3_21rocsparse_index_base_b,comdat
.Lfunc_end206:
	.size	_ZN9rocsparseL28csrmvn_lrb_short_rows_kernelIii21rocsparse_complex_numIfES1_IdES3_S3_EEvbT_PT0_S6_jNS_24const_host_device_scalarIT4_EEPKS4_PKS5_PKT1_PKT2_S9_PT3_21rocsparse_index_base_b, .Lfunc_end206-_ZN9rocsparseL28csrmvn_lrb_short_rows_kernelIii21rocsparse_complex_numIfES1_IdES3_S3_EEvbT_PT0_S6_jNS_24const_host_device_scalarIT4_EEPKS4_PKS5_PKT1_PKT2_S9_PT3_21rocsparse_index_base_b
                                        ; -- End function
	.section	.AMDGPU.csdata,"",@progbits
; Kernel info:
; codeLenInByte = 1068
; NumSgprs: 35
; NumVgprs: 26
; NumAgprs: 0
; TotalNumVgprs: 26
; ScratchSize: 24
; MemoryBound: 0
; FloatMode: 240
; IeeeMode: 1
; LDSByteSize: 0 bytes/workgroup (compile time only)
; SGPRBlocks: 4
; VGPRBlocks: 3
; NumSGPRsForWavesPerEU: 35
; NumVGPRsForWavesPerEU: 26
; AccumOffset: 28
; Occupancy: 8
; WaveLimiterHint : 1
; COMPUTE_PGM_RSRC2:SCRATCH_EN: 1
; COMPUTE_PGM_RSRC2:USER_SGPR: 8
; COMPUTE_PGM_RSRC2:TRAP_HANDLER: 0
; COMPUTE_PGM_RSRC2:TGID_X_EN: 1
; COMPUTE_PGM_RSRC2:TGID_Y_EN: 0
; COMPUTE_PGM_RSRC2:TGID_Z_EN: 0
; COMPUTE_PGM_RSRC2:TIDIG_COMP_CNT: 0
; COMPUTE_PGM_RSRC3_GFX90A:ACCUM_OFFSET: 6
; COMPUTE_PGM_RSRC3_GFX90A:TG_SPLIT: 0
	.section	.text._ZN9rocsparseL30csrmvn_lrb_short_rows_2_kernelIii21rocsparse_complex_numIfES1_IdES3_S3_EEvbT_PT0_S6_jNS_24const_host_device_scalarIT4_EEPKS4_PKS5_PKT1_PKT2_S9_PT3_21rocsparse_index_base_b,"axG",@progbits,_ZN9rocsparseL30csrmvn_lrb_short_rows_2_kernelIii21rocsparse_complex_numIfES1_IdES3_S3_EEvbT_PT0_S6_jNS_24const_host_device_scalarIT4_EEPKS4_PKS5_PKT1_PKT2_S9_PT3_21rocsparse_index_base_b,comdat
	.globl	_ZN9rocsparseL30csrmvn_lrb_short_rows_2_kernelIii21rocsparse_complex_numIfES1_IdES3_S3_EEvbT_PT0_S6_jNS_24const_host_device_scalarIT4_EEPKS4_PKS5_PKT1_PKT2_S9_PT3_21rocsparse_index_base_b ; -- Begin function _ZN9rocsparseL30csrmvn_lrb_short_rows_2_kernelIii21rocsparse_complex_numIfES1_IdES3_S3_EEvbT_PT0_S6_jNS_24const_host_device_scalarIT4_EEPKS4_PKS5_PKT1_PKT2_S9_PT3_21rocsparse_index_base_b
	.p2align	8
	.type	_ZN9rocsparseL30csrmvn_lrb_short_rows_2_kernelIii21rocsparse_complex_numIfES1_IdES3_S3_EEvbT_PT0_S6_jNS_24const_host_device_scalarIT4_EEPKS4_PKS5_PKT1_PKT2_S9_PT3_21rocsparse_index_base_b,@function
_ZN9rocsparseL30csrmvn_lrb_short_rows_2_kernelIii21rocsparse_complex_numIfES1_IdES3_S3_EEvbT_PT0_S6_jNS_24const_host_device_scalarIT4_EEPKS4_PKS5_PKT1_PKT2_S9_PT3_21rocsparse_index_base_b: ; @_ZN9rocsparseL30csrmvn_lrb_short_rows_2_kernelIii21rocsparse_complex_numIfES1_IdES3_S3_EEvbT_PT0_S6_jNS_24const_host_device_scalarIT4_EEPKS4_PKS5_PKT1_PKT2_S9_PT3_21rocsparse_index_base_b
; %bb.0:
	s_add_u32 flat_scratch_lo, s6, s9
	s_load_dwordx2 s[24:25], s[4:5], 0x68
	s_load_dwordx4 s[16:19], s[4:5], 0x20
	s_addc_u32 flat_scratch_hi, s7, 0
	s_add_u32 s0, s0, s9
	s_load_dwordx4 s[12:15], s[4:5], 0x50
	s_addc_u32 s1, s1, 0
	s_waitcnt lgkmcnt(0)
	s_bitcmp1_b32 s25, 0
	v_mov_b32_e32 v1, 0
	v_mov_b32_e32 v3, s16
	s_cselect_b64 s[6:7], -1, 0
	v_cndmask_b32_e64 v2, v3, v1, s[6:7]
	v_mov_b32_e32 v1, s17
	s_mov_b64 s[10:11], src_private_base
	s_and_b64 vcc, s[6:7], exec
	buffer_store_dword v1, off, s[0:3], 0 offset:4
	buffer_store_dword v3, off, s[0:3], 0
	v_mov_b32_e32 v1, s13
	s_cselect_b32 s9, s11, s17
	buffer_store_dword v1, off, s[0:3], 0 offset:12
	v_mov_b32_e32 v1, s12
	buffer_store_dword v1, off, s[0:3], 0 offset:8
	v_mov_b32_e32 v3, s9
	flat_load_dwordx2 v[10:11], v[2:3]
	s_xor_b64 s[20:21], s[6:7], -1
	v_pk_mov_b32 v[12:13], s[18:19], s[18:19] op_sel:[0,1]
	s_cbranch_vccnz .LBB207_2
; %bb.1:
	v_pk_mov_b32 v[2:3], s[16:17], s[16:17] op_sel:[0,1]
	flat_load_dwordx2 v[12:13], v[2:3] offset:8
.LBB207_2:
	s_and_b64 s[16:17], s[6:7], exec
	s_cselect_b32 s9, s11, s13
	v_mov_b32_e32 v1, 8
	v_mov_b32_e32 v2, s12
	v_cndmask_b32_e64 v2, v2, v1, s[6:7]
	v_mov_b32_e32 v3, s9
	flat_load_dwordx2 v[6:7], v[2:3]
	s_andn2_b64 vcc, exec, s[20:21]
	v_pk_mov_b32 v[8:9], s[14:15], s[14:15] op_sel:[0,1]
	s_cbranch_vccnz .LBB207_4
; %bb.3:
	v_pk_mov_b32 v[2:3], s[12:13], s[12:13] op_sel:[0,1]
	flat_load_dwordx2 v[8:9], v[2:3] offset:8
.LBB207_4:
	s_waitcnt vmcnt(0) lgkmcnt(0)
	v_cmp_eq_f64_e32 vcc, 0, v[10:11]
	v_cmp_eq_f64_e64 s[6:7], 0, v[12:13]
	s_and_b64 s[12:13], vcc, s[6:7]
	s_mov_b64 s[6:7], -1
	s_and_saveexec_b64 s[10:11], s[12:13]
; %bb.5:
	v_cmp_neq_f64_e32 vcc, 1.0, v[6:7]
	v_cmp_neq_f64_e64 s[6:7], 0, v[8:9]
	s_or_b64 s[6:7], vcc, s[6:7]
	s_orn2_b64 s[6:7], s[6:7], exec
; %bb.6:
	s_or_b64 exec, exec, s[10:11]
	s_and_saveexec_b64 s[10:11], s[6:7]
	s_cbranch_execz .LBB207_32
; %bb.7:
	s_load_dword s6, s[4:5], 0x18
	s_load_dword s9, s[4:5], 0x0
	s_load_dwordx4 s[20:23], s[4:5], 0x8
	s_mov_b32 s7, 0
	s_waitcnt lgkmcnt(0)
	v_lshrrev_b32_e32 v2, s6, v0
	s_bitcmp1_b32 s9, 0
	s_cselect_b64 s[26:27], -1, 0
	s_lshl_b64 s[10:11], s[6:7], 2
	s_add_u32 s28, s22, s10
	s_addc_u32 s29, s23, s11
	s_add_i32 s10, s6, 1
	s_mov_b32 s11, s7
	s_lshl_b64 s[10:11], s[10:11], 2
	s_add_u32 s30, s22, s10
	s_addc_u32 s31, s23, s11
	s_load_dword s22, s[28:29], 0x0
	s_load_dword s7, s[30:31], 0x0
	s_load_dwordx2 s[10:11], s[4:5], 0x60
	s_load_dwordx8 s[12:19], s[4:5], 0x30
	v_bfe_u32 v18, v0, 0, s6
	v_subrev_u32_e32 v1, s24, v18
	s_waitcnt lgkmcnt(0)
	s_sub_i32 s4, s7, s22
	s_lshr_b32 s7, 0x400, s6
	s_mul_i32 s23, s7, s8
	s_add_i32 s5, s23, s7
	s_min_u32 s25, s4, s5
	v_add_u32_e32 v2, s23, v2
	v_cmp_gt_u32_e32 vcc, s25, v2
	s_and_saveexec_b64 s[4:5], vcc
	s_cbranch_execz .LBB207_11
; %bb.8:
	v_add_u32_e32 v14, s22, v2
	v_mov_b32_e32 v15, 0
	v_lshlrev_b64 v[2:3], 2, v[14:15]
	v_mov_b32_e32 v4, s21
	v_add_co_u32_e32 v2, vcc, s20, v2
	v_addc_co_u32_e32 v3, vcc, v4, v3, vcc
	global_load_dword v2, v[2:3], off
	v_mov_b32_e32 v4, s13
	s_waitcnt vmcnt(0)
	v_ashrrev_i32_e32 v3, 31, v2
	v_lshlrev_b64 v[2:3], 2, v[2:3]
	v_add_co_u32_e32 v2, vcc, s12, v2
	v_addc_co_u32_e32 v3, vcc, v4, v3, vcc
	global_load_dwordx2 v[16:17], v[2:3], off
	v_pk_mov_b32 v[2:3], 0, 0
	s_waitcnt vmcnt(0)
	v_sub_u32_e32 v4, v17, v16
	v_cmp_lt_u32_e32 vcc, v18, v4
	v_pk_mov_b32 v[4:5], v[2:3], v[2:3] op_sel:[0,1]
	s_and_saveexec_b64 s[8:9], vcc
	s_cbranch_execz .LBB207_10
; %bb.9:
	v_add_u32_e32 v14, v16, v1
	v_lshlrev_b64 v[2:3], 2, v[14:15]
	v_mov_b32_e32 v4, s15
	v_add_co_u32_e32 v2, vcc, s14, v2
	v_addc_co_u32_e32 v3, vcc, v4, v3, vcc
	global_load_dword v4, v[2:3], off
	v_lshlrev_b64 v[2:3], 3, v[14:15]
	v_mov_b32_e32 v5, s17
	v_add_co_u32_e32 v2, vcc, s16, v2
	v_addc_co_u32_e32 v3, vcc, v5, v3, vcc
	global_load_dwordx2 v[2:3], v[2:3], off
	v_mov_b32_e32 v16, s19
	s_waitcnt vmcnt(1)
	v_subrev_u32_e32 v4, s24, v4
	v_ashrrev_i32_e32 v5, 31, v4
	v_lshlrev_b64 v[4:5], 4, v[4:5]
	v_add_co_u32_e32 v4, vcc, s18, v4
	v_addc_co_u32_e32 v5, vcc, v16, v5, vcc
	global_load_dwordx4 v[14:17], v[4:5], off
	s_waitcnt vmcnt(1)
	v_cndmask_b32_e64 v4, v3, -v3, s[26:27]
	v_cvt_f64_f32_e32 v[4:5], v4
	v_cvt_f64_f32_e32 v[2:3], v2
	v_mul_f64 v[20:21], -v[12:13], v[4:5]
	v_mul_f64 v[22:23], v[10:11], v[4:5]
	v_fmac_f64_e32 v[20:21], v[10:11], v[2:3]
	v_fmac_f64_e32 v[22:23], v[12:13], v[2:3]
	s_waitcnt vmcnt(0)
	v_mul_f64 v[2:3], v[16:17], -v[22:23]
	v_mul_f64 v[4:5], v[16:17], v[20:21]
	v_fmac_f64_e32 v[2:3], v[20:21], v[14:15]
	v_fmac_f64_e32 v[4:5], v[22:23], v[14:15]
.LBB207_10:
	s_or_b64 exec, exec, s[8:9]
	v_lshlrev_b32_e32 v14, 4, v0
	ds_write_b128 v14, v[2:5]
.LBB207_11:
	s_or_b64 exec, exec, s[4:5]
	v_or_b32_e32 v2, 0x100, v0
	v_lshrrev_b32_e32 v2, s6, v2
	v_add_u32_e32 v2, s23, v2
	v_cmp_gt_u32_e32 vcc, s25, v2
	s_and_saveexec_b64 s[4:5], vcc
	s_cbranch_execz .LBB207_15
; %bb.12:
	v_add_u32_e32 v14, s22, v2
	v_mov_b32_e32 v15, 0
	v_lshlrev_b64 v[2:3], 2, v[14:15]
	v_mov_b32_e32 v4, s21
	v_add_co_u32_e32 v2, vcc, s20, v2
	v_addc_co_u32_e32 v3, vcc, v4, v3, vcc
	global_load_dword v2, v[2:3], off
	v_mov_b32_e32 v4, s13
	s_waitcnt vmcnt(0)
	v_ashrrev_i32_e32 v3, 31, v2
	v_lshlrev_b64 v[2:3], 2, v[2:3]
	v_add_co_u32_e32 v2, vcc, s12, v2
	v_addc_co_u32_e32 v3, vcc, v4, v3, vcc
	global_load_dwordx2 v[16:17], v[2:3], off
	v_pk_mov_b32 v[2:3], 0, 0
	s_waitcnt vmcnt(0)
	v_sub_u32_e32 v4, v17, v16
	v_cmp_lt_u32_e32 vcc, v18, v4
	v_pk_mov_b32 v[4:5], v[2:3], v[2:3] op_sel:[0,1]
	s_and_saveexec_b64 s[8:9], vcc
	s_cbranch_execz .LBB207_14
; %bb.13:
	v_add_u32_e32 v14, v16, v1
	v_lshlrev_b64 v[2:3], 2, v[14:15]
	v_mov_b32_e32 v4, s15
	v_add_co_u32_e32 v2, vcc, s14, v2
	v_addc_co_u32_e32 v3, vcc, v4, v3, vcc
	global_load_dword v4, v[2:3], off
	v_lshlrev_b64 v[2:3], 3, v[14:15]
	v_mov_b32_e32 v5, s17
	v_add_co_u32_e32 v2, vcc, s16, v2
	v_addc_co_u32_e32 v3, vcc, v5, v3, vcc
	global_load_dwordx2 v[2:3], v[2:3], off
	v_mov_b32_e32 v16, s19
	s_waitcnt vmcnt(1)
	v_subrev_u32_e32 v4, s24, v4
	v_ashrrev_i32_e32 v5, 31, v4
	v_lshlrev_b64 v[4:5], 4, v[4:5]
	v_add_co_u32_e32 v4, vcc, s18, v4
	v_addc_co_u32_e32 v5, vcc, v16, v5, vcc
	global_load_dwordx4 v[14:17], v[4:5], off
	s_waitcnt vmcnt(1)
	v_cndmask_b32_e64 v4, v3, -v3, s[26:27]
	v_cvt_f64_f32_e32 v[4:5], v4
	v_cvt_f64_f32_e32 v[2:3], v2
	v_mul_f64 v[20:21], -v[12:13], v[4:5]
	v_mul_f64 v[22:23], v[10:11], v[4:5]
	v_fmac_f64_e32 v[20:21], v[10:11], v[2:3]
	v_fmac_f64_e32 v[22:23], v[12:13], v[2:3]
	s_waitcnt vmcnt(0)
	v_mul_f64 v[2:3], v[16:17], -v[22:23]
	v_mul_f64 v[4:5], v[16:17], v[20:21]
	v_fmac_f64_e32 v[2:3], v[20:21], v[14:15]
	v_fmac_f64_e32 v[4:5], v[22:23], v[14:15]
.LBB207_14:
	s_or_b64 exec, exec, s[8:9]
	v_lshlrev_b32_e32 v14, 4, v0
	ds_write_b128 v14, v[2:5] offset:4096
.LBB207_15:
	s_or_b64 exec, exec, s[4:5]
	v_or_b32_e32 v2, 0x200, v0
	v_lshrrev_b32_e32 v2, s6, v2
	v_add_u32_e32 v2, s23, v2
	v_cmp_gt_u32_e32 vcc, s25, v2
	s_and_saveexec_b64 s[4:5], vcc
	s_cbranch_execz .LBB207_19
; %bb.16:
	v_add_u32_e32 v14, s22, v2
	v_mov_b32_e32 v15, 0
	v_lshlrev_b64 v[2:3], 2, v[14:15]
	v_mov_b32_e32 v4, s21
	v_add_co_u32_e32 v2, vcc, s20, v2
	v_addc_co_u32_e32 v3, vcc, v4, v3, vcc
	global_load_dword v2, v[2:3], off
	v_mov_b32_e32 v4, s13
	s_waitcnt vmcnt(0)
	v_ashrrev_i32_e32 v3, 31, v2
	v_lshlrev_b64 v[2:3], 2, v[2:3]
	v_add_co_u32_e32 v2, vcc, s12, v2
	v_addc_co_u32_e32 v3, vcc, v4, v3, vcc
	global_load_dwordx2 v[16:17], v[2:3], off
	v_pk_mov_b32 v[2:3], 0, 0
	s_waitcnt vmcnt(0)
	v_sub_u32_e32 v4, v17, v16
	v_cmp_lt_u32_e32 vcc, v18, v4
	v_pk_mov_b32 v[4:5], v[2:3], v[2:3] op_sel:[0,1]
	s_and_saveexec_b64 s[8:9], vcc
	s_cbranch_execz .LBB207_18
; %bb.17:
	v_add_u32_e32 v14, v16, v1
	v_lshlrev_b64 v[2:3], 2, v[14:15]
	v_mov_b32_e32 v4, s15
	v_add_co_u32_e32 v2, vcc, s14, v2
	v_addc_co_u32_e32 v3, vcc, v4, v3, vcc
	global_load_dword v4, v[2:3], off
	v_lshlrev_b64 v[2:3], 3, v[14:15]
	v_mov_b32_e32 v5, s17
	v_add_co_u32_e32 v2, vcc, s16, v2
	v_addc_co_u32_e32 v3, vcc, v5, v3, vcc
	global_load_dwordx2 v[2:3], v[2:3], off
	v_mov_b32_e32 v16, s19
	s_waitcnt vmcnt(1)
	v_subrev_u32_e32 v4, s24, v4
	v_ashrrev_i32_e32 v5, 31, v4
	v_lshlrev_b64 v[4:5], 4, v[4:5]
	v_add_co_u32_e32 v4, vcc, s18, v4
	v_addc_co_u32_e32 v5, vcc, v16, v5, vcc
	global_load_dwordx4 v[14:17], v[4:5], off
	s_waitcnt vmcnt(1)
	v_cndmask_b32_e64 v4, v3, -v3, s[26:27]
	v_cvt_f64_f32_e32 v[4:5], v4
	v_cvt_f64_f32_e32 v[2:3], v2
	v_mul_f64 v[20:21], -v[12:13], v[4:5]
	v_mul_f64 v[22:23], v[10:11], v[4:5]
	v_fmac_f64_e32 v[20:21], v[10:11], v[2:3]
	v_fmac_f64_e32 v[22:23], v[12:13], v[2:3]
	s_waitcnt vmcnt(0)
	v_mul_f64 v[2:3], v[16:17], -v[22:23]
	v_mul_f64 v[4:5], v[16:17], v[20:21]
	v_fmac_f64_e32 v[2:3], v[20:21], v[14:15]
	v_fmac_f64_e32 v[4:5], v[22:23], v[14:15]
.LBB207_18:
	s_or_b64 exec, exec, s[8:9]
	v_lshlrev_b32_e32 v14, 4, v0
	ds_write_b128 v14, v[2:5] offset:8192
.LBB207_19:
	s_or_b64 exec, exec, s[4:5]
	v_or_b32_e32 v2, 0x300, v0
	v_lshrrev_b32_e32 v2, s6, v2
	v_add_u32_e32 v2, s23, v2
	v_cmp_gt_u32_e32 vcc, s25, v2
	s_and_saveexec_b64 s[4:5], vcc
	s_cbranch_execz .LBB207_23
; %bb.20:
	v_add_u32_e32 v14, s22, v2
	v_mov_b32_e32 v15, 0
	v_lshlrev_b64 v[2:3], 2, v[14:15]
	v_mov_b32_e32 v4, s21
	v_add_co_u32_e32 v2, vcc, s20, v2
	v_addc_co_u32_e32 v3, vcc, v4, v3, vcc
	global_load_dword v2, v[2:3], off
	v_mov_b32_e32 v4, s13
	s_waitcnt vmcnt(0)
	v_ashrrev_i32_e32 v3, 31, v2
	v_lshlrev_b64 v[2:3], 2, v[2:3]
	v_add_co_u32_e32 v2, vcc, s12, v2
	v_addc_co_u32_e32 v3, vcc, v4, v3, vcc
	global_load_dwordx2 v[16:17], v[2:3], off
	v_pk_mov_b32 v[2:3], 0, 0
	s_waitcnt vmcnt(0)
	v_sub_u32_e32 v4, v17, v16
	v_cmp_lt_u32_e32 vcc, v18, v4
	v_pk_mov_b32 v[4:5], v[2:3], v[2:3] op_sel:[0,1]
	s_and_saveexec_b64 s[8:9], vcc
	s_cbranch_execz .LBB207_22
; %bb.21:
	v_add_u32_e32 v14, v16, v1
	v_lshlrev_b64 v[2:3], 2, v[14:15]
	v_mov_b32_e32 v1, s15
	v_add_co_u32_e32 v2, vcc, s14, v2
	v_addc_co_u32_e32 v3, vcc, v1, v3, vcc
	global_load_dword v1, v[2:3], off
	v_lshlrev_b64 v[2:3], 3, v[14:15]
	v_mov_b32_e32 v4, s17
	v_add_co_u32_e32 v2, vcc, s16, v2
	v_addc_co_u32_e32 v3, vcc, v4, v3, vcc
	global_load_dwordx2 v[2:3], v[2:3], off
	v_mov_b32_e32 v16, s19
	s_waitcnt vmcnt(1)
	v_subrev_u32_e32 v4, s24, v1
	v_ashrrev_i32_e32 v5, 31, v4
	v_lshlrev_b64 v[4:5], 4, v[4:5]
	v_add_co_u32_e32 v4, vcc, s18, v4
	v_addc_co_u32_e32 v5, vcc, v16, v5, vcc
	global_load_dwordx4 v[14:17], v[4:5], off
	s_waitcnt vmcnt(1)
	v_cndmask_b32_e64 v1, v3, -v3, s[26:27]
	v_cvt_f64_f32_e32 v[4:5], v1
	v_cvt_f64_f32_e32 v[2:3], v2
	v_mul_f64 v[18:19], -v[12:13], v[4:5]
	v_mul_f64 v[20:21], v[10:11], v[4:5]
	v_fmac_f64_e32 v[18:19], v[10:11], v[2:3]
	v_fmac_f64_e32 v[20:21], v[12:13], v[2:3]
	s_waitcnt vmcnt(0)
	v_mul_f64 v[2:3], v[16:17], -v[20:21]
	v_mul_f64 v[4:5], v[16:17], v[18:19]
	v_fmac_f64_e32 v[2:3], v[18:19], v[14:15]
	v_fmac_f64_e32 v[4:5], v[20:21], v[14:15]
.LBB207_22:
	s_or_b64 exec, exec, s[8:9]
	v_lshlrev_b32_e32 v1, 4, v0
	ds_write_b128 v1, v[2:5] offset:12288
.LBB207_23:
	s_or_b64 exec, exec, s[4:5]
	s_cmp_lt_u32 s6, 11
	s_waitcnt lgkmcnt(0)
	s_barrier
	s_cbranch_scc0 .LBB207_32
; %bb.24:
	v_cmp_neq_f64_e32 vcc, 0, v[6:7]
	v_cmp_neq_f64_e64 s[4:5], 0, v[8:9]
	s_sub_i32 s14, s25, s23
	s_add_i32 s22, s22, s23
	s_or_b64 s[4:5], vcc, s[4:5]
	s_mov_b32 s15, 0
	v_mov_b32_e32 v11, 0
	s_branch .LBB207_27
.LBB207_25:                             ;   in Loop: Header=BB207_27 Depth=1
	s_or_b64 exec, exec, s[12:13]
	v_mov_b32_e32 v1, s11
	v_add_co_u32_e32 v12, vcc, s10, v12
	v_addc_co_u32_e32 v13, vcc, v1, v13, vcc
	global_store_dwordx4 v[12:13], v[2:5], off
.LBB207_26:                             ;   in Loop: Header=BB207_27 Depth=1
	s_or_b64 exec, exec, s[8:9]
	s_addk_i32 s15, 0x100
	s_cmp_lt_u32 s15, s7
	s_cbranch_scc0 .LBB207_32
.LBB207_27:                             ; =>This Loop Header: Depth=1
                                        ;     Child Loop BB207_29 Depth 2
	v_add_u32_e32 v1, s15, v0
	v_cmp_gt_u32_e32 vcc, s14, v1
	s_and_saveexec_b64 s[8:9], vcc
	s_cbranch_execz .LBB207_26
; %bb.28:                               ;   in Loop: Header=BB207_27 Depth=1
	v_add_u32_e32 v10, s22, v1
	v_lshlrev_b64 v[2:3], 2, v[10:11]
	v_mov_b32_e32 v4, s21
	v_add_co_u32_e32 v2, vcc, s20, v2
	v_addc_co_u32_e32 v3, vcc, v4, v3, vcc
	global_load_dword v12, v[2:3], off
	v_lshlrev_b32_e32 v1, s6, v1
	v_pk_mov_b32 v[4:5], 0, 0
	v_lshlrev_b32_e32 v1, 4, v1
	s_mov_b32 s12, 1
	v_pk_mov_b32 v[2:3], v[4:5], v[4:5] op_sel:[0,1]
.LBB207_29:                             ;   Parent Loop BB207_27 Depth=1
                                        ; =>  This Inner Loop Header: Depth=2
	ds_read_b128 v[14:17], v1
	s_lshr_b32 s13, s12, s6
	s_add_i32 s12, s12, 1
	v_add_u32_e32 v1, 16, v1
	s_cmp_lg_u32 s13, 0
	s_waitcnt lgkmcnt(0)
	v_add_f64 v[2:3], v[2:3], v[14:15]
	v_add_f64 v[4:5], v[4:5], v[16:17]
	s_cbranch_scc0 .LBB207_29
; %bb.30:                               ;   in Loop: Header=BB207_27 Depth=1
	s_waitcnt vmcnt(0)
	v_ashrrev_i32_e32 v13, 31, v12
	v_lshlrev_b64 v[12:13], 4, v[12:13]
	s_and_saveexec_b64 s[12:13], s[4:5]
	s_cbranch_execz .LBB207_25
; %bb.31:                               ;   in Loop: Header=BB207_27 Depth=1
	v_mov_b32_e32 v1, s11
	v_add_co_u32_e32 v14, vcc, s10, v12
	v_addc_co_u32_e32 v15, vcc, v1, v13, vcc
	global_load_dwordx4 v[14:17], v[14:15], off
	s_waitcnt vmcnt(0)
	v_fmac_f64_e32 v[2:3], v[6:7], v[14:15]
	v_fmac_f64_e32 v[4:5], v[8:9], v[14:15]
	v_fma_f64 v[2:3], -v[8:9], v[16:17], v[2:3]
	v_fmac_f64_e32 v[4:5], v[6:7], v[16:17]
	s_branch .LBB207_25
.LBB207_32:
	s_endpgm
	.section	.rodata,"a",@progbits
	.p2align	6, 0x0
	.amdhsa_kernel _ZN9rocsparseL30csrmvn_lrb_short_rows_2_kernelIii21rocsparse_complex_numIfES1_IdES3_S3_EEvbT_PT0_S6_jNS_24const_host_device_scalarIT4_EEPKS4_PKS5_PKT1_PKT2_S9_PT3_21rocsparse_index_base_b
		.amdhsa_group_segment_fixed_size 16384
		.amdhsa_private_segment_fixed_size 24
		.amdhsa_kernarg_size 112
		.amdhsa_user_sgpr_count 8
		.amdhsa_user_sgpr_private_segment_buffer 1
		.amdhsa_user_sgpr_dispatch_ptr 0
		.amdhsa_user_sgpr_queue_ptr 0
		.amdhsa_user_sgpr_kernarg_segment_ptr 1
		.amdhsa_user_sgpr_dispatch_id 0
		.amdhsa_user_sgpr_flat_scratch_init 1
		.amdhsa_user_sgpr_kernarg_preload_length 0
		.amdhsa_user_sgpr_kernarg_preload_offset 0
		.amdhsa_user_sgpr_private_segment_size 0
		.amdhsa_uses_dynamic_stack 0
		.amdhsa_system_sgpr_private_segment_wavefront_offset 1
		.amdhsa_system_sgpr_workgroup_id_x 1
		.amdhsa_system_sgpr_workgroup_id_y 0
		.amdhsa_system_sgpr_workgroup_id_z 0
		.amdhsa_system_sgpr_workgroup_info 0
		.amdhsa_system_vgpr_workitem_id 0
		.amdhsa_next_free_vgpr 24
		.amdhsa_next_free_sgpr 32
		.amdhsa_accum_offset 24
		.amdhsa_reserve_vcc 1
		.amdhsa_reserve_flat_scratch 1
		.amdhsa_float_round_mode_32 0
		.amdhsa_float_round_mode_16_64 0
		.amdhsa_float_denorm_mode_32 3
		.amdhsa_float_denorm_mode_16_64 3
		.amdhsa_dx10_clamp 1
		.amdhsa_ieee_mode 1
		.amdhsa_fp16_overflow 0
		.amdhsa_tg_split 0
		.amdhsa_exception_fp_ieee_invalid_op 0
		.amdhsa_exception_fp_denorm_src 0
		.amdhsa_exception_fp_ieee_div_zero 0
		.amdhsa_exception_fp_ieee_overflow 0
		.amdhsa_exception_fp_ieee_underflow 0
		.amdhsa_exception_fp_ieee_inexact 0
		.amdhsa_exception_int_div_zero 0
	.end_amdhsa_kernel
	.section	.text._ZN9rocsparseL30csrmvn_lrb_short_rows_2_kernelIii21rocsparse_complex_numIfES1_IdES3_S3_EEvbT_PT0_S6_jNS_24const_host_device_scalarIT4_EEPKS4_PKS5_PKT1_PKT2_S9_PT3_21rocsparse_index_base_b,"axG",@progbits,_ZN9rocsparseL30csrmvn_lrb_short_rows_2_kernelIii21rocsparse_complex_numIfES1_IdES3_S3_EEvbT_PT0_S6_jNS_24const_host_device_scalarIT4_EEPKS4_PKS5_PKT1_PKT2_S9_PT3_21rocsparse_index_base_b,comdat
.Lfunc_end207:
	.size	_ZN9rocsparseL30csrmvn_lrb_short_rows_2_kernelIii21rocsparse_complex_numIfES1_IdES3_S3_EEvbT_PT0_S6_jNS_24const_host_device_scalarIT4_EEPKS4_PKS5_PKT1_PKT2_S9_PT3_21rocsparse_index_base_b, .Lfunc_end207-_ZN9rocsparseL30csrmvn_lrb_short_rows_2_kernelIii21rocsparse_complex_numIfES1_IdES3_S3_EEvbT_PT0_S6_jNS_24const_host_device_scalarIT4_EEPKS4_PKS5_PKT1_PKT2_S9_PT3_21rocsparse_index_base_b
                                        ; -- End function
	.section	.AMDGPU.csdata,"",@progbits
; Kernel info:
; codeLenInByte = 2036
; NumSgprs: 38
; NumVgprs: 24
; NumAgprs: 0
; TotalNumVgprs: 24
; ScratchSize: 24
; MemoryBound: 0
; FloatMode: 240
; IeeeMode: 1
; LDSByteSize: 16384 bytes/workgroup (compile time only)
; SGPRBlocks: 4
; VGPRBlocks: 2
; NumSGPRsForWavesPerEU: 38
; NumVGPRsForWavesPerEU: 24
; AccumOffset: 24
; Occupancy: 4
; WaveLimiterHint : 1
; COMPUTE_PGM_RSRC2:SCRATCH_EN: 1
; COMPUTE_PGM_RSRC2:USER_SGPR: 8
; COMPUTE_PGM_RSRC2:TRAP_HANDLER: 0
; COMPUTE_PGM_RSRC2:TGID_X_EN: 1
; COMPUTE_PGM_RSRC2:TGID_Y_EN: 0
; COMPUTE_PGM_RSRC2:TGID_Z_EN: 0
; COMPUTE_PGM_RSRC2:TIDIG_COMP_CNT: 0
; COMPUTE_PGM_RSRC3_GFX90A:ACCUM_OFFSET: 5
; COMPUTE_PGM_RSRC3_GFX90A:TG_SPLIT: 0
	.section	.text._ZN9rocsparseL41csrmvn_lrb_medium_rows_warp_reduce_kernelILj256ELj32Eii21rocsparse_complex_numIfES1_IdES3_S3_EEvbT1_lPT2_S6_jNS_24const_host_device_scalarIT6_EEPKS4_PKS5_PKT3_PKT4_S9_PT5_21rocsparse_index_base_b,"axG",@progbits,_ZN9rocsparseL41csrmvn_lrb_medium_rows_warp_reduce_kernelILj256ELj32Eii21rocsparse_complex_numIfES1_IdES3_S3_EEvbT1_lPT2_S6_jNS_24const_host_device_scalarIT6_EEPKS4_PKS5_PKT3_PKT4_S9_PT5_21rocsparse_index_base_b,comdat
	.globl	_ZN9rocsparseL41csrmvn_lrb_medium_rows_warp_reduce_kernelILj256ELj32Eii21rocsparse_complex_numIfES1_IdES3_S3_EEvbT1_lPT2_S6_jNS_24const_host_device_scalarIT6_EEPKS4_PKS5_PKT3_PKT4_S9_PT5_21rocsparse_index_base_b ; -- Begin function _ZN9rocsparseL41csrmvn_lrb_medium_rows_warp_reduce_kernelILj256ELj32Eii21rocsparse_complex_numIfES1_IdES3_S3_EEvbT1_lPT2_S6_jNS_24const_host_device_scalarIT6_EEPKS4_PKS5_PKT3_PKT4_S9_PT5_21rocsparse_index_base_b
	.p2align	8
	.type	_ZN9rocsparseL41csrmvn_lrb_medium_rows_warp_reduce_kernelILj256ELj32Eii21rocsparse_complex_numIfES1_IdES3_S3_EEvbT1_lPT2_S6_jNS_24const_host_device_scalarIT6_EEPKS4_PKS5_PKT3_PKT4_S9_PT5_21rocsparse_index_base_b,@function
_ZN9rocsparseL41csrmvn_lrb_medium_rows_warp_reduce_kernelILj256ELj32Eii21rocsparse_complex_numIfES1_IdES3_S3_EEvbT1_lPT2_S6_jNS_24const_host_device_scalarIT6_EEPKS4_PKS5_PKT3_PKT4_S9_PT5_21rocsparse_index_base_b: ; @_ZN9rocsparseL41csrmvn_lrb_medium_rows_warp_reduce_kernelILj256ELj32Eii21rocsparse_complex_numIfES1_IdES3_S3_EEvbT1_lPT2_S6_jNS_24const_host_device_scalarIT6_EEPKS4_PKS5_PKT3_PKT4_S9_PT5_21rocsparse_index_base_b
; %bb.0:
	s_load_dwordx2 s[10:11], s[6:7], 0x70
	s_load_dwordx4 s[12:15], s[6:7], 0x28
	s_load_dwordx2 s[20:21], s[4:5], 0x4
	s_load_dwordx4 s[16:19], s[6:7], 0x58
	s_mov_b64 s[2:3], src_shared_base
	v_and_b32_e32 v10, 0x3ff, v0
	s_waitcnt lgkmcnt(0)
	s_bitcmp1_b32 s11, 0
	s_cselect_b64 s[0:1], -1, 0
	s_and_b64 vcc, s[0:1], exec
	s_cselect_b32 s2, s3, s13
	s_lshr_b32 s4, s20, 16
	s_mul_i32 s4, s4, s21
	v_mul_lo_u32 v1, s4, v10
	v_bfe_u32 v2, v0, 10, 10
	v_mad_u32_u24 v1, v2, s21, v1
	v_bfe_u32 v0, v0, 20, 10
	v_add_lshl_u32 v4, v1, v0, 3
	v_mov_b32_e32 v5, s12
	v_add_u32_e32 v6, 0x800, v4
	v_pk_mov_b32 v[0:1], s[12:13], s[12:13] op_sel:[0,1]
	v_pk_mov_b32 v[2:3], s[16:17], s[16:17] op_sel:[0,1]
	ds_write2st64_b64 v4, v[2:3], v[0:1] offset1:4
	v_cndmask_b32_e64 v0, v5, v6, s[0:1]
	v_mov_b32_e32 v1, s2
	flat_load_dwordx2 v[0:1], v[0:1]
	s_xor_b64 s[4:5], s[0:1], -1
	v_pk_mov_b32 v[2:3], s[14:15], s[14:15] op_sel:[0,1]
	s_cbranch_vccnz .LBB208_2
; %bb.1:
	v_pk_mov_b32 v[2:3], s[12:13], s[12:13] op_sel:[0,1]
	flat_load_dwordx2 v[2:3], v[2:3] offset:8
.LBB208_2:
	s_and_b64 s[12:13], s[0:1], exec
	s_cselect_b32 s2, s3, s17
	v_mov_b32_e32 v5, s16
	v_cndmask_b32_e64 v4, v5, v4, s[0:1]
	v_mov_b32_e32 v5, s2
	flat_load_dwordx2 v[4:5], v[4:5]
	s_andn2_b64 vcc, exec, s[4:5]
	v_pk_mov_b32 v[6:7], s[18:19], s[18:19] op_sel:[0,1]
	s_cbranch_vccnz .LBB208_4
; %bb.3:
	v_pk_mov_b32 v[6:7], s[16:17], s[16:17] op_sel:[0,1]
	flat_load_dwordx2 v[6:7], v[6:7] offset:8
.LBB208_4:
	s_waitcnt vmcnt(0) lgkmcnt(0)
	v_cmp_eq_f64_e32 vcc, 0, v[0:1]
	v_cmp_eq_f64_e64 s[0:1], 0, v[2:3]
	s_and_b64 s[4:5], vcc, s[0:1]
	s_mov_b64 s[0:1], -1
	s_and_saveexec_b64 s[2:3], s[4:5]
; %bb.5:
	v_cmp_neq_f64_e32 vcc, 1.0, v[4:5]
	v_cmp_neq_f64_e64 s[0:1], 0, v[6:7]
	s_or_b64 s[0:1], vcc, s[0:1]
	s_orn2_b64 s[0:1], s[0:1], exec
; %bb.6:
	s_or_b64 exec, exec, s[2:3]
	s_and_saveexec_b64 s[2:3], s[0:1]
	s_cbranch_execz .LBB208_16
; %bb.7:
	s_load_dwordx2 s[0:1], s[6:7], 0x8
	v_lshrrev_b32_e32 v8, 5, v10
	v_lshl_or_b32 v8, s8, 3, v8
	v_ashrrev_i32_e32 v9, 31, v8
	s_waitcnt lgkmcnt(0)
	v_cmp_gt_i64_e32 vcc, s[0:1], v[8:9]
	s_and_b64 exec, exec, vcc
	s_cbranch_execz .LBB208_16
; %bb.8:
	s_load_dword s4, s[6:7], 0x20
	s_load_dwordx4 s[0:3], s[6:7], 0x10
	s_mov_b32 s5, 0
	v_and_b32_e32 v16, 31, v10
	v_subrev_u32_e32 v14, s10, v16
	s_waitcnt lgkmcnt(0)
	s_lshl_b64 s[4:5], s[4:5], 2
	s_add_u32 s2, s2, s4
	s_addc_u32 s3, s3, s5
	s_load_dword s2, s[2:3], 0x0
	v_mov_b32_e32 v11, s1
	s_load_dwordx2 s[4:5], s[6:7], 0x68
	s_waitcnt lgkmcnt(0)
	v_add_u32_e32 v8, s2, v8
	v_ashrrev_i32_e32 v9, 31, v8
	v_lshlrev_b64 v[8:9], 2, v[8:9]
	v_add_co_u32_e32 v8, vcc, s0, v8
	v_addc_co_u32_e32 v9, vcc, v11, v9, vcc
	global_load_dword v8, v[8:9], off
	s_load_dwordx2 s[0:1], s[6:7], 0x38
	s_waitcnt lgkmcnt(0)
	v_mov_b32_e32 v11, s1
	s_waitcnt vmcnt(0)
	v_ashrrev_i32_e32 v9, 31, v8
	v_lshlrev_b64 v[12:13], 2, v[8:9]
	v_add_co_u32_e32 v12, vcc, s0, v12
	v_addc_co_u32_e32 v13, vcc, v11, v13, vcc
	global_load_dwordx2 v[12:13], v[12:13], off
	v_pk_mov_b32 v[10:11], 0, 0
	s_waitcnt vmcnt(0)
	v_subrev_u32_e32 v17, s10, v13
	v_add_u32_e32 v12, v12, v14
	v_cmp_lt_i32_e32 vcc, v12, v17
	v_pk_mov_b32 v[14:15], v[10:11], v[10:11] op_sel:[0,1]
	s_and_saveexec_b64 s[8:9], vcc
	s_cbranch_execz .LBB208_12
; %bb.9:
	s_load_dword s11, s[6:7], 0x0
	s_load_dwordx4 s[0:3], s[6:7], 0x40
	s_load_dwordx2 s[12:13], s[6:7], 0x50
	v_pk_mov_b32 v[10:11], 0, 0
	s_mov_b64 s[6:7], 0
	s_waitcnt lgkmcnt(0)
	s_bitcmp1_b32 s11, 0
	s_cselect_b64 s[14:15], -1, 0
	v_mov_b32_e32 v18, s3
	v_mov_b32_e32 v19, s1
	;; [unrolled: 1-line block ×3, first 2 shown]
	v_pk_mov_b32 v[14:15], v[10:11], v[10:11] op_sel:[0,1]
.LBB208_10:                             ; =>This Inner Loop Header: Depth=1
	v_ashrrev_i32_e32 v13, 31, v12
	v_lshlrev_b64 v[22:23], 2, v[12:13]
	v_add_co_u32_e32 v22, vcc, s0, v22
	v_addc_co_u32_e32 v23, vcc, v19, v23, vcc
	global_load_dword v21, v[22:23], off
	v_lshlrev_b64 v[22:23], 3, v[12:13]
	v_add_co_u32_e32 v22, vcc, s2, v22
	v_addc_co_u32_e32 v23, vcc, v18, v23, vcc
	global_load_dwordx2 v[26:27], v[22:23], off
	v_add_u32_e32 v12, 32, v12
	s_waitcnt vmcnt(1)
	v_subrev_u32_e32 v22, s10, v21
	v_ashrrev_i32_e32 v23, 31, v22
	v_lshlrev_b64 v[22:23], 4, v[22:23]
	v_add_co_u32_e32 v22, vcc, s12, v22
	v_addc_co_u32_e32 v23, vcc, v20, v23, vcc
	global_load_dwordx4 v[22:25], v[22:23], off
	s_waitcnt vmcnt(1)
	v_cndmask_b32_e64 v13, v27, -v27, s[14:15]
	v_cvt_f64_f32_e32 v[28:29], v13
	v_cvt_f64_f32_e32 v[26:27], v26
	v_mul_f64 v[30:31], -v[2:3], v[28:29]
	v_mul_f64 v[28:29], v[0:1], v[28:29]
	v_fmac_f64_e32 v[30:31], v[0:1], v[26:27]
	v_fmac_f64_e32 v[28:29], v[2:3], v[26:27]
	v_cmp_ge_i32_e32 vcc, v12, v17
	s_or_b64 s[6:7], vcc, s[6:7]
	s_waitcnt vmcnt(0)
	v_fmac_f64_e32 v[14:15], v[30:31], v[22:23]
	v_fmac_f64_e32 v[10:11], v[28:29], v[22:23]
	v_fma_f64 v[14:15], -v[28:29], v[24:25], v[14:15]
	v_fmac_f64_e32 v[10:11], v[30:31], v[24:25]
	s_andn2_b64 exec, exec, s[6:7]
	s_cbranch_execnz .LBB208_10
; %bb.11:
	s_or_b64 exec, exec, s[6:7]
.LBB208_12:
	s_or_b64 exec, exec, s[8:9]
	v_mov_b32_dpp v0, v14 row_shr:1 row_mask:0xf bank_mask:0xf
	v_mov_b32_dpp v1, v15 row_shr:1 row_mask:0xf bank_mask:0xf
	;; [unrolled: 1-line block ×4, first 2 shown]
	v_add_f64 v[0:1], v[14:15], v[0:1]
	v_add_f64 v[10:11], v[10:11], v[12:13]
	v_cmp_eq_u32_e32 vcc, 31, v16
	v_mov_b32_dpp v2, v0 row_shr:2 row_mask:0xf bank_mask:0xf
	v_mov_b32_dpp v3, v1 row_shr:2 row_mask:0xf bank_mask:0xf
	v_mov_b32_dpp v12, v10 row_shr:2 row_mask:0xf bank_mask:0xf
	v_mov_b32_dpp v13, v11 row_shr:2 row_mask:0xf bank_mask:0xf
	v_add_f64 v[0:1], v[0:1], v[2:3]
	v_add_f64 v[10:11], v[10:11], v[12:13]
	s_nop 0
	v_mov_b32_dpp v2, v0 row_shr:4 row_mask:0xf bank_mask:0xe
	v_mov_b32_dpp v3, v1 row_shr:4 row_mask:0xf bank_mask:0xe
	v_mov_b32_dpp v12, v10 row_shr:4 row_mask:0xf bank_mask:0xe
	v_mov_b32_dpp v13, v11 row_shr:4 row_mask:0xf bank_mask:0xe
	v_add_f64 v[0:1], v[0:1], v[2:3]
	v_add_f64 v[10:11], v[10:11], v[12:13]
	s_nop 0
	;; [unrolled: 7-line block ×3, first 2 shown]
	v_mov_b32_dpp v2, v0 row_bcast:15 row_mask:0xa bank_mask:0xf
	v_mov_b32_dpp v3, v1 row_bcast:15 row_mask:0xa bank_mask:0xf
	;; [unrolled: 1-line block ×4, first 2 shown]
	s_and_b64 exec, exec, vcc
	s_cbranch_execz .LBB208_16
; %bb.13:
	v_cmp_neq_f64_e32 vcc, 0, v[4:5]
	v_cmp_neq_f64_e64 s[0:1], 0, v[6:7]
	v_add_f64 v[0:1], v[0:1], v[2:3]
	v_add_f64 v[2:3], v[10:11], v[12:13]
	s_or_b64 s[2:3], vcc, s[0:1]
	v_lshlrev_b64 v[8:9], 4, v[8:9]
	s_and_saveexec_b64 s[0:1], s[2:3]
	s_cbranch_execz .LBB208_15
; %bb.14:
	v_mov_b32_e32 v11, s5
	v_add_co_u32_e32 v10, vcc, s4, v8
	v_addc_co_u32_e32 v11, vcc, v11, v9, vcc
	global_load_dwordx4 v[10:13], v[10:11], off
	s_waitcnt vmcnt(0)
	v_fmac_f64_e32 v[0:1], v[4:5], v[10:11]
	v_fmac_f64_e32 v[2:3], v[6:7], v[10:11]
	v_fma_f64 v[0:1], -v[6:7], v[12:13], v[0:1]
	v_fmac_f64_e32 v[2:3], v[4:5], v[12:13]
.LBB208_15:
	s_or_b64 exec, exec, s[0:1]
	v_mov_b32_e32 v5, s5
	v_add_co_u32_e32 v4, vcc, s4, v8
	v_addc_co_u32_e32 v5, vcc, v5, v9, vcc
	global_store_dwordx4 v[4:5], v[0:3], off
.LBB208_16:
	s_endpgm
	.section	.rodata,"a",@progbits
	.p2align	6, 0x0
	.amdhsa_kernel _ZN9rocsparseL41csrmvn_lrb_medium_rows_warp_reduce_kernelILj256ELj32Eii21rocsparse_complex_numIfES1_IdES3_S3_EEvbT1_lPT2_S6_jNS_24const_host_device_scalarIT6_EEPKS4_PKS5_PKT3_PKT4_S9_PT5_21rocsparse_index_base_b
		.amdhsa_group_segment_fixed_size 4096
		.amdhsa_private_segment_fixed_size 0
		.amdhsa_kernarg_size 120
		.amdhsa_user_sgpr_count 8
		.amdhsa_user_sgpr_private_segment_buffer 1
		.amdhsa_user_sgpr_dispatch_ptr 1
		.amdhsa_user_sgpr_queue_ptr 0
		.amdhsa_user_sgpr_kernarg_segment_ptr 1
		.amdhsa_user_sgpr_dispatch_id 0
		.amdhsa_user_sgpr_flat_scratch_init 0
		.amdhsa_user_sgpr_kernarg_preload_length 0
		.amdhsa_user_sgpr_kernarg_preload_offset 0
		.amdhsa_user_sgpr_private_segment_size 0
		.amdhsa_uses_dynamic_stack 0
		.amdhsa_system_sgpr_private_segment_wavefront_offset 0
		.amdhsa_system_sgpr_workgroup_id_x 1
		.amdhsa_system_sgpr_workgroup_id_y 0
		.amdhsa_system_sgpr_workgroup_id_z 0
		.amdhsa_system_sgpr_workgroup_info 0
		.amdhsa_system_vgpr_workitem_id 2
		.amdhsa_next_free_vgpr 32
		.amdhsa_next_free_sgpr 22
		.amdhsa_accum_offset 32
		.amdhsa_reserve_vcc 1
		.amdhsa_reserve_flat_scratch 0
		.amdhsa_float_round_mode_32 0
		.amdhsa_float_round_mode_16_64 0
		.amdhsa_float_denorm_mode_32 3
		.amdhsa_float_denorm_mode_16_64 3
		.amdhsa_dx10_clamp 1
		.amdhsa_ieee_mode 1
		.amdhsa_fp16_overflow 0
		.amdhsa_tg_split 0
		.amdhsa_exception_fp_ieee_invalid_op 0
		.amdhsa_exception_fp_denorm_src 0
		.amdhsa_exception_fp_ieee_div_zero 0
		.amdhsa_exception_fp_ieee_overflow 0
		.amdhsa_exception_fp_ieee_underflow 0
		.amdhsa_exception_fp_ieee_inexact 0
		.amdhsa_exception_int_div_zero 0
	.end_amdhsa_kernel
	.section	.text._ZN9rocsparseL41csrmvn_lrb_medium_rows_warp_reduce_kernelILj256ELj32Eii21rocsparse_complex_numIfES1_IdES3_S3_EEvbT1_lPT2_S6_jNS_24const_host_device_scalarIT6_EEPKS4_PKS5_PKT3_PKT4_S9_PT5_21rocsparse_index_base_b,"axG",@progbits,_ZN9rocsparseL41csrmvn_lrb_medium_rows_warp_reduce_kernelILj256ELj32Eii21rocsparse_complex_numIfES1_IdES3_S3_EEvbT1_lPT2_S6_jNS_24const_host_device_scalarIT6_EEPKS4_PKS5_PKT3_PKT4_S9_PT5_21rocsparse_index_base_b,comdat
.Lfunc_end208:
	.size	_ZN9rocsparseL41csrmvn_lrb_medium_rows_warp_reduce_kernelILj256ELj32Eii21rocsparse_complex_numIfES1_IdES3_S3_EEvbT1_lPT2_S6_jNS_24const_host_device_scalarIT6_EEPKS4_PKS5_PKT3_PKT4_S9_PT5_21rocsparse_index_base_b, .Lfunc_end208-_ZN9rocsparseL41csrmvn_lrb_medium_rows_warp_reduce_kernelILj256ELj32Eii21rocsparse_complex_numIfES1_IdES3_S3_EEvbT1_lPT2_S6_jNS_24const_host_device_scalarIT6_EEPKS4_PKS5_PKT3_PKT4_S9_PT5_21rocsparse_index_base_b
                                        ; -- End function
	.section	.AMDGPU.csdata,"",@progbits
; Kernel info:
; codeLenInByte = 1172
; NumSgprs: 26
; NumVgprs: 32
; NumAgprs: 0
; TotalNumVgprs: 32
; ScratchSize: 0
; MemoryBound: 0
; FloatMode: 240
; IeeeMode: 1
; LDSByteSize: 4096 bytes/workgroup (compile time only)
; SGPRBlocks: 3
; VGPRBlocks: 3
; NumSGPRsForWavesPerEU: 26
; NumVGPRsForWavesPerEU: 32
; AccumOffset: 32
; Occupancy: 8
; WaveLimiterHint : 1
; COMPUTE_PGM_RSRC2:SCRATCH_EN: 0
; COMPUTE_PGM_RSRC2:USER_SGPR: 8
; COMPUTE_PGM_RSRC2:TRAP_HANDLER: 0
; COMPUTE_PGM_RSRC2:TGID_X_EN: 1
; COMPUTE_PGM_RSRC2:TGID_Y_EN: 0
; COMPUTE_PGM_RSRC2:TGID_Z_EN: 0
; COMPUTE_PGM_RSRC2:TIDIG_COMP_CNT: 2
; COMPUTE_PGM_RSRC3_GFX90A:ACCUM_OFFSET: 7
; COMPUTE_PGM_RSRC3_GFX90A:TG_SPLIT: 0
	.section	.text._ZN9rocsparseL41csrmvn_lrb_medium_rows_warp_reduce_kernelILj256ELj64Eii21rocsparse_complex_numIfES1_IdES3_S3_EEvbT1_lPT2_S6_jNS_24const_host_device_scalarIT6_EEPKS4_PKS5_PKT3_PKT4_S9_PT5_21rocsparse_index_base_b,"axG",@progbits,_ZN9rocsparseL41csrmvn_lrb_medium_rows_warp_reduce_kernelILj256ELj64Eii21rocsparse_complex_numIfES1_IdES3_S3_EEvbT1_lPT2_S6_jNS_24const_host_device_scalarIT6_EEPKS4_PKS5_PKT3_PKT4_S9_PT5_21rocsparse_index_base_b,comdat
	.globl	_ZN9rocsparseL41csrmvn_lrb_medium_rows_warp_reduce_kernelILj256ELj64Eii21rocsparse_complex_numIfES1_IdES3_S3_EEvbT1_lPT2_S6_jNS_24const_host_device_scalarIT6_EEPKS4_PKS5_PKT3_PKT4_S9_PT5_21rocsparse_index_base_b ; -- Begin function _ZN9rocsparseL41csrmvn_lrb_medium_rows_warp_reduce_kernelILj256ELj64Eii21rocsparse_complex_numIfES1_IdES3_S3_EEvbT1_lPT2_S6_jNS_24const_host_device_scalarIT6_EEPKS4_PKS5_PKT3_PKT4_S9_PT5_21rocsparse_index_base_b
	.p2align	8
	.type	_ZN9rocsparseL41csrmvn_lrb_medium_rows_warp_reduce_kernelILj256ELj64Eii21rocsparse_complex_numIfES1_IdES3_S3_EEvbT1_lPT2_S6_jNS_24const_host_device_scalarIT6_EEPKS4_PKS5_PKT3_PKT4_S9_PT5_21rocsparse_index_base_b,@function
_ZN9rocsparseL41csrmvn_lrb_medium_rows_warp_reduce_kernelILj256ELj64Eii21rocsparse_complex_numIfES1_IdES3_S3_EEvbT1_lPT2_S6_jNS_24const_host_device_scalarIT6_EEPKS4_PKS5_PKT3_PKT4_S9_PT5_21rocsparse_index_base_b: ; @_ZN9rocsparseL41csrmvn_lrb_medium_rows_warp_reduce_kernelILj256ELj64Eii21rocsparse_complex_numIfES1_IdES3_S3_EEvbT1_lPT2_S6_jNS_24const_host_device_scalarIT6_EEPKS4_PKS5_PKT3_PKT4_S9_PT5_21rocsparse_index_base_b
; %bb.0:
	s_load_dwordx2 s[10:11], s[6:7], 0x70
	s_load_dwordx4 s[12:15], s[6:7], 0x28
	s_load_dwordx2 s[20:21], s[4:5], 0x4
	s_load_dwordx4 s[16:19], s[6:7], 0x58
	s_mov_b64 s[2:3], src_shared_base
	v_and_b32_e32 v10, 0x3ff, v0
	s_waitcnt lgkmcnt(0)
	s_bitcmp1_b32 s11, 0
	s_cselect_b64 s[0:1], -1, 0
	s_and_b64 vcc, s[0:1], exec
	s_cselect_b32 s2, s3, s13
	s_lshr_b32 s4, s20, 16
	s_mul_i32 s4, s4, s21
	v_mul_lo_u32 v1, s4, v10
	v_bfe_u32 v2, v0, 10, 10
	v_mad_u32_u24 v1, v2, s21, v1
	v_bfe_u32 v0, v0, 20, 10
	v_add_lshl_u32 v4, v1, v0, 3
	v_mov_b32_e32 v5, s12
	v_add_u32_e32 v6, 0x800, v4
	v_pk_mov_b32 v[0:1], s[12:13], s[12:13] op_sel:[0,1]
	v_pk_mov_b32 v[2:3], s[16:17], s[16:17] op_sel:[0,1]
	ds_write2st64_b64 v4, v[2:3], v[0:1] offset1:4
	v_cndmask_b32_e64 v0, v5, v6, s[0:1]
	v_mov_b32_e32 v1, s2
	flat_load_dwordx2 v[0:1], v[0:1]
	s_xor_b64 s[4:5], s[0:1], -1
	v_pk_mov_b32 v[2:3], s[14:15], s[14:15] op_sel:[0,1]
	s_cbranch_vccnz .LBB209_2
; %bb.1:
	v_pk_mov_b32 v[2:3], s[12:13], s[12:13] op_sel:[0,1]
	flat_load_dwordx2 v[2:3], v[2:3] offset:8
.LBB209_2:
	s_and_b64 s[12:13], s[0:1], exec
	s_cselect_b32 s2, s3, s17
	v_mov_b32_e32 v5, s16
	v_cndmask_b32_e64 v4, v5, v4, s[0:1]
	v_mov_b32_e32 v5, s2
	flat_load_dwordx2 v[4:5], v[4:5]
	s_andn2_b64 vcc, exec, s[4:5]
	v_pk_mov_b32 v[6:7], s[18:19], s[18:19] op_sel:[0,1]
	s_cbranch_vccnz .LBB209_4
; %bb.3:
	v_pk_mov_b32 v[6:7], s[16:17], s[16:17] op_sel:[0,1]
	flat_load_dwordx2 v[6:7], v[6:7] offset:8
.LBB209_4:
	s_waitcnt vmcnt(0) lgkmcnt(0)
	v_cmp_eq_f64_e32 vcc, 0, v[0:1]
	v_cmp_eq_f64_e64 s[0:1], 0, v[2:3]
	s_and_b64 s[4:5], vcc, s[0:1]
	s_mov_b64 s[0:1], -1
	s_and_saveexec_b64 s[2:3], s[4:5]
; %bb.5:
	v_cmp_neq_f64_e32 vcc, 1.0, v[4:5]
	v_cmp_neq_f64_e64 s[0:1], 0, v[6:7]
	s_or_b64 s[0:1], vcc, s[0:1]
	s_orn2_b64 s[0:1], s[0:1], exec
; %bb.6:
	s_or_b64 exec, exec, s[2:3]
	s_and_saveexec_b64 s[2:3], s[0:1]
	s_cbranch_execz .LBB209_16
; %bb.7:
	s_load_dwordx2 s[0:1], s[6:7], 0x8
	v_lshrrev_b32_e32 v8, 6, v10
	v_lshl_or_b32 v8, s8, 2, v8
	v_ashrrev_i32_e32 v9, 31, v8
	s_waitcnt lgkmcnt(0)
	v_cmp_gt_i64_e32 vcc, s[0:1], v[8:9]
	s_and_b64 exec, exec, vcc
	s_cbranch_execz .LBB209_16
; %bb.8:
	s_load_dword s4, s[6:7], 0x20
	s_load_dwordx4 s[0:3], s[6:7], 0x10
	s_mov_b32 s5, 0
	v_and_b32_e32 v16, 63, v10
	v_subrev_u32_e32 v14, s10, v16
	s_waitcnt lgkmcnt(0)
	s_lshl_b64 s[4:5], s[4:5], 2
	s_add_u32 s2, s2, s4
	s_addc_u32 s3, s3, s5
	s_load_dword s2, s[2:3], 0x0
	v_mov_b32_e32 v11, s1
	s_load_dwordx2 s[4:5], s[6:7], 0x68
	s_waitcnt lgkmcnt(0)
	v_add_u32_e32 v8, s2, v8
	v_ashrrev_i32_e32 v9, 31, v8
	v_lshlrev_b64 v[8:9], 2, v[8:9]
	v_add_co_u32_e32 v8, vcc, s0, v8
	v_addc_co_u32_e32 v9, vcc, v11, v9, vcc
	global_load_dword v8, v[8:9], off
	s_load_dwordx2 s[0:1], s[6:7], 0x38
	s_waitcnt lgkmcnt(0)
	v_mov_b32_e32 v11, s1
	s_waitcnt vmcnt(0)
	v_ashrrev_i32_e32 v9, 31, v8
	v_lshlrev_b64 v[12:13], 2, v[8:9]
	v_add_co_u32_e32 v12, vcc, s0, v12
	v_addc_co_u32_e32 v13, vcc, v11, v13, vcc
	global_load_dwordx2 v[12:13], v[12:13], off
	v_pk_mov_b32 v[10:11], 0, 0
	s_waitcnt vmcnt(0)
	v_subrev_u32_e32 v17, s10, v13
	v_add_u32_e32 v12, v12, v14
	v_cmp_lt_i32_e32 vcc, v12, v17
	v_pk_mov_b32 v[14:15], v[10:11], v[10:11] op_sel:[0,1]
	s_and_saveexec_b64 s[8:9], vcc
	s_cbranch_execz .LBB209_12
; %bb.9:
	s_load_dword s11, s[6:7], 0x0
	s_load_dwordx4 s[0:3], s[6:7], 0x40
	s_load_dwordx2 s[12:13], s[6:7], 0x50
	v_pk_mov_b32 v[10:11], 0, 0
	s_mov_b64 s[6:7], 0
	s_waitcnt lgkmcnt(0)
	s_bitcmp1_b32 s11, 0
	s_cselect_b64 s[14:15], -1, 0
	v_mov_b32_e32 v18, s3
	v_mov_b32_e32 v19, s1
	;; [unrolled: 1-line block ×3, first 2 shown]
	v_pk_mov_b32 v[14:15], v[10:11], v[10:11] op_sel:[0,1]
.LBB209_10:                             ; =>This Inner Loop Header: Depth=1
	v_ashrrev_i32_e32 v13, 31, v12
	v_lshlrev_b64 v[22:23], 2, v[12:13]
	v_add_co_u32_e32 v22, vcc, s0, v22
	v_addc_co_u32_e32 v23, vcc, v19, v23, vcc
	global_load_dword v21, v[22:23], off
	v_lshlrev_b64 v[22:23], 3, v[12:13]
	v_add_co_u32_e32 v22, vcc, s2, v22
	v_addc_co_u32_e32 v23, vcc, v18, v23, vcc
	global_load_dwordx2 v[26:27], v[22:23], off
	v_add_u32_e32 v12, 64, v12
	s_waitcnt vmcnt(1)
	v_subrev_u32_e32 v22, s10, v21
	v_ashrrev_i32_e32 v23, 31, v22
	v_lshlrev_b64 v[22:23], 4, v[22:23]
	v_add_co_u32_e32 v22, vcc, s12, v22
	v_addc_co_u32_e32 v23, vcc, v20, v23, vcc
	global_load_dwordx4 v[22:25], v[22:23], off
	s_waitcnt vmcnt(1)
	v_cndmask_b32_e64 v13, v27, -v27, s[14:15]
	v_cvt_f64_f32_e32 v[28:29], v13
	v_cvt_f64_f32_e32 v[26:27], v26
	v_mul_f64 v[30:31], -v[2:3], v[28:29]
	v_mul_f64 v[28:29], v[0:1], v[28:29]
	v_fmac_f64_e32 v[30:31], v[0:1], v[26:27]
	v_fmac_f64_e32 v[28:29], v[2:3], v[26:27]
	v_cmp_ge_i32_e32 vcc, v12, v17
	s_or_b64 s[6:7], vcc, s[6:7]
	s_waitcnt vmcnt(0)
	v_fmac_f64_e32 v[14:15], v[30:31], v[22:23]
	v_fmac_f64_e32 v[10:11], v[28:29], v[22:23]
	v_fma_f64 v[14:15], -v[28:29], v[24:25], v[14:15]
	v_fmac_f64_e32 v[10:11], v[30:31], v[24:25]
	s_andn2_b64 exec, exec, s[6:7]
	s_cbranch_execnz .LBB209_10
; %bb.11:
	s_or_b64 exec, exec, s[6:7]
.LBB209_12:
	s_or_b64 exec, exec, s[8:9]
	v_mov_b32_dpp v0, v14 row_shr:1 row_mask:0xf bank_mask:0xf
	v_mov_b32_dpp v1, v15 row_shr:1 row_mask:0xf bank_mask:0xf
	v_mov_b32_dpp v12, v10 row_shr:1 row_mask:0xf bank_mask:0xf
	v_mov_b32_dpp v13, v11 row_shr:1 row_mask:0xf bank_mask:0xf
	v_add_f64 v[0:1], v[14:15], v[0:1]
	v_add_f64 v[10:11], v[10:11], v[12:13]
	v_cmp_eq_u32_e32 vcc, 63, v16
	v_mov_b32_dpp v2, v0 row_shr:2 row_mask:0xf bank_mask:0xf
	v_mov_b32_dpp v3, v1 row_shr:2 row_mask:0xf bank_mask:0xf
	v_mov_b32_dpp v12, v10 row_shr:2 row_mask:0xf bank_mask:0xf
	v_mov_b32_dpp v13, v11 row_shr:2 row_mask:0xf bank_mask:0xf
	v_add_f64 v[0:1], v[0:1], v[2:3]
	v_add_f64 v[10:11], v[10:11], v[12:13]
	s_nop 0
	v_mov_b32_dpp v2, v0 row_shr:4 row_mask:0xf bank_mask:0xe
	v_mov_b32_dpp v3, v1 row_shr:4 row_mask:0xf bank_mask:0xe
	v_mov_b32_dpp v12, v10 row_shr:4 row_mask:0xf bank_mask:0xe
	v_mov_b32_dpp v13, v11 row_shr:4 row_mask:0xf bank_mask:0xe
	v_add_f64 v[0:1], v[0:1], v[2:3]
	v_add_f64 v[10:11], v[10:11], v[12:13]
	s_nop 0
	v_mov_b32_dpp v2, v0 row_shr:8 row_mask:0xf bank_mask:0xc
	v_mov_b32_dpp v3, v1 row_shr:8 row_mask:0xf bank_mask:0xc
	v_mov_b32_dpp v12, v10 row_shr:8 row_mask:0xf bank_mask:0xc
	v_mov_b32_dpp v13, v11 row_shr:8 row_mask:0xf bank_mask:0xc
	v_add_f64 v[0:1], v[0:1], v[2:3]
	v_add_f64 v[10:11], v[10:11], v[12:13]
	s_nop 0
	v_mov_b32_dpp v2, v0 row_bcast:15 row_mask:0xa bank_mask:0xf
	v_mov_b32_dpp v3, v1 row_bcast:15 row_mask:0xa bank_mask:0xf
	;; [unrolled: 1-line block ×4, first 2 shown]
	v_add_f64 v[0:1], v[0:1], v[2:3]
	v_add_f64 v[10:11], v[10:11], v[12:13]
	s_nop 0
	v_mov_b32_dpp v2, v0 row_bcast:31 row_mask:0xc bank_mask:0xf
	v_mov_b32_dpp v3, v1 row_bcast:31 row_mask:0xc bank_mask:0xf
	;; [unrolled: 1-line block ×4, first 2 shown]
	s_and_b64 exec, exec, vcc
	s_cbranch_execz .LBB209_16
; %bb.13:
	v_cmp_neq_f64_e32 vcc, 0, v[4:5]
	v_cmp_neq_f64_e64 s[0:1], 0, v[6:7]
	v_add_f64 v[0:1], v[0:1], v[2:3]
	v_add_f64 v[2:3], v[10:11], v[12:13]
	s_or_b64 s[2:3], vcc, s[0:1]
	v_lshlrev_b64 v[8:9], 4, v[8:9]
	s_and_saveexec_b64 s[0:1], s[2:3]
	s_cbranch_execz .LBB209_15
; %bb.14:
	v_mov_b32_e32 v11, s5
	v_add_co_u32_e32 v10, vcc, s4, v8
	v_addc_co_u32_e32 v11, vcc, v11, v9, vcc
	global_load_dwordx4 v[10:13], v[10:11], off
	s_waitcnt vmcnt(0)
	v_fmac_f64_e32 v[0:1], v[4:5], v[10:11]
	v_fmac_f64_e32 v[2:3], v[6:7], v[10:11]
	v_fma_f64 v[0:1], -v[6:7], v[12:13], v[0:1]
	v_fmac_f64_e32 v[2:3], v[4:5], v[12:13]
.LBB209_15:
	s_or_b64 exec, exec, s[0:1]
	v_mov_b32_e32 v5, s5
	v_add_co_u32_e32 v4, vcc, s4, v8
	v_addc_co_u32_e32 v5, vcc, v5, v9, vcc
	global_store_dwordx4 v[4:5], v[0:3], off
.LBB209_16:
	s_endpgm
	.section	.rodata,"a",@progbits
	.p2align	6, 0x0
	.amdhsa_kernel _ZN9rocsparseL41csrmvn_lrb_medium_rows_warp_reduce_kernelILj256ELj64Eii21rocsparse_complex_numIfES1_IdES3_S3_EEvbT1_lPT2_S6_jNS_24const_host_device_scalarIT6_EEPKS4_PKS5_PKT3_PKT4_S9_PT5_21rocsparse_index_base_b
		.amdhsa_group_segment_fixed_size 4096
		.amdhsa_private_segment_fixed_size 0
		.amdhsa_kernarg_size 120
		.amdhsa_user_sgpr_count 8
		.amdhsa_user_sgpr_private_segment_buffer 1
		.amdhsa_user_sgpr_dispatch_ptr 1
		.amdhsa_user_sgpr_queue_ptr 0
		.amdhsa_user_sgpr_kernarg_segment_ptr 1
		.amdhsa_user_sgpr_dispatch_id 0
		.amdhsa_user_sgpr_flat_scratch_init 0
		.amdhsa_user_sgpr_kernarg_preload_length 0
		.amdhsa_user_sgpr_kernarg_preload_offset 0
		.amdhsa_user_sgpr_private_segment_size 0
		.amdhsa_uses_dynamic_stack 0
		.amdhsa_system_sgpr_private_segment_wavefront_offset 0
		.amdhsa_system_sgpr_workgroup_id_x 1
		.amdhsa_system_sgpr_workgroup_id_y 0
		.amdhsa_system_sgpr_workgroup_id_z 0
		.amdhsa_system_sgpr_workgroup_info 0
		.amdhsa_system_vgpr_workitem_id 2
		.amdhsa_next_free_vgpr 32
		.amdhsa_next_free_sgpr 22
		.amdhsa_accum_offset 32
		.amdhsa_reserve_vcc 1
		.amdhsa_reserve_flat_scratch 0
		.amdhsa_float_round_mode_32 0
		.amdhsa_float_round_mode_16_64 0
		.amdhsa_float_denorm_mode_32 3
		.amdhsa_float_denorm_mode_16_64 3
		.amdhsa_dx10_clamp 1
		.amdhsa_ieee_mode 1
		.amdhsa_fp16_overflow 0
		.amdhsa_tg_split 0
		.amdhsa_exception_fp_ieee_invalid_op 0
		.amdhsa_exception_fp_denorm_src 0
		.amdhsa_exception_fp_ieee_div_zero 0
		.amdhsa_exception_fp_ieee_overflow 0
		.amdhsa_exception_fp_ieee_underflow 0
		.amdhsa_exception_fp_ieee_inexact 0
		.amdhsa_exception_int_div_zero 0
	.end_amdhsa_kernel
	.section	.text._ZN9rocsparseL41csrmvn_lrb_medium_rows_warp_reduce_kernelILj256ELj64Eii21rocsparse_complex_numIfES1_IdES3_S3_EEvbT1_lPT2_S6_jNS_24const_host_device_scalarIT6_EEPKS4_PKS5_PKT3_PKT4_S9_PT5_21rocsparse_index_base_b,"axG",@progbits,_ZN9rocsparseL41csrmvn_lrb_medium_rows_warp_reduce_kernelILj256ELj64Eii21rocsparse_complex_numIfES1_IdES3_S3_EEvbT1_lPT2_S6_jNS_24const_host_device_scalarIT6_EEPKS4_PKS5_PKT3_PKT4_S9_PT5_21rocsparse_index_base_b,comdat
.Lfunc_end209:
	.size	_ZN9rocsparseL41csrmvn_lrb_medium_rows_warp_reduce_kernelILj256ELj64Eii21rocsparse_complex_numIfES1_IdES3_S3_EEvbT1_lPT2_S6_jNS_24const_host_device_scalarIT6_EEPKS4_PKS5_PKT3_PKT4_S9_PT5_21rocsparse_index_base_b, .Lfunc_end209-_ZN9rocsparseL41csrmvn_lrb_medium_rows_warp_reduce_kernelILj256ELj64Eii21rocsparse_complex_numIfES1_IdES3_S3_EEvbT1_lPT2_S6_jNS_24const_host_device_scalarIT6_EEPKS4_PKS5_PKT3_PKT4_S9_PT5_21rocsparse_index_base_b
                                        ; -- End function
	.section	.AMDGPU.csdata,"",@progbits
; Kernel info:
; codeLenInByte = 1224
; NumSgprs: 26
; NumVgprs: 32
; NumAgprs: 0
; TotalNumVgprs: 32
; ScratchSize: 0
; MemoryBound: 0
; FloatMode: 240
; IeeeMode: 1
; LDSByteSize: 4096 bytes/workgroup (compile time only)
; SGPRBlocks: 3
; VGPRBlocks: 3
; NumSGPRsForWavesPerEU: 26
; NumVGPRsForWavesPerEU: 32
; AccumOffset: 32
; Occupancy: 8
; WaveLimiterHint : 1
; COMPUTE_PGM_RSRC2:SCRATCH_EN: 0
; COMPUTE_PGM_RSRC2:USER_SGPR: 8
; COMPUTE_PGM_RSRC2:TRAP_HANDLER: 0
; COMPUTE_PGM_RSRC2:TGID_X_EN: 1
; COMPUTE_PGM_RSRC2:TGID_Y_EN: 0
; COMPUTE_PGM_RSRC2:TGID_Z_EN: 0
; COMPUTE_PGM_RSRC2:TIDIG_COMP_CNT: 2
; COMPUTE_PGM_RSRC3_GFX90A:ACCUM_OFFSET: 7
; COMPUTE_PGM_RSRC3_GFX90A:TG_SPLIT: 0
	.section	.text._ZN9rocsparseL29csrmvn_lrb_medium_rows_kernelILj256Eii21rocsparse_complex_numIfES1_IdES3_S3_EEvbT0_PT1_S6_jNS_24const_host_device_scalarIT5_EEPKS4_PKS5_PKT2_PKT3_S9_PT4_21rocsparse_index_base_b,"axG",@progbits,_ZN9rocsparseL29csrmvn_lrb_medium_rows_kernelILj256Eii21rocsparse_complex_numIfES1_IdES3_S3_EEvbT0_PT1_S6_jNS_24const_host_device_scalarIT5_EEPKS4_PKS5_PKT2_PKT3_S9_PT4_21rocsparse_index_base_b,comdat
	.globl	_ZN9rocsparseL29csrmvn_lrb_medium_rows_kernelILj256Eii21rocsparse_complex_numIfES1_IdES3_S3_EEvbT0_PT1_S6_jNS_24const_host_device_scalarIT5_EEPKS4_PKS5_PKT2_PKT3_S9_PT4_21rocsparse_index_base_b ; -- Begin function _ZN9rocsparseL29csrmvn_lrb_medium_rows_kernelILj256Eii21rocsparse_complex_numIfES1_IdES3_S3_EEvbT0_PT1_S6_jNS_24const_host_device_scalarIT5_EEPKS4_PKS5_PKT2_PKT3_S9_PT4_21rocsparse_index_base_b
	.p2align	8
	.type	_ZN9rocsparseL29csrmvn_lrb_medium_rows_kernelILj256Eii21rocsparse_complex_numIfES1_IdES3_S3_EEvbT0_PT1_S6_jNS_24const_host_device_scalarIT5_EEPKS4_PKS5_PKT2_PKT3_S9_PT4_21rocsparse_index_base_b,@function
_ZN9rocsparseL29csrmvn_lrb_medium_rows_kernelILj256Eii21rocsparse_complex_numIfES1_IdES3_S3_EEvbT0_PT1_S6_jNS_24const_host_device_scalarIT5_EEPKS4_PKS5_PKT2_PKT3_S9_PT4_21rocsparse_index_base_b: ; @_ZN9rocsparseL29csrmvn_lrb_medium_rows_kernelILj256Eii21rocsparse_complex_numIfES1_IdES3_S3_EEvbT0_PT1_S6_jNS_24const_host_device_scalarIT5_EEPKS4_PKS5_PKT2_PKT3_S9_PT4_21rocsparse_index_base_b
; %bb.0:
	s_load_dwordx2 s[10:11], s[6:7], 0x68
	s_load_dwordx4 s[12:15], s[6:7], 0x20
	s_load_dwordx2 s[20:21], s[4:5], 0x4
	s_load_dwordx4 s[16:19], s[6:7], 0x50
	s_mov_b64 s[2:3], src_shared_base
	v_and_b32_e32 v14, 0x3ff, v0
	s_waitcnt lgkmcnt(0)
	s_bitcmp1_b32 s11, 0
	s_cselect_b64 s[0:1], -1, 0
	s_and_b64 vcc, s[0:1], exec
	s_cselect_b32 s2, s3, s13
	s_lshr_b32 s4, s20, 16
	s_mul_i32 s4, s4, s21
	v_mul_lo_u32 v1, s4, v14
	v_bfe_u32 v2, v0, 10, 10
	v_mad_u32_u24 v1, v2, s21, v1
	v_bfe_u32 v0, v0, 20, 10
	v_add_lshl_u32 v5, v1, v0, 3
	v_mov_b32_e32 v4, s12
	v_add_u32_e32 v6, 0x1800, v5
	v_pk_mov_b32 v[0:1], s[12:13], s[12:13] op_sel:[0,1]
	v_pk_mov_b32 v[2:3], s[16:17], s[16:17] op_sel:[0,1]
	ds_write2st64_b64 v5, v[2:3], v[0:1] offset0:8 offset1:12
	v_cndmask_b32_e64 v0, v4, v6, s[0:1]
	v_mov_b32_e32 v1, s2
	flat_load_dwordx2 v[8:9], v[0:1]
	s_xor_b64 s[4:5], s[0:1], -1
	v_add_u32_e32 v0, 0x1000, v5
	v_pk_mov_b32 v[10:11], s[14:15], s[14:15] op_sel:[0,1]
	s_cbranch_vccnz .LBB210_2
; %bb.1:
	v_pk_mov_b32 v[2:3], s[12:13], s[12:13] op_sel:[0,1]
	flat_load_dwordx2 v[10:11], v[2:3] offset:8
.LBB210_2:
	s_and_b64 s[12:13], s[0:1], exec
	s_cselect_b32 s2, s3, s17
	v_mov_b32_e32 v1, s16
	v_cndmask_b32_e64 v0, v1, v0, s[0:1]
	v_mov_b32_e32 v1, s2
	flat_load_dwordx2 v[4:5], v[0:1]
	s_andn2_b64 vcc, exec, s[4:5]
	v_pk_mov_b32 v[6:7], s[18:19], s[18:19] op_sel:[0,1]
	s_cbranch_vccnz .LBB210_4
; %bb.3:
	v_pk_mov_b32 v[0:1], s[16:17], s[16:17] op_sel:[0,1]
	flat_load_dwordx2 v[6:7], v[0:1] offset:8
.LBB210_4:
	s_waitcnt vmcnt(0) lgkmcnt(0)
	v_cmp_eq_f64_e32 vcc, 0, v[8:9]
	v_cmp_eq_f64_e64 s[0:1], 0, v[10:11]
	s_and_b64 s[4:5], vcc, s[0:1]
	s_mov_b64 s[0:1], -1
	s_and_saveexec_b64 s[2:3], s[4:5]
; %bb.5:
	v_cmp_neq_f64_e32 vcc, 1.0, v[4:5]
	v_cmp_neq_f64_e64 s[0:1], 0, v[6:7]
	s_or_b64 s[0:1], vcc, s[0:1]
	s_orn2_b64 s[0:1], s[0:1], exec
; %bb.6:
	s_or_b64 exec, exec, s[2:3]
	s_and_saveexec_b64 s[2:3], s[0:1]
	s_cbranch_execz .LBB210_31
; %bb.7:
	s_load_dword s4, s[6:7], 0x18
	s_load_dwordx4 s[0:3], s[6:7], 0x8
	s_mov_b32 s5, 0
	v_subrev_u32_e32 v0, s10, v14
	v_pk_mov_b32 v[2:3], 0, 0
	s_waitcnt lgkmcnt(0)
	s_lshl_b64 s[4:5], s[4:5], 2
	s_add_u32 s2, s2, s4
	s_addc_u32 s3, s3, s5
	s_load_dword s2, s[2:3], 0x0
	s_waitcnt lgkmcnt(0)
	s_add_i32 s2, s2, s8
	s_ashr_i32 s3, s2, 31
	s_lshl_b64 s[2:3], s[2:3], 2
	s_add_u32 s0, s0, s2
	s_addc_u32 s1, s1, s3
	s_load_dword s4, s[0:1], 0x0
	s_load_dwordx2 s[2:3], s[6:7], 0x30
	s_waitcnt lgkmcnt(0)
	s_ashr_i32 s5, s4, 31
	s_lshl_b64 s[0:1], s[4:5], 2
	s_add_u32 s0, s2, s0
	s_addc_u32 s1, s3, s1
	s_load_dwordx2 s[2:3], s[0:1], 0x0
	s_load_dwordx2 s[8:9], s[6:7], 0x60
	s_waitcnt lgkmcnt(0)
	s_sub_i32 s11, s3, s10
	v_add_u32_e32 v12, s2, v0
	v_cmp_gt_i32_e32 vcc, s11, v12
	v_pk_mov_b32 v[0:1], v[2:3], v[2:3] op_sel:[0,1]
	s_and_saveexec_b64 s[12:13], vcc
	s_cbranch_execz .LBB210_11
; %bb.8:
	s_load_dword s16, s[6:7], 0x0
	s_load_dwordx4 s[0:3], s[6:7], 0x38
	s_load_dwordx2 s[14:15], s[6:7], 0x48
	v_pk_mov_b32 v[2:3], 0, 0
	s_mov_b64 s[6:7], 0
	s_waitcnt lgkmcnt(0)
	s_bitcmp1_b32 s16, 0
	s_cselect_b64 s[16:17], -1, 0
	v_mov_b32_e32 v15, s3
	v_mov_b32_e32 v16, s1
	;; [unrolled: 1-line block ×3, first 2 shown]
	v_pk_mov_b32 v[0:1], v[2:3], v[2:3] op_sel:[0,1]
.LBB210_9:                              ; =>This Inner Loop Header: Depth=1
	v_ashrrev_i32_e32 v13, 31, v12
	v_lshlrev_b64 v[18:19], 2, v[12:13]
	v_add_co_u32_e32 v18, vcc, s0, v18
	v_addc_co_u32_e32 v19, vcc, v16, v19, vcc
	global_load_dword v20, v[18:19], off
	v_lshlrev_b64 v[18:19], 3, v[12:13]
	v_add_co_u32_e32 v18, vcc, s2, v18
	v_addc_co_u32_e32 v19, vcc, v15, v19, vcc
	global_load_dwordx2 v[22:23], v[18:19], off
	v_add_u32_e32 v12, 0x100, v12
	s_waitcnt vmcnt(1)
	v_subrev_u32_e32 v18, s10, v20
	v_ashrrev_i32_e32 v19, 31, v18
	v_lshlrev_b64 v[18:19], 4, v[18:19]
	v_add_co_u32_e32 v18, vcc, s14, v18
	v_addc_co_u32_e32 v19, vcc, v17, v19, vcc
	global_load_dwordx4 v[18:21], v[18:19], off
	s_waitcnt vmcnt(1)
	v_cndmask_b32_e64 v13, v23, -v23, s[16:17]
	v_cvt_f64_f32_e32 v[24:25], v13
	v_cvt_f64_f32_e32 v[22:23], v22
	v_mul_f64 v[26:27], -v[10:11], v[24:25]
	v_mul_f64 v[24:25], v[8:9], v[24:25]
	v_fmac_f64_e32 v[26:27], v[8:9], v[22:23]
	v_fmac_f64_e32 v[24:25], v[10:11], v[22:23]
	v_cmp_le_i32_e32 vcc, s11, v12
	s_or_b64 s[6:7], vcc, s[6:7]
	s_waitcnt vmcnt(0)
	v_fmac_f64_e32 v[0:1], v[26:27], v[18:19]
	v_fmac_f64_e32 v[2:3], v[24:25], v[18:19]
	v_fma_f64 v[0:1], -v[24:25], v[20:21], v[0:1]
	v_fmac_f64_e32 v[2:3], v[26:27], v[20:21]
	s_andn2_b64 exec, exec, s[6:7]
	s_cbranch_execnz .LBB210_9
; %bb.10:
	s_or_b64 exec, exec, s[6:7]
.LBB210_11:
	s_or_b64 exec, exec, s[12:13]
	s_movk_i32 s0, 0x80
	v_lshlrev_b32_e32 v8, 4, v14
	v_cmp_gt_u32_e32 vcc, s0, v14
	ds_write_b128 v8, v[0:3]
	s_waitcnt lgkmcnt(0)
	s_barrier
	s_and_saveexec_b64 s[0:1], vcc
	s_cbranch_execz .LBB210_13
; %bb.12:
	ds_read_b128 v[0:3], v8 offset:2048
	ds_read_b128 v[10:13], v8
	s_waitcnt lgkmcnt(0)
	v_add_f64 v[0:1], v[0:1], v[10:11]
	v_add_f64 v[2:3], v[2:3], v[12:13]
	ds_write_b128 v8, v[0:3]
.LBB210_13:
	s_or_b64 exec, exec, s[0:1]
	v_cmp_gt_u32_e32 vcc, 64, v14
	s_waitcnt lgkmcnt(0)
	s_barrier
	s_and_saveexec_b64 s[0:1], vcc
	s_cbranch_execz .LBB210_15
; %bb.14:
	ds_read_b128 v[0:3], v8 offset:1024
	ds_read_b128 v[10:13], v8
	s_waitcnt lgkmcnt(0)
	v_add_f64 v[0:1], v[0:1], v[10:11]
	v_add_f64 v[2:3], v[2:3], v[12:13]
	ds_write_b128 v8, v[0:3]
.LBB210_15:
	s_or_b64 exec, exec, s[0:1]
	v_cmp_gt_u32_e32 vcc, 32, v14
	;; [unrolled: 14-line block ×6, first 2 shown]
	s_waitcnt lgkmcnt(0)
	s_barrier
	s_and_saveexec_b64 s[0:1], vcc
	s_cbranch_execz .LBB210_25
; %bb.24:
	ds_read_b128 v[0:3], v8
	ds_read_b128 v[10:13], v8 offset:32
	s_waitcnt lgkmcnt(0)
	v_add_f64 v[0:1], v[10:11], v[0:1]
	v_add_f64 v[2:3], v[12:13], v[2:3]
	ds_write_b128 v8, v[0:3]
.LBB210_25:
	s_or_b64 exec, exec, s[0:1]
	v_cmp_eq_u32_e32 vcc, 0, v14
	s_waitcnt lgkmcnt(0)
	s_barrier
	s_and_saveexec_b64 s[0:1], vcc
	s_cbranch_execz .LBB210_27
; %bb.26:
	v_mov_b32_e32 v12, 0
	ds_read_b128 v[0:3], v12
	ds_read_b128 v[8:11], v12 offset:16
	s_waitcnt lgkmcnt(0)
	v_add_f64 v[0:1], v[8:9], v[0:1]
	v_add_f64 v[2:3], v[10:11], v[2:3]
	ds_write_b128 v12, v[0:3]
.LBB210_27:
	s_or_b64 exec, exec, s[0:1]
	s_waitcnt lgkmcnt(0)
	s_barrier
	s_and_b64 exec, exec, vcc
	s_cbranch_execz .LBB210_31
; %bb.28:
	v_mov_b32_e32 v8, 0
	ds_read_b128 v[0:3], v8
	v_cmp_neq_f64_e32 vcc, 0, v[4:5]
	v_cmp_neq_f64_e64 s[0:1], 0, v[6:7]
	s_or_b64 s[2:3], vcc, s[0:1]
	s_and_saveexec_b64 s[0:1], s[2:3]
	s_cbranch_execz .LBB210_30
; %bb.29:
	s_lshl_b64 s[2:3], s[4:5], 4
	s_add_u32 s2, s8, s2
	s_addc_u32 s3, s9, s3
	s_load_dwordx4 s[12:15], s[2:3], 0x0
	s_waitcnt lgkmcnt(0)
	v_fmac_f64_e32 v[0:1], s[12:13], v[4:5]
	v_fmac_f64_e32 v[2:3], s[12:13], v[6:7]
	v_fma_f64 v[0:1], -v[6:7], s[14:15], v[0:1]
	v_fmac_f64_e32 v[2:3], s[14:15], v[4:5]
.LBB210_30:
	s_or_b64 exec, exec, s[0:1]
	s_lshl_b64 s[0:1], s[4:5], 4
	s_add_u32 s0, s8, s0
	s_addc_u32 s1, s9, s1
	s_waitcnt lgkmcnt(0)
	global_store_dwordx4 v8, v[0:3], s[0:1]
.LBB210_31:
	s_endpgm
	.section	.rodata,"a",@progbits
	.p2align	6, 0x0
	.amdhsa_kernel _ZN9rocsparseL29csrmvn_lrb_medium_rows_kernelILj256Eii21rocsparse_complex_numIfES1_IdES3_S3_EEvbT0_PT1_S6_jNS_24const_host_device_scalarIT5_EEPKS4_PKS5_PKT2_PKT3_S9_PT4_21rocsparse_index_base_b
		.amdhsa_group_segment_fixed_size 8192
		.amdhsa_private_segment_fixed_size 0
		.amdhsa_kernarg_size 112
		.amdhsa_user_sgpr_count 8
		.amdhsa_user_sgpr_private_segment_buffer 1
		.amdhsa_user_sgpr_dispatch_ptr 1
		.amdhsa_user_sgpr_queue_ptr 0
		.amdhsa_user_sgpr_kernarg_segment_ptr 1
		.amdhsa_user_sgpr_dispatch_id 0
		.amdhsa_user_sgpr_flat_scratch_init 0
		.amdhsa_user_sgpr_kernarg_preload_length 0
		.amdhsa_user_sgpr_kernarg_preload_offset 0
		.amdhsa_user_sgpr_private_segment_size 0
		.amdhsa_uses_dynamic_stack 0
		.amdhsa_system_sgpr_private_segment_wavefront_offset 0
		.amdhsa_system_sgpr_workgroup_id_x 1
		.amdhsa_system_sgpr_workgroup_id_y 0
		.amdhsa_system_sgpr_workgroup_id_z 0
		.amdhsa_system_sgpr_workgroup_info 0
		.amdhsa_system_vgpr_workitem_id 2
		.amdhsa_next_free_vgpr 28
		.amdhsa_next_free_sgpr 22
		.amdhsa_accum_offset 28
		.amdhsa_reserve_vcc 1
		.amdhsa_reserve_flat_scratch 0
		.amdhsa_float_round_mode_32 0
		.amdhsa_float_round_mode_16_64 0
		.amdhsa_float_denorm_mode_32 3
		.amdhsa_float_denorm_mode_16_64 3
		.amdhsa_dx10_clamp 1
		.amdhsa_ieee_mode 1
		.amdhsa_fp16_overflow 0
		.amdhsa_tg_split 0
		.amdhsa_exception_fp_ieee_invalid_op 0
		.amdhsa_exception_fp_denorm_src 0
		.amdhsa_exception_fp_ieee_div_zero 0
		.amdhsa_exception_fp_ieee_overflow 0
		.amdhsa_exception_fp_ieee_underflow 0
		.amdhsa_exception_fp_ieee_inexact 0
		.amdhsa_exception_int_div_zero 0
	.end_amdhsa_kernel
	.section	.text._ZN9rocsparseL29csrmvn_lrb_medium_rows_kernelILj256Eii21rocsparse_complex_numIfES1_IdES3_S3_EEvbT0_PT1_S6_jNS_24const_host_device_scalarIT5_EEPKS4_PKS5_PKT2_PKT3_S9_PT4_21rocsparse_index_base_b,"axG",@progbits,_ZN9rocsparseL29csrmvn_lrb_medium_rows_kernelILj256Eii21rocsparse_complex_numIfES1_IdES3_S3_EEvbT0_PT1_S6_jNS_24const_host_device_scalarIT5_EEPKS4_PKS5_PKT2_PKT3_S9_PT4_21rocsparse_index_base_b,comdat
.Lfunc_end210:
	.size	_ZN9rocsparseL29csrmvn_lrb_medium_rows_kernelILj256Eii21rocsparse_complex_numIfES1_IdES3_S3_EEvbT0_PT1_S6_jNS_24const_host_device_scalarIT5_EEPKS4_PKS5_PKT2_PKT3_S9_PT4_21rocsparse_index_base_b, .Lfunc_end210-_ZN9rocsparseL29csrmvn_lrb_medium_rows_kernelILj256Eii21rocsparse_complex_numIfES1_IdES3_S3_EEvbT0_PT1_S6_jNS_24const_host_device_scalarIT5_EEPKS4_PKS5_PKT2_PKT3_S9_PT4_21rocsparse_index_base_b
                                        ; -- End function
	.section	.AMDGPU.csdata,"",@progbits
; Kernel info:
; codeLenInByte = 1444
; NumSgprs: 26
; NumVgprs: 28
; NumAgprs: 0
; TotalNumVgprs: 28
; ScratchSize: 0
; MemoryBound: 0
; FloatMode: 240
; IeeeMode: 1
; LDSByteSize: 8192 bytes/workgroup (compile time only)
; SGPRBlocks: 3
; VGPRBlocks: 3
; NumSGPRsForWavesPerEU: 26
; NumVGPRsForWavesPerEU: 28
; AccumOffset: 28
; Occupancy: 8
; WaveLimiterHint : 1
; COMPUTE_PGM_RSRC2:SCRATCH_EN: 0
; COMPUTE_PGM_RSRC2:USER_SGPR: 8
; COMPUTE_PGM_RSRC2:TRAP_HANDLER: 0
; COMPUTE_PGM_RSRC2:TGID_X_EN: 1
; COMPUTE_PGM_RSRC2:TGID_Y_EN: 0
; COMPUTE_PGM_RSRC2:TGID_Z_EN: 0
; COMPUTE_PGM_RSRC2:TIDIG_COMP_CNT: 2
; COMPUTE_PGM_RSRC3_GFX90A:ACCUM_OFFSET: 6
; COMPUTE_PGM_RSRC3_GFX90A:TG_SPLIT: 0
	.section	.text._ZN9rocsparseL27csrmvn_lrb_long_rows_kernelIii21rocsparse_complex_numIfES1_IdES3_S3_EEvbT_PjPT0_S7_jNS_24const_host_device_scalarIT4_EEPKS4_PKS6_PKT1_PKT2_SA_PT3_21rocsparse_index_base_b,"axG",@progbits,_ZN9rocsparseL27csrmvn_lrb_long_rows_kernelIii21rocsparse_complex_numIfES1_IdES3_S3_EEvbT_PjPT0_S7_jNS_24const_host_device_scalarIT4_EEPKS4_PKS6_PKT1_PKT2_SA_PT3_21rocsparse_index_base_b,comdat
	.globl	_ZN9rocsparseL27csrmvn_lrb_long_rows_kernelIii21rocsparse_complex_numIfES1_IdES3_S3_EEvbT_PjPT0_S7_jNS_24const_host_device_scalarIT4_EEPKS4_PKS6_PKT1_PKT2_SA_PT3_21rocsparse_index_base_b ; -- Begin function _ZN9rocsparseL27csrmvn_lrb_long_rows_kernelIii21rocsparse_complex_numIfES1_IdES3_S3_EEvbT_PjPT0_S7_jNS_24const_host_device_scalarIT4_EEPKS4_PKS6_PKT1_PKT2_SA_PT3_21rocsparse_index_base_b
	.p2align	8
	.type	_ZN9rocsparseL27csrmvn_lrb_long_rows_kernelIii21rocsparse_complex_numIfES1_IdES3_S3_EEvbT_PjPT0_S7_jNS_24const_host_device_scalarIT4_EEPKS4_PKS6_PKT1_PKT2_SA_PT3_21rocsparse_index_base_b,@function
_ZN9rocsparseL27csrmvn_lrb_long_rows_kernelIii21rocsparse_complex_numIfES1_IdES3_S3_EEvbT_PjPT0_S7_jNS_24const_host_device_scalarIT4_EEPKS4_PKS6_PKT1_PKT2_SA_PT3_21rocsparse_index_base_b: ; @_ZN9rocsparseL27csrmvn_lrb_long_rows_kernelIii21rocsparse_complex_numIfES1_IdES3_S3_EEvbT_PjPT0_S7_jNS_24const_host_device_scalarIT4_EEPKS4_PKS6_PKT1_PKT2_SA_PT3_21rocsparse_index_base_b
; %bb.0:
	s_load_dwordx2 s[20:21], s[6:7], 0x70
	s_load_dwordx4 s[12:15], s[6:7], 0x28
	s_load_dwordx2 s[10:11], s[4:5], 0x4
	s_load_dwordx4 s[16:19], s[6:7], 0x58
	s_mov_b64 s[2:3], src_shared_base
	v_and_b32_e32 v12, 0x3ff, v0
	s_waitcnt lgkmcnt(0)
	s_bitcmp1_b32 s21, 0
	s_cselect_b64 s[0:1], -1, 0
	s_and_b64 vcc, s[0:1], exec
	s_cselect_b32 s2, s3, s13
	s_lshr_b32 s4, s10, 16
	s_mul_i32 s4, s4, s11
	v_mul_lo_u32 v1, s4, v12
	v_bfe_u32 v2, v0, 10, 10
	v_mad_u32_u24 v1, v2, s11, v1
	v_bfe_u32 v0, v0, 20, 10
	v_add_lshl_u32 v6, v1, v0, 3
	v_mov_b32_e32 v4, s12
	v_add_u32_e32 v5, 0x1800, v6
	v_pk_mov_b32 v[0:1], s[12:13], s[12:13] op_sel:[0,1]
	v_pk_mov_b32 v[2:3], s[16:17], s[16:17] op_sel:[0,1]
	ds_write2st64_b64 v6, v[2:3], v[0:1] offset0:8 offset1:12
	v_cndmask_b32_e64 v0, v4, v5, s[0:1]
	v_mov_b32_e32 v1, s2
	flat_load_dwordx2 v[4:5], v[0:1]
	s_xor_b64 s[4:5], s[0:1], -1
	v_add_u32_e32 v0, 0x1000, v6
	v_pk_mov_b32 v[6:7], s[14:15], s[14:15] op_sel:[0,1]
	s_cbranch_vccnz .LBB211_2
; %bb.1:
	v_pk_mov_b32 v[2:3], s[12:13], s[12:13] op_sel:[0,1]
	flat_load_dwordx2 v[6:7], v[2:3] offset:8
.LBB211_2:
	s_and_b64 s[10:11], s[0:1], exec
	s_cselect_b32 s2, s3, s17
	v_mov_b32_e32 v1, s16
	v_cndmask_b32_e64 v0, v1, v0, s[0:1]
	v_mov_b32_e32 v1, s2
	flat_load_dwordx2 v[10:11], v[0:1]
	s_andn2_b64 vcc, exec, s[4:5]
	v_pk_mov_b32 v[8:9], s[18:19], s[18:19] op_sel:[0,1]
	s_cbranch_vccnz .LBB211_4
; %bb.3:
	v_pk_mov_b32 v[0:1], s[16:17], s[16:17] op_sel:[0,1]
	flat_load_dwordx2 v[8:9], v[0:1] offset:8
.LBB211_4:
	s_waitcnt vmcnt(0) lgkmcnt(0)
	v_cmp_eq_f64_e32 vcc, 0, v[4:5]
	v_cmp_eq_f64_e64 s[0:1], 0, v[6:7]
	s_and_b64 s[4:5], vcc, s[0:1]
	s_mov_b64 s[0:1], -1
	s_and_saveexec_b64 s[2:3], s[4:5]
; %bb.5:
	v_cmp_neq_f64_e32 vcc, 1.0, v[10:11]
	v_cmp_neq_f64_e64 s[0:1], 0, v[8:9]
	s_or_b64 s[0:1], vcc, s[0:1]
	s_orn2_b64 s[0:1], s[0:1], exec
; %bb.6:
	s_or_b64 exec, exec, s[2:3]
	s_and_saveexec_b64 s[2:3], s[0:1]
	s_cbranch_execz .LBB211_44
; %bb.7:
	s_load_dword s0, s[6:7], 0x20
	s_load_dwordx2 s[2:3], s[6:7], 0x18
	s_mov_b32 s1, 0
	s_waitcnt lgkmcnt(0)
	s_lshl_b64 s[4:5], s[0:1], 2
	s_add_u32 s4, s2, s4
	s_addc_u32 s5, s3, s5
	s_lshl_b32 s0, -1, s0
	s_not_b32 s0, s0
	s_mul_hi_u32 s0, s0, 0x2aaaaaab
	s_lshr_b32 s9, s0, 7
	s_add_i32 s10, s9, 1
	v_cvt_f32_u32_e32 v0, s10
	s_load_dwordx4 s[0:3], s[6:7], 0x8
	s_load_dword s11, s[4:5], 0x0
	s_not_b32 s4, s9
	v_rcp_iflag_f32_e32 v0, v0
	v_mul_f32_e32 v0, 0x4f7ffffe, v0
	v_cvt_u32_f32_e32 v0, v0
	v_readfirstlane_b32 s5, v0
	s_mul_i32 s4, s4, s5
	s_mul_hi_u32 s4, s5, s4
	s_add_i32 s5, s5, s4
	s_mul_hi_u32 s4, s8, s5
	s_mul_i32 s5, s4, s10
	s_sub_i32 s5, s8, s5
	s_add_i32 s9, s4, 1
	s_sub_i32 s12, s5, s10
	s_cmp_ge_u32 s5, s10
	s_cselect_b32 s4, s9, s4
	s_cselect_b32 s5, s12, s5
	s_add_i32 s9, s4, 1
	s_cmp_ge_u32 s5, s10
	s_cselect_b32 s4, s9, s4
	s_mul_i32 s14, s4, s10
	s_waitcnt lgkmcnt(0)
	s_add_i32 s4, s4, s11
	s_ashr_i32 s5, s4, 31
	s_sub_i32 s24, s8, s14
	s_lshl_b64 s[4:5], s[4:5], 2
	s_add_u32 s10, s2, s4
	s_addc_u32 s11, s3, s5
	s_load_dword s4, s[10:11], 0x0
	s_load_dwordx2 s[12:13], s[6:7], 0x38
	s_load_dwordx2 s[2:3], s[6:7], 0x68
	v_or_b32_e32 v0, s24, v12
	v_cmp_eq_u32_e32 vcc, 0, v0
	s_waitcnt lgkmcnt(0)
	s_ashr_i32 s5, s4, 31
	s_lshl_b64 s[10:11], s[4:5], 2
	s_add_u32 s10, s12, s10
	s_addc_u32 s11, s13, s11
	s_ashr_i32 s9, s8, 31
	s_lshl_b64 s[8:9], s[8:9], 2
	s_add_u32 s12, s0, s8
	s_addc_u32 s13, s1, s9
	s_load_dwordx2 s[16:17], s[10:11], 0x0
	s_load_dword s21, s[12:13], 0x0
	v_pk_mov_b32 v[0:1], 0, 0
	v_pk_mov_b32 v[2:3], v[0:1], v[0:1] op_sel:[0,1]
	s_and_saveexec_b64 s[18:19], vcc
	s_cbranch_execz .LBB211_11
; %bb.8:
	s_lshl_b64 s[8:9], s[4:5], 4
	s_add_u32 s8, s2, s8
	s_addc_u32 s9, s3, s9
	s_load_dwordx4 s[8:11], s[8:9], 0x0
	s_mov_b64 s[22:23], exec
	v_mbcnt_lo_u32_b32 v13, s22, 0
	v_add_f64 v[10:11], v[10:11], -1.0
	v_mbcnt_hi_u32_b32 v13, s23, v13
	s_waitcnt lgkmcnt(0)
	v_mul_f64 v[0:1], s[10:11], -v[8:9]
	v_mul_f64 v[2:3], v[10:11], s[10:11]
	v_cmp_eq_u32_e32 vcc, 0, v13
	s_waitcnt vmcnt(0) expcnt(0) lgkmcnt(0)
	s_and_saveexec_b64 s[10:11], vcc
	s_cbranch_execz .LBB211_10
; %bb.9:
	s_ashr_i32 s15, s14, 31
	s_lshl_b64 s[26:27], s[14:15], 2
	s_add_u32 s26, s0, s26
	s_addc_u32 s27, s1, s27
	s_bcnt1_i32_b64 s15, s[22:23]
	s_and_b32 s15, s15, 1
	v_mov_b32_e32 v13, 0
	v_mov_b32_e32 v14, s15
	global_atomic_xor v13, v14, s[26:27]
.LBB211_10:
	s_or_b64 exec, exec, s[10:11]
	v_fmac_f64_e32 v[0:1], s[8:9], v[10:11]
	v_fmac_f64_e32 v[2:3], s[8:9], v[8:9]
.LBB211_11:
	s_or_b64 exec, exec, s[18:19]
	s_mul_i32 s8, s24, 0x300
	s_sub_i32 s8, s8, s20
	s_waitcnt lgkmcnt(0)
	s_add_i32 s8, s8, s16
	s_sub_i32 s9, s17, s20
	s_add_i32 s10, s8, 0x300
	s_min_i32 s15, s10, s9
	v_add_u32_e32 v8, s8, v12
	v_cmp_gt_i32_e32 vcc, s15, v8
	s_and_saveexec_b64 s[16:17], vcc
	s_cbranch_execz .LBB211_15
; %bb.12:
	s_load_dword s22, s[6:7], 0x0
	s_load_dwordx4 s[8:11], s[6:7], 0x40
	s_load_dwordx2 s[18:19], s[6:7], 0x50
	s_mov_b64 s[6:7], 0
	s_waitcnt lgkmcnt(0)
	s_bitcmp1_b32 s22, 0
	v_mov_b32_e32 v10, s11
	s_cselect_b64 s[22:23], -1, 0
	v_mov_b32_e32 v11, s9
	v_mov_b32_e32 v13, s19
.LBB211_13:                             ; =>This Inner Loop Header: Depth=1
	v_ashrrev_i32_e32 v9, 31, v8
	v_lshlrev_b64 v[14:15], 2, v[8:9]
	v_add_co_u32_e32 v14, vcc, s8, v14
	v_addc_co_u32_e32 v15, vcc, v11, v15, vcc
	global_load_dword v16, v[14:15], off
	v_lshlrev_b64 v[14:15], 3, v[8:9]
	v_add_co_u32_e32 v14, vcc, s10, v14
	v_addc_co_u32_e32 v15, vcc, v10, v15, vcc
	global_load_dwordx2 v[18:19], v[14:15], off
	v_add_u32_e32 v8, 0x100, v8
	s_waitcnt vmcnt(1)
	v_subrev_u32_e32 v14, s20, v16
	v_ashrrev_i32_e32 v15, 31, v14
	v_lshlrev_b64 v[14:15], 4, v[14:15]
	v_add_co_u32_e32 v14, vcc, s18, v14
	v_addc_co_u32_e32 v15, vcc, v13, v15, vcc
	global_load_dwordx4 v[14:17], v[14:15], off
	s_waitcnt vmcnt(1)
	v_cndmask_b32_e64 v9, v19, -v19, s[22:23]
	v_cvt_f64_f32_e32 v[20:21], v9
	v_cvt_f64_f32_e32 v[18:19], v18
	v_mul_f64 v[22:23], -v[6:7], v[20:21]
	v_mul_f64 v[20:21], v[4:5], v[20:21]
	v_fmac_f64_e32 v[22:23], v[4:5], v[18:19]
	v_fmac_f64_e32 v[20:21], v[6:7], v[18:19]
	v_cmp_le_i32_e32 vcc, s15, v8
	s_or_b64 s[6:7], vcc, s[6:7]
	s_waitcnt vmcnt(0)
	v_fmac_f64_e32 v[0:1], v[22:23], v[14:15]
	v_fmac_f64_e32 v[2:3], v[20:21], v[14:15]
	v_fma_f64 v[0:1], -v[20:21], v[16:17], v[0:1]
	v_fmac_f64_e32 v[2:3], v[22:23], v[16:17]
	s_andn2_b64 exec, exec, s[6:7]
	s_cbranch_execnz .LBB211_13
; %bb.14:
	s_or_b64 exec, exec, s[6:7]
.LBB211_15:
	s_or_b64 exec, exec, s[16:17]
	s_movk_i32 s6, 0x80
	v_lshlrev_b32_e32 v4, 4, v12
	v_cmp_gt_u32_e32 vcc, s6, v12
	ds_write_b128 v4, v[0:3]
	s_waitcnt lgkmcnt(0)
	s_barrier
	s_and_saveexec_b64 s[6:7], vcc
	s_cbranch_execz .LBB211_17
; %bb.16:
	ds_read_b128 v[0:3], v4 offset:2048
	ds_read_b128 v[6:9], v4
	s_waitcnt lgkmcnt(0)
	v_add_f64 v[0:1], v[0:1], v[6:7]
	v_add_f64 v[2:3], v[2:3], v[8:9]
	ds_write_b128 v4, v[0:3]
.LBB211_17:
	s_or_b64 exec, exec, s[6:7]
	v_cmp_gt_u32_e32 vcc, 64, v12
	s_waitcnt lgkmcnt(0)
	s_barrier
	s_and_saveexec_b64 s[6:7], vcc
	s_cbranch_execz .LBB211_19
; %bb.18:
	ds_read_b128 v[0:3], v4 offset:1024
	ds_read_b128 v[6:9], v4
	s_waitcnt lgkmcnt(0)
	v_add_f64 v[0:1], v[0:1], v[6:7]
	v_add_f64 v[2:3], v[2:3], v[8:9]
	ds_write_b128 v4, v[0:3]
.LBB211_19:
	s_or_b64 exec, exec, s[6:7]
	v_cmp_gt_u32_e32 vcc, 32, v12
	;; [unrolled: 14-line block ×6, first 2 shown]
	s_waitcnt lgkmcnt(0)
	s_barrier
	s_and_saveexec_b64 s[6:7], vcc
	s_cbranch_execz .LBB211_29
; %bb.28:
	ds_read_b128 v[0:3], v4
	ds_read_b128 v[6:9], v4 offset:32
	s_waitcnt lgkmcnt(0)
	v_add_f64 v[0:1], v[6:7], v[0:1]
	v_add_f64 v[2:3], v[8:9], v[2:3]
	ds_write_b128 v4, v[0:3]
.LBB211_29:
	s_or_b64 exec, exec, s[6:7]
	v_cmp_eq_u32_e32 vcc, 0, v12
	s_waitcnt lgkmcnt(0)
	s_barrier
	s_and_saveexec_b64 s[6:7], vcc
	s_cbranch_execz .LBB211_31
; %bb.30:
	v_mov_b32_e32 v8, 0
	ds_read_b128 v[0:3], v8
	ds_read_b128 v[4:7], v8 offset:16
	s_waitcnt lgkmcnt(0)
	v_add_f64 v[0:1], v[4:5], v[0:1]
	v_add_f64 v[2:3], v[6:7], v[2:3]
	ds_write_b128 v8, v[0:3]
.LBB211_31:
	s_or_b64 exec, exec, s[6:7]
	s_waitcnt lgkmcnt(0)
	s_barrier
	s_and_b64 exec, exec, vcc
	s_cbranch_execz .LBB211_44
; %bb.32:
	s_cmp_eq_u32 s24, 0
	s_cbranch_scc1 .LBB211_38
; %bb.33:
	s_ashr_i32 s15, s14, 31
	s_lshl_b64 s[6:7], s[14:15], 2
	s_add_u32 s0, s0, s6
	s_addc_u32 s1, s1, s7
	v_mov_b32_e32 v0, 0
	s_branch .LBB211_35
.LBB211_34:                             ;   in Loop: Header=BB211_35 Depth=1
	s_or_b64 exec, exec, s[6:7]
	s_waitcnt vmcnt(0)
	v_readfirstlane_b32 s6, v1
	s_cmp_eq_u32 s6, s21
	s_cbranch_scc0 .LBB211_37
.LBB211_35:                             ; =>This Inner Loop Header: Depth=1
	v_mbcnt_lo_u32_b32 v1, exec_lo, 0
	v_mbcnt_hi_u32_b32 v1, exec_hi, v1
	v_cmp_eq_u32_e32 vcc, 0, v1
                                        ; implicit-def: $vgpr1
	s_and_saveexec_b64 s[6:7], vcc
	s_cbranch_execz .LBB211_34
; %bb.36:                               ;   in Loop: Header=BB211_35 Depth=1
	global_load_dword v1, v0, s[0:1] glc
	s_branch .LBB211_34
.LBB211_37:
	v_mov_b32_e32 v0, 0
	global_load_dword v1, v0, s[12:13]
	s_waitcnt vmcnt(0)
	v_xor_b32_e32 v1, 1, v1
	global_store_dword v0, v1, s[12:13]
.LBB211_38:
	v_mov_b32_e32 v8, 0
	ds_read_b128 v[0:3], v8
	s_mov_b64 s[6:7], exec
	s_lshl_b64 s[0:1], s[4:5], 4
	v_mbcnt_lo_u32_b32 v4, s6, 0
	s_add_u32 s0, s2, s0
	v_mbcnt_hi_u32_b32 v4, s7, v4
	s_addc_u32 s1, s3, s1
	v_cmp_eq_u32_e32 vcc, 0, v4
	s_and_saveexec_b64 s[2:3], vcc
	s_cbranch_execz .LBB211_41
; %bb.39:
	global_load_dwordx2 v[6:7], v8, s[0:1]
	s_bcnt1_i32_b64 s4, s[6:7]
	v_cvt_f64_u32_e32 v[4:5], s4
	s_waitcnt lgkmcnt(0)
	v_mul_f64 v[0:1], v[0:1], v[4:5]
	s_mov_b64 s[4:5], 0
.LBB211_40:                             ; =>This Inner Loop Header: Depth=1
	s_waitcnt vmcnt(0)
	v_add_f64 v[4:5], v[6:7], v[0:1]
	global_atomic_cmpswap_x2 v[4:5], v8, v[4:7], s[0:1] glc
	s_waitcnt vmcnt(0)
	v_cmp_eq_u64_e32 vcc, v[4:5], v[6:7]
	s_or_b64 s[4:5], vcc, s[4:5]
	v_pk_mov_b32 v[6:7], v[4:5], v[4:5] op_sel:[0,1]
	s_andn2_b64 exec, exec, s[4:5]
	s_cbranch_execnz .LBB211_40
.LBB211_41:
	s_or_b64 exec, exec, s[2:3]
	s_mov_b64 s[2:3], exec
	s_waitcnt lgkmcnt(0)
	v_mbcnt_lo_u32_b32 v0, s2, 0
	v_mbcnt_hi_u32_b32 v0, s3, v0
	v_cmp_eq_u32_e32 vcc, 0, v0
	s_and_b64 s[4:5], exec, vcc
	s_mov_b64 exec, s[4:5]
	s_cbranch_execz .LBB211_44
; %bb.42:
	v_mov_b32_e32 v6, 0
	global_load_dwordx2 v[4:5], v6, s[0:1] offset:8
	s_bcnt1_i32_b64 s2, s[2:3]
	v_cvt_f64_u32_e32 v[0:1], s2
	v_mul_f64 v[0:1], v[2:3], v[0:1]
	s_mov_b64 s[2:3], 0
.LBB211_43:                             ; =>This Inner Loop Header: Depth=1
	s_waitcnt vmcnt(0)
	v_add_f64 v[2:3], v[4:5], v[0:1]
	global_atomic_cmpswap_x2 v[2:3], v6, v[2:5], s[0:1] offset:8 glc
	s_waitcnt vmcnt(0)
	v_cmp_eq_u64_e32 vcc, v[2:3], v[4:5]
	s_or_b64 s[2:3], vcc, s[2:3]
	v_pk_mov_b32 v[4:5], v[2:3], v[2:3] op_sel:[0,1]
	s_andn2_b64 exec, exec, s[2:3]
	s_cbranch_execnz .LBB211_43
.LBB211_44:
	s_endpgm
	.section	.rodata,"a",@progbits
	.p2align	6, 0x0
	.amdhsa_kernel _ZN9rocsparseL27csrmvn_lrb_long_rows_kernelIii21rocsparse_complex_numIfES1_IdES3_S3_EEvbT_PjPT0_S7_jNS_24const_host_device_scalarIT4_EEPKS4_PKS6_PKT1_PKT2_SA_PT3_21rocsparse_index_base_b
		.amdhsa_group_segment_fixed_size 8192
		.amdhsa_private_segment_fixed_size 0
		.amdhsa_kernarg_size 120
		.amdhsa_user_sgpr_count 8
		.amdhsa_user_sgpr_private_segment_buffer 1
		.amdhsa_user_sgpr_dispatch_ptr 1
		.amdhsa_user_sgpr_queue_ptr 0
		.amdhsa_user_sgpr_kernarg_segment_ptr 1
		.amdhsa_user_sgpr_dispatch_id 0
		.amdhsa_user_sgpr_flat_scratch_init 0
		.amdhsa_user_sgpr_kernarg_preload_length 0
		.amdhsa_user_sgpr_kernarg_preload_offset 0
		.amdhsa_user_sgpr_private_segment_size 0
		.amdhsa_uses_dynamic_stack 0
		.amdhsa_system_sgpr_private_segment_wavefront_offset 0
		.amdhsa_system_sgpr_workgroup_id_x 1
		.amdhsa_system_sgpr_workgroup_id_y 0
		.amdhsa_system_sgpr_workgroup_id_z 0
		.amdhsa_system_sgpr_workgroup_info 0
		.amdhsa_system_vgpr_workitem_id 2
		.amdhsa_next_free_vgpr 24
		.amdhsa_next_free_sgpr 28
		.amdhsa_accum_offset 24
		.amdhsa_reserve_vcc 1
		.amdhsa_reserve_flat_scratch 0
		.amdhsa_float_round_mode_32 0
		.amdhsa_float_round_mode_16_64 0
		.amdhsa_float_denorm_mode_32 3
		.amdhsa_float_denorm_mode_16_64 3
		.amdhsa_dx10_clamp 1
		.amdhsa_ieee_mode 1
		.amdhsa_fp16_overflow 0
		.amdhsa_tg_split 0
		.amdhsa_exception_fp_ieee_invalid_op 0
		.amdhsa_exception_fp_denorm_src 0
		.amdhsa_exception_fp_ieee_div_zero 0
		.amdhsa_exception_fp_ieee_overflow 0
		.amdhsa_exception_fp_ieee_underflow 0
		.amdhsa_exception_fp_ieee_inexact 0
		.amdhsa_exception_int_div_zero 0
	.end_amdhsa_kernel
	.section	.text._ZN9rocsparseL27csrmvn_lrb_long_rows_kernelIii21rocsparse_complex_numIfES1_IdES3_S3_EEvbT_PjPT0_S7_jNS_24const_host_device_scalarIT4_EEPKS4_PKS6_PKT1_PKT2_SA_PT3_21rocsparse_index_base_b,"axG",@progbits,_ZN9rocsparseL27csrmvn_lrb_long_rows_kernelIii21rocsparse_complex_numIfES1_IdES3_S3_EEvbT_PjPT0_S7_jNS_24const_host_device_scalarIT4_EEPKS4_PKS6_PKT1_PKT2_SA_PT3_21rocsparse_index_base_b,comdat
.Lfunc_end211:
	.size	_ZN9rocsparseL27csrmvn_lrb_long_rows_kernelIii21rocsparse_complex_numIfES1_IdES3_S3_EEvbT_PjPT0_S7_jNS_24const_host_device_scalarIT4_EEPKS4_PKS6_PKT1_PKT2_SA_PT3_21rocsparse_index_base_b, .Lfunc_end211-_ZN9rocsparseL27csrmvn_lrb_long_rows_kernelIii21rocsparse_complex_numIfES1_IdES3_S3_EEvbT_PjPT0_S7_jNS_24const_host_device_scalarIT4_EEPKS4_PKS6_PKT1_PKT2_SA_PT3_21rocsparse_index_base_b
                                        ; -- End function
	.section	.AMDGPU.csdata,"",@progbits
; Kernel info:
; codeLenInByte = 2028
; NumSgprs: 32
; NumVgprs: 24
; NumAgprs: 0
; TotalNumVgprs: 24
; ScratchSize: 0
; MemoryBound: 0
; FloatMode: 240
; IeeeMode: 1
; LDSByteSize: 8192 bytes/workgroup (compile time only)
; SGPRBlocks: 3
; VGPRBlocks: 2
; NumSGPRsForWavesPerEU: 32
; NumVGPRsForWavesPerEU: 24
; AccumOffset: 24
; Occupancy: 8
; WaveLimiterHint : 1
; COMPUTE_PGM_RSRC2:SCRATCH_EN: 0
; COMPUTE_PGM_RSRC2:USER_SGPR: 8
; COMPUTE_PGM_RSRC2:TRAP_HANDLER: 0
; COMPUTE_PGM_RSRC2:TGID_X_EN: 1
; COMPUTE_PGM_RSRC2:TGID_Y_EN: 0
; COMPUTE_PGM_RSRC2:TGID_Z_EN: 0
; COMPUTE_PGM_RSRC2:TIDIG_COMP_CNT: 2
; COMPUTE_PGM_RSRC3_GFX90A:ACCUM_OFFSET: 5
; COMPUTE_PGM_RSRC3_GFX90A:TG_SPLIT: 0
	.section	.text._ZN9rocsparseL28csrmvn_lrb_short_rows_kernelIli21rocsparse_complex_numIfES1_IdES3_S3_EEvbT_PT0_S6_jNS_24const_host_device_scalarIT4_EEPKS4_PKS5_PKT1_PKT2_S9_PT3_21rocsparse_index_base_b,"axG",@progbits,_ZN9rocsparseL28csrmvn_lrb_short_rows_kernelIli21rocsparse_complex_numIfES1_IdES3_S3_EEvbT_PT0_S6_jNS_24const_host_device_scalarIT4_EEPKS4_PKS5_PKT1_PKT2_S9_PT3_21rocsparse_index_base_b,comdat
	.globl	_ZN9rocsparseL28csrmvn_lrb_short_rows_kernelIli21rocsparse_complex_numIfES1_IdES3_S3_EEvbT_PT0_S6_jNS_24const_host_device_scalarIT4_EEPKS4_PKS5_PKT1_PKT2_S9_PT3_21rocsparse_index_base_b ; -- Begin function _ZN9rocsparseL28csrmvn_lrb_short_rows_kernelIli21rocsparse_complex_numIfES1_IdES3_S3_EEvbT_PT0_S6_jNS_24const_host_device_scalarIT4_EEPKS4_PKS5_PKT1_PKT2_S9_PT3_21rocsparse_index_base_b
	.p2align	8
	.type	_ZN9rocsparseL28csrmvn_lrb_short_rows_kernelIli21rocsparse_complex_numIfES1_IdES3_S3_EEvbT_PT0_S6_jNS_24const_host_device_scalarIT4_EEPKS4_PKS5_PKT1_PKT2_S9_PT3_21rocsparse_index_base_b,@function
_ZN9rocsparseL28csrmvn_lrb_short_rows_kernelIli21rocsparse_complex_numIfES1_IdES3_S3_EEvbT_PT0_S6_jNS_24const_host_device_scalarIT4_EEPKS4_PKS5_PKT1_PKT2_S9_PT3_21rocsparse_index_base_b: ; @_ZN9rocsparseL28csrmvn_lrb_short_rows_kernelIli21rocsparse_complex_numIfES1_IdES3_S3_EEvbT_PT0_S6_jNS_24const_host_device_scalarIT4_EEPKS4_PKS5_PKT1_PKT2_S9_PT3_21rocsparse_index_base_b
; %bb.0:
	s_add_u32 flat_scratch_lo, s6, s9
	s_load_dwordx2 s[20:21], s[4:5], 0x70
	s_load_dwordx4 s[16:19], s[4:5], 0x28
	s_addc_u32 flat_scratch_hi, s7, 0
	s_add_u32 s0, s0, s9
	s_load_dwordx4 s[12:15], s[4:5], 0x58
	s_addc_u32 s1, s1, 0
	s_waitcnt lgkmcnt(0)
	s_bitcmp1_b32 s21, 0
	v_mov_b32_e32 v1, 0
	v_mov_b32_e32 v3, s16
	s_cselect_b64 s[6:7], -1, 0
	v_cndmask_b32_e64 v2, v3, v1, s[6:7]
	v_mov_b32_e32 v1, s17
	s_mov_b64 s[10:11], src_private_base
	s_and_b64 vcc, s[6:7], exec
	buffer_store_dword v1, off, s[0:3], 0 offset:4
	buffer_store_dword v3, off, s[0:3], 0
	v_mov_b32_e32 v1, s13
	s_cselect_b32 s9, s11, s17
	buffer_store_dword v1, off, s[0:3], 0 offset:12
	v_mov_b32_e32 v1, s12
	buffer_store_dword v1, off, s[0:3], 0 offset:8
	v_mov_b32_e32 v3, s9
	flat_load_dwordx2 v[10:11], v[2:3]
	s_xor_b64 s[22:23], s[6:7], -1
	v_pk_mov_b32 v[12:13], s[18:19], s[18:19] op_sel:[0,1]
	s_cbranch_vccnz .LBB212_2
; %bb.1:
	v_pk_mov_b32 v[2:3], s[16:17], s[16:17] op_sel:[0,1]
	flat_load_dwordx2 v[12:13], v[2:3] offset:8
.LBB212_2:
	s_and_b64 s[16:17], s[6:7], exec
	s_cselect_b32 s9, s11, s13
	v_mov_b32_e32 v1, 8
	v_mov_b32_e32 v2, s12
	v_cndmask_b32_e64 v2, v2, v1, s[6:7]
	v_mov_b32_e32 v3, s9
	flat_load_dwordx2 v[6:7], v[2:3]
	s_andn2_b64 vcc, exec, s[22:23]
	v_pk_mov_b32 v[8:9], s[14:15], s[14:15] op_sel:[0,1]
	s_cbranch_vccnz .LBB212_4
; %bb.3:
	v_pk_mov_b32 v[2:3], s[12:13], s[12:13] op_sel:[0,1]
	flat_load_dwordx2 v[8:9], v[2:3] offset:8
.LBB212_4:
	s_waitcnt vmcnt(0) lgkmcnt(0)
	v_cmp_eq_f64_e32 vcc, 0, v[10:11]
	v_cmp_eq_f64_e64 s[6:7], 0, v[12:13]
	s_and_b64 s[12:13], vcc, s[6:7]
	s_mov_b64 s[6:7], -1
	s_and_saveexec_b64 s[10:11], s[12:13]
; %bb.5:
	v_cmp_neq_f64_e32 vcc, 1.0, v[6:7]
	v_cmp_neq_f64_e64 s[6:7], 0, v[8:9]
	s_or_b64 s[6:7], vcc, s[6:7]
	s_orn2_b64 s[6:7], s[6:7], exec
; %bb.6:
	s_or_b64 exec, exec, s[10:11]
	s_and_saveexec_b64 s[10:11], s[6:7]
	s_cbranch_execz .LBB212_20
; %bb.7:
	s_load_dword s6, s[4:5], 0x20
	s_load_dwordx4 s[16:19], s[4:5], 0x10
	s_mov_b32 s21, 0
	s_mov_b32 s7, s21
	;; [unrolled: 1-line block ×3, first 2 shown]
	s_waitcnt lgkmcnt(0)
	s_lshl_b64 s[10:11], s[6:7], 2
	s_add_u32 s10, s18, s10
	s_addc_u32 s11, s19, s11
	s_add_i32 s12, s6, 1
	s_lshl_b64 s[12:13], s[12:13], 2
	s_add_u32 s12, s18, s12
	s_addc_u32 s13, s19, s13
	s_load_dword s7, s[10:11], 0x0
	s_load_dword s9, s[12:13], 0x0
	s_lshl_b32 s26, s8, 8
	s_waitcnt lgkmcnt(0)
	s_sub_i32 s8, s9, s7
	s_add_i32 s9, s26, 0x100
	s_min_u32 s27, s8, s9
	s_cmp_gt_u32 s6, 23
	s_cbranch_scc1 .LBB212_14
; %bb.8:
	s_load_dword s18, s[4:5], 0x0
	s_load_dwordx8 s[8:15], s[4:5], 0x38
	s_lshl_b32 s28, 0x100, s6
	v_mov_b32_e32 v17, 0
	v_bfe_u32 v14, v0, 0, s6
	s_waitcnt lgkmcnt(0)
	s_bitcmp1_b32 s18, 0
	s_cselect_b64 s[18:19], -1, 0
	v_mov_b32_e32 v15, v17
	v_lshl_add_u32 v1, v0, 4, 0
	s_mov_b32 s29, s21
	s_branch .LBB212_11
.LBB212_9:                              ;   in Loop: Header=BB212_11 Depth=1
	s_or_b64 exec, exec, s[24:25]
	ds_write2_b64 v1, v[18:19], v[4:5] offset1:1
.LBB212_10:                             ;   in Loop: Header=BB212_11 Depth=1
	s_or_b64 exec, exec, s[22:23]
	s_addk_i32 s29, 0x100
	s_cmp_ge_u32 s29, s28
	v_add_u32_e32 v1, 0x1000, v1
	s_cbranch_scc1 .LBB212_14
.LBB212_11:                             ; =>This Inner Loop Header: Depth=1
	v_add_u32_e32 v2, s29, v0
	v_lshrrev_b32_e32 v2, s6, v2
	v_add_u32_e32 v2, s26, v2
	v_cmp_gt_u32_e32 vcc, s27, v2
	s_and_saveexec_b64 s[22:23], vcc
	s_cbranch_execz .LBB212_10
; %bb.12:                               ;   in Loop: Header=BB212_11 Depth=1
	v_add_u32_e32 v16, s7, v2
	v_lshlrev_b64 v[2:3], 2, v[16:17]
	v_mov_b32_e32 v4, s17
	v_add_co_u32_e32 v2, vcc, s16, v2
	v_addc_co_u32_e32 v3, vcc, v4, v3, vcc
	global_load_dword v2, v[2:3], off
	v_mov_b32_e32 v4, s9
	v_pk_mov_b32 v[18:19], 0, 0
	s_waitcnt vmcnt(0)
	v_ashrrev_i32_e32 v3, 31, v2
	v_lshlrev_b64 v[2:3], 3, v[2:3]
	v_add_co_u32_e32 v2, vcc, s8, v2
	v_addc_co_u32_e32 v3, vcc, v4, v3, vcc
	global_load_dwordx4 v[2:5], v[2:3], off
	s_waitcnt vmcnt(0)
	v_sub_co_u32_e32 v4, vcc, v4, v2
	v_subb_co_u32_e32 v5, vcc, v5, v3, vcc
	v_cmp_gt_i64_e32 vcc, v[4:5], v[14:15]
	v_pk_mov_b32 v[4:5], v[18:19], v[18:19] op_sel:[0,1]
	s_and_saveexec_b64 s[24:25], vcc
	s_cbranch_execz .LBB212_9
; %bb.13:                               ;   in Loop: Header=BB212_11 Depth=1
	v_mov_b32_e32 v4, s21
	v_subrev_co_u32_e32 v2, vcc, s20, v2
	v_subb_co_u32_e32 v3, vcc, v3, v4, vcc
	v_add_co_u32_e32 v2, vcc, v2, v14
	v_addc_co_u32_e32 v3, vcc, 0, v3, vcc
	v_lshlrev_b64 v[4:5], 2, v[2:3]
	v_mov_b32_e32 v16, s11
	v_add_co_u32_e32 v4, vcc, s10, v4
	v_addc_co_u32_e32 v5, vcc, v16, v5, vcc
	global_load_dword v4, v[4:5], off
	v_lshlrev_b64 v[2:3], 3, v[2:3]
	v_mov_b32_e32 v5, s13
	v_add_co_u32_e32 v2, vcc, s12, v2
	v_addc_co_u32_e32 v3, vcc, v5, v3, vcc
	global_load_dwordx2 v[18:19], v[2:3], off
	v_mov_b32_e32 v16, s15
	s_waitcnt vmcnt(1)
	v_subrev_u32_e32 v2, s20, v4
	v_ashrrev_i32_e32 v3, 31, v2
	v_lshlrev_b64 v[2:3], 4, v[2:3]
	v_add_co_u32_e32 v2, vcc, s14, v2
	v_addc_co_u32_e32 v3, vcc, v16, v3, vcc
	global_load_dwordx4 v[2:5], v[2:3], off
	s_waitcnt vmcnt(1)
	v_cndmask_b32_e64 v16, v19, -v19, s[18:19]
	v_cvt_f64_f32_e32 v[20:21], v16
	v_cvt_f64_f32_e32 v[18:19], v18
	v_mul_f64 v[22:23], -v[12:13], v[20:21]
	v_mul_f64 v[20:21], v[10:11], v[20:21]
	v_fmac_f64_e32 v[22:23], v[10:11], v[18:19]
	v_fmac_f64_e32 v[20:21], v[12:13], v[18:19]
	s_waitcnt vmcnt(0)
	v_mul_f64 v[18:19], v[4:5], -v[20:21]
	v_mul_f64 v[4:5], v[4:5], v[22:23]
	v_fmac_f64_e32 v[18:19], v[22:23], v[2:3]
	v_fmac_f64_e32 v[4:5], v[20:21], v[2:3]
	s_branch .LBB212_9
.LBB212_14:
	s_sub_i32 s8, s27, s26
	v_cmp_gt_u32_e32 vcc, s8, v0
	s_waitcnt lgkmcnt(0)
	s_barrier
	s_and_b64 exec, exec, vcc
	s_cbranch_execz .LBB212_20
; %bb.15:
	s_add_i32 s7, s7, s26
	v_add_u32_e32 v2, s7, v0
	v_mov_b32_e32 v3, 0
	v_lshlrev_b64 v[2:3], 2, v[2:3]
	v_mov_b32_e32 v1, s17
	v_add_co_u32_e32 v2, vcc, s16, v2
	v_addc_co_u32_e32 v3, vcc, v1, v3, vcc
	global_load_dword v4, v[2:3], off
	s_load_dwordx2 s[8:9], s[4:5], 0x68
	v_lshlrev_b32_e32 v0, s6, v0
	v_pk_mov_b32 v[2:3], 0, 0
	v_lshl_add_u32 v5, v0, 4, 0
	s_mov_b32 s4, 1
	v_pk_mov_b32 v[0:1], v[2:3], v[2:3] op_sel:[0,1]
.LBB212_16:                             ; =>This Inner Loop Header: Depth=1
	ds_read2_b64 v[10:13], v5 offset1:1
	s_lshr_b32 s5, s4, s6
	s_add_i32 s4, s4, 1
	v_add_u32_e32 v5, 16, v5
	s_cmp_lg_u32 s5, 0
	s_waitcnt lgkmcnt(0)
	v_add_f64 v[0:1], v[0:1], v[10:11]
	v_add_f64 v[2:3], v[2:3], v[12:13]
	s_cbranch_scc0 .LBB212_16
; %bb.17:
	v_cmp_neq_f64_e32 vcc, 0, v[6:7]
	v_cmp_neq_f64_e64 s[4:5], 0, v[8:9]
	s_waitcnt vmcnt(0)
	v_ashrrev_i32_e32 v5, 31, v4
	s_or_b64 s[6:7], vcc, s[4:5]
	v_lshlrev_b64 v[4:5], 4, v[4:5]
	s_and_saveexec_b64 s[4:5], s[6:7]
	s_cbranch_execz .LBB212_19
; %bb.18:
	v_mov_b32_e32 v11, s9
	v_add_co_u32_e32 v10, vcc, s8, v4
	v_addc_co_u32_e32 v11, vcc, v11, v5, vcc
	global_load_dwordx4 v[10:13], v[10:11], off
	s_waitcnt vmcnt(0)
	v_fmac_f64_e32 v[0:1], v[6:7], v[10:11]
	v_fmac_f64_e32 v[2:3], v[8:9], v[10:11]
	v_fma_f64 v[0:1], -v[8:9], v[12:13], v[0:1]
	v_fmac_f64_e32 v[2:3], v[6:7], v[12:13]
.LBB212_19:
	s_or_b64 exec, exec, s[4:5]
	v_mov_b32_e32 v6, s9
	v_add_co_u32_e32 v4, vcc, s8, v4
	v_addc_co_u32_e32 v5, vcc, v6, v5, vcc
	global_store_dwordx4 v[4:5], v[0:3], off
.LBB212_20:
	s_endpgm
	.section	.rodata,"a",@progbits
	.p2align	6, 0x0
	.amdhsa_kernel _ZN9rocsparseL28csrmvn_lrb_short_rows_kernelIli21rocsparse_complex_numIfES1_IdES3_S3_EEvbT_PT0_S6_jNS_24const_host_device_scalarIT4_EEPKS4_PKS5_PKT1_PKT2_S9_PT3_21rocsparse_index_base_b
		.amdhsa_group_segment_fixed_size 0
		.amdhsa_private_segment_fixed_size 24
		.amdhsa_kernarg_size 120
		.amdhsa_user_sgpr_count 8
		.amdhsa_user_sgpr_private_segment_buffer 1
		.amdhsa_user_sgpr_dispatch_ptr 0
		.amdhsa_user_sgpr_queue_ptr 0
		.amdhsa_user_sgpr_kernarg_segment_ptr 1
		.amdhsa_user_sgpr_dispatch_id 0
		.amdhsa_user_sgpr_flat_scratch_init 1
		.amdhsa_user_sgpr_kernarg_preload_length 0
		.amdhsa_user_sgpr_kernarg_preload_offset 0
		.amdhsa_user_sgpr_private_segment_size 0
		.amdhsa_uses_dynamic_stack 0
		.amdhsa_system_sgpr_private_segment_wavefront_offset 1
		.amdhsa_system_sgpr_workgroup_id_x 1
		.amdhsa_system_sgpr_workgroup_id_y 0
		.amdhsa_system_sgpr_workgroup_id_z 0
		.amdhsa_system_sgpr_workgroup_info 0
		.amdhsa_system_vgpr_workitem_id 0
		.amdhsa_next_free_vgpr 24
		.amdhsa_next_free_sgpr 30
		.amdhsa_accum_offset 24
		.amdhsa_reserve_vcc 1
		.amdhsa_reserve_flat_scratch 1
		.amdhsa_float_round_mode_32 0
		.amdhsa_float_round_mode_16_64 0
		.amdhsa_float_denorm_mode_32 3
		.amdhsa_float_denorm_mode_16_64 3
		.amdhsa_dx10_clamp 1
		.amdhsa_ieee_mode 1
		.amdhsa_fp16_overflow 0
		.amdhsa_tg_split 0
		.amdhsa_exception_fp_ieee_invalid_op 0
		.amdhsa_exception_fp_denorm_src 0
		.amdhsa_exception_fp_ieee_div_zero 0
		.amdhsa_exception_fp_ieee_overflow 0
		.amdhsa_exception_fp_ieee_underflow 0
		.amdhsa_exception_fp_ieee_inexact 0
		.amdhsa_exception_int_div_zero 0
	.end_amdhsa_kernel
	.section	.text._ZN9rocsparseL28csrmvn_lrb_short_rows_kernelIli21rocsparse_complex_numIfES1_IdES3_S3_EEvbT_PT0_S6_jNS_24const_host_device_scalarIT4_EEPKS4_PKS5_PKT1_PKT2_S9_PT3_21rocsparse_index_base_b,"axG",@progbits,_ZN9rocsparseL28csrmvn_lrb_short_rows_kernelIli21rocsparse_complex_numIfES1_IdES3_S3_EEvbT_PT0_S6_jNS_24const_host_device_scalarIT4_EEPKS4_PKS5_PKT1_PKT2_S9_PT3_21rocsparse_index_base_b,comdat
.Lfunc_end212:
	.size	_ZN9rocsparseL28csrmvn_lrb_short_rows_kernelIli21rocsparse_complex_numIfES1_IdES3_S3_EEvbT_PT0_S6_jNS_24const_host_device_scalarIT4_EEPKS4_PKS5_PKT1_PKT2_S9_PT3_21rocsparse_index_base_b, .Lfunc_end212-_ZN9rocsparseL28csrmvn_lrb_short_rows_kernelIli21rocsparse_complex_numIfES1_IdES3_S3_EEvbT_PT0_S6_jNS_24const_host_device_scalarIT4_EEPKS4_PKS5_PKT1_PKT2_S9_PT3_21rocsparse_index_base_b
                                        ; -- End function
	.section	.AMDGPU.csdata,"",@progbits
; Kernel info:
; codeLenInByte = 1096
; NumSgprs: 36
; NumVgprs: 24
; NumAgprs: 0
; TotalNumVgprs: 24
; ScratchSize: 24
; MemoryBound: 0
; FloatMode: 240
; IeeeMode: 1
; LDSByteSize: 0 bytes/workgroup (compile time only)
; SGPRBlocks: 4
; VGPRBlocks: 2
; NumSGPRsForWavesPerEU: 36
; NumVGPRsForWavesPerEU: 24
; AccumOffset: 24
; Occupancy: 8
; WaveLimiterHint : 1
; COMPUTE_PGM_RSRC2:SCRATCH_EN: 1
; COMPUTE_PGM_RSRC2:USER_SGPR: 8
; COMPUTE_PGM_RSRC2:TRAP_HANDLER: 0
; COMPUTE_PGM_RSRC2:TGID_X_EN: 1
; COMPUTE_PGM_RSRC2:TGID_Y_EN: 0
; COMPUTE_PGM_RSRC2:TGID_Z_EN: 0
; COMPUTE_PGM_RSRC2:TIDIG_COMP_CNT: 0
; COMPUTE_PGM_RSRC3_GFX90A:ACCUM_OFFSET: 5
; COMPUTE_PGM_RSRC3_GFX90A:TG_SPLIT: 0
	.section	.text._ZN9rocsparseL30csrmvn_lrb_short_rows_2_kernelIli21rocsparse_complex_numIfES1_IdES3_S3_EEvbT_PT0_S6_jNS_24const_host_device_scalarIT4_EEPKS4_PKS5_PKT1_PKT2_S9_PT3_21rocsparse_index_base_b,"axG",@progbits,_ZN9rocsparseL30csrmvn_lrb_short_rows_2_kernelIli21rocsparse_complex_numIfES1_IdES3_S3_EEvbT_PT0_S6_jNS_24const_host_device_scalarIT4_EEPKS4_PKS5_PKT1_PKT2_S9_PT3_21rocsparse_index_base_b,comdat
	.globl	_ZN9rocsparseL30csrmvn_lrb_short_rows_2_kernelIli21rocsparse_complex_numIfES1_IdES3_S3_EEvbT_PT0_S6_jNS_24const_host_device_scalarIT4_EEPKS4_PKS5_PKT1_PKT2_S9_PT3_21rocsparse_index_base_b ; -- Begin function _ZN9rocsparseL30csrmvn_lrb_short_rows_2_kernelIli21rocsparse_complex_numIfES1_IdES3_S3_EEvbT_PT0_S6_jNS_24const_host_device_scalarIT4_EEPKS4_PKS5_PKT1_PKT2_S9_PT3_21rocsparse_index_base_b
	.p2align	8
	.type	_ZN9rocsparseL30csrmvn_lrb_short_rows_2_kernelIli21rocsparse_complex_numIfES1_IdES3_S3_EEvbT_PT0_S6_jNS_24const_host_device_scalarIT4_EEPKS4_PKS5_PKT1_PKT2_S9_PT3_21rocsparse_index_base_b,@function
_ZN9rocsparseL30csrmvn_lrb_short_rows_2_kernelIli21rocsparse_complex_numIfES1_IdES3_S3_EEvbT_PT0_S6_jNS_24const_host_device_scalarIT4_EEPKS4_PKS5_PKT1_PKT2_S9_PT3_21rocsparse_index_base_b: ; @_ZN9rocsparseL30csrmvn_lrb_short_rows_2_kernelIli21rocsparse_complex_numIfES1_IdES3_S3_EEvbT_PT0_S6_jNS_24const_host_device_scalarIT4_EEPKS4_PKS5_PKT1_PKT2_S9_PT3_21rocsparse_index_base_b
; %bb.0:
	s_add_u32 flat_scratch_lo, s6, s9
	s_load_dwordx2 s[24:25], s[4:5], 0x70
	s_load_dwordx4 s[16:19], s[4:5], 0x28
	s_addc_u32 flat_scratch_hi, s7, 0
	s_add_u32 s0, s0, s9
	s_load_dwordx4 s[12:15], s[4:5], 0x58
	s_addc_u32 s1, s1, 0
	s_waitcnt lgkmcnt(0)
	s_bitcmp1_b32 s25, 0
	v_mov_b32_e32 v1, 0
	v_mov_b32_e32 v3, s16
	s_cselect_b64 s[6:7], -1, 0
	v_cndmask_b32_e64 v2, v3, v1, s[6:7]
	v_mov_b32_e32 v1, s17
	s_mov_b64 s[10:11], src_private_base
	s_and_b64 vcc, s[6:7], exec
	buffer_store_dword v1, off, s[0:3], 0 offset:4
	buffer_store_dword v3, off, s[0:3], 0
	v_mov_b32_e32 v1, s13
	s_cselect_b32 s9, s11, s17
	buffer_store_dword v1, off, s[0:3], 0 offset:12
	v_mov_b32_e32 v1, s12
	buffer_store_dword v1, off, s[0:3], 0 offset:8
	v_mov_b32_e32 v3, s9
	flat_load_dwordx2 v[14:15], v[2:3]
	s_xor_b64 s[20:21], s[6:7], -1
	v_pk_mov_b32 v[16:17], s[18:19], s[18:19] op_sel:[0,1]
	s_cbranch_vccnz .LBB213_2
; %bb.1:
	v_pk_mov_b32 v[2:3], s[16:17], s[16:17] op_sel:[0,1]
	flat_load_dwordx2 v[16:17], v[2:3] offset:8
.LBB213_2:
	s_and_b64 s[16:17], s[6:7], exec
	s_cselect_b32 s9, s11, s13
	v_mov_b32_e32 v1, 8
	v_mov_b32_e32 v2, s12
	v_cndmask_b32_e64 v2, v2, v1, s[6:7]
	v_mov_b32_e32 v3, s9
	flat_load_dwordx2 v[10:11], v[2:3]
	s_andn2_b64 vcc, exec, s[20:21]
	v_pk_mov_b32 v[12:13], s[14:15], s[14:15] op_sel:[0,1]
	s_cbranch_vccnz .LBB213_4
; %bb.3:
	v_pk_mov_b32 v[2:3], s[12:13], s[12:13] op_sel:[0,1]
	flat_load_dwordx2 v[12:13], v[2:3] offset:8
.LBB213_4:
	s_waitcnt vmcnt(0) lgkmcnt(0)
	v_cmp_eq_f64_e32 vcc, 0, v[14:15]
	v_cmp_eq_f64_e64 s[6:7], 0, v[16:17]
	s_and_b64 s[12:13], vcc, s[6:7]
	s_mov_b64 s[6:7], -1
	s_and_saveexec_b64 s[10:11], s[12:13]
; %bb.5:
	v_cmp_neq_f64_e32 vcc, 1.0, v[10:11]
	v_cmp_neq_f64_e64 s[6:7], 0, v[12:13]
	s_or_b64 s[6:7], vcc, s[6:7]
	s_orn2_b64 s[6:7], s[6:7], exec
; %bb.6:
	s_or_b64 exec, exec, s[10:11]
	s_and_saveexec_b64 s[10:11], s[6:7]
	s_cbranch_execz .LBB213_32
; %bb.7:
	s_load_dword s6, s[4:5], 0x20
	s_load_dword s9, s[4:5], 0x0
	s_load_dwordx4 s[20:23], s[4:5], 0x10
	s_mov_b32 s7, 0
	v_mov_b32_e32 v19, 0
	s_waitcnt lgkmcnt(0)
	v_lshrrev_b32_e32 v1, s6, v0
	s_bitcmp1_b32 s9, 0
	s_cselect_b64 s[26:27], -1, 0
	s_lshl_b64 s[10:11], s[6:7], 2
	s_add_u32 s28, s22, s10
	s_addc_u32 s29, s23, s11
	s_add_i32 s10, s6, 1
	s_mov_b32 s11, s7
	s_lshl_b64 s[10:11], s[10:11], 2
	s_add_u32 s30, s22, s10
	s_addc_u32 s31, s23, s11
	s_load_dword s22, s[28:29], 0x0
	s_load_dword s7, s[30:31], 0x0
	s_load_dwordx2 s[10:11], s[4:5], 0x68
	s_load_dwordx8 s[12:19], s[4:5], 0x38
	v_bfe_u32 v18, v0, 0, s6
	s_waitcnt lgkmcnt(0)
	s_sub_i32 s4, s7, s22
	s_lshr_b32 s7, 0x400, s6
	s_mul_i32 s23, s7, s8
	s_add_i32 s5, s23, s7
	s_min_u32 s25, s4, s5
	v_add_u32_e32 v1, s23, v1
	v_cmp_gt_u32_e32 vcc, s25, v1
	s_and_saveexec_b64 s[4:5], vcc
	s_cbranch_execz .LBB213_11
; %bb.8:
	v_add_u32_e32 v2, s22, v1
	v_mov_b32_e32 v3, v19
	v_lshlrev_b64 v[2:3], 2, v[2:3]
	v_mov_b32_e32 v1, s21
	v_add_co_u32_e32 v2, vcc, s20, v2
	v_addc_co_u32_e32 v3, vcc, v1, v3, vcc
	global_load_dword v2, v[2:3], off
	v_mov_b32_e32 v1, s13
	s_waitcnt vmcnt(0)
	v_ashrrev_i32_e32 v3, 31, v2
	v_lshlrev_b64 v[2:3], 3, v[2:3]
	v_add_co_u32_e32 v2, vcc, s12, v2
	v_addc_co_u32_e32 v3, vcc, v1, v3, vcc
	global_load_dwordx4 v[6:9], v[2:3], off
	v_pk_mov_b32 v[2:3], 0, 0
	s_waitcnt vmcnt(0)
	v_sub_co_u32_e32 v4, vcc, v8, v6
	v_subb_co_u32_e32 v5, vcc, v9, v7, vcc
	v_cmp_gt_i64_e32 vcc, v[4:5], v[18:19]
	v_pk_mov_b32 v[4:5], v[2:3], v[2:3] op_sel:[0,1]
	s_and_saveexec_b64 s[8:9], vcc
	s_cbranch_execz .LBB213_10
; %bb.9:
	v_subrev_co_u32_e32 v1, vcc, s24, v6
	v_subbrev_co_u32_e32 v3, vcc, 0, v7, vcc
	v_add_co_u32_e32 v2, vcc, v1, v18
	v_addc_co_u32_e32 v3, vcc, 0, v3, vcc
	v_lshlrev_b64 v[4:5], 2, v[2:3]
	v_mov_b32_e32 v1, s15
	v_add_co_u32_e32 v4, vcc, s14, v4
	v_addc_co_u32_e32 v5, vcc, v1, v5, vcc
	global_load_dword v1, v[4:5], off
	v_lshlrev_b64 v[2:3], 3, v[2:3]
	v_mov_b32_e32 v4, s17
	v_add_co_u32_e32 v2, vcc, s16, v2
	v_addc_co_u32_e32 v3, vcc, v4, v3, vcc
	global_load_dwordx2 v[2:3], v[2:3], off
	v_mov_b32_e32 v6, s19
	s_waitcnt vmcnt(1)
	v_subrev_u32_e32 v4, s24, v1
	v_ashrrev_i32_e32 v5, 31, v4
	v_lshlrev_b64 v[4:5], 4, v[4:5]
	v_add_co_u32_e32 v4, vcc, s18, v4
	v_addc_co_u32_e32 v5, vcc, v6, v5, vcc
	global_load_dwordx4 v[6:9], v[4:5], off
	s_waitcnt vmcnt(1)
	v_cndmask_b32_e64 v1, v3, -v3, s[26:27]
	v_cvt_f64_f32_e32 v[4:5], v1
	v_cvt_f64_f32_e32 v[2:3], v2
	v_mul_f64 v[20:21], -v[16:17], v[4:5]
	v_mul_f64 v[22:23], v[14:15], v[4:5]
	v_fmac_f64_e32 v[20:21], v[14:15], v[2:3]
	v_fmac_f64_e32 v[22:23], v[16:17], v[2:3]
	s_waitcnt vmcnt(0)
	v_mul_f64 v[2:3], v[8:9], -v[22:23]
	v_mul_f64 v[4:5], v[8:9], v[20:21]
	v_fmac_f64_e32 v[2:3], v[20:21], v[6:7]
	v_fmac_f64_e32 v[4:5], v[22:23], v[6:7]
.LBB213_10:
	s_or_b64 exec, exec, s[8:9]
	v_lshlrev_b32_e32 v1, 4, v0
	ds_write_b128 v1, v[2:5]
.LBB213_11:
	s_or_b64 exec, exec, s[4:5]
	v_or_b32_e32 v1, 0x100, v0
	v_lshrrev_b32_e32 v1, s6, v1
	v_add_u32_e32 v1, s23, v1
	v_cmp_gt_u32_e32 vcc, s25, v1
	s_and_saveexec_b64 s[4:5], vcc
	s_cbranch_execz .LBB213_15
; %bb.12:
	v_add_u32_e32 v2, s22, v1
	v_mov_b32_e32 v3, 0
	v_lshlrev_b64 v[2:3], 2, v[2:3]
	v_mov_b32_e32 v1, s21
	v_add_co_u32_e32 v2, vcc, s20, v2
	v_addc_co_u32_e32 v3, vcc, v1, v3, vcc
	global_load_dword v2, v[2:3], off
	v_mov_b32_e32 v1, s13
	s_waitcnt vmcnt(0)
	v_ashrrev_i32_e32 v3, 31, v2
	v_lshlrev_b64 v[2:3], 3, v[2:3]
	v_add_co_u32_e32 v2, vcc, s12, v2
	v_addc_co_u32_e32 v3, vcc, v1, v3, vcc
	global_load_dwordx4 v[6:9], v[2:3], off
	v_pk_mov_b32 v[2:3], 0, 0
	s_waitcnt vmcnt(0)
	v_sub_co_u32_e32 v4, vcc, v8, v6
	v_subb_co_u32_e32 v5, vcc, v9, v7, vcc
	v_cmp_gt_i64_e32 vcc, v[4:5], v[18:19]
	v_pk_mov_b32 v[4:5], v[2:3], v[2:3] op_sel:[0,1]
	s_and_saveexec_b64 s[8:9], vcc
	s_cbranch_execz .LBB213_14
; %bb.13:
	v_subrev_co_u32_e32 v1, vcc, s24, v6
	v_subbrev_co_u32_e32 v3, vcc, 0, v7, vcc
	v_add_co_u32_e32 v2, vcc, v1, v18
	v_addc_co_u32_e32 v3, vcc, 0, v3, vcc
	v_lshlrev_b64 v[4:5], 2, v[2:3]
	v_mov_b32_e32 v1, s15
	v_add_co_u32_e32 v4, vcc, s14, v4
	v_addc_co_u32_e32 v5, vcc, v1, v5, vcc
	global_load_dword v1, v[4:5], off
	v_lshlrev_b64 v[2:3], 3, v[2:3]
	v_mov_b32_e32 v4, s17
	v_add_co_u32_e32 v2, vcc, s16, v2
	v_addc_co_u32_e32 v3, vcc, v4, v3, vcc
	global_load_dwordx2 v[2:3], v[2:3], off
	v_mov_b32_e32 v6, s19
	s_waitcnt vmcnt(1)
	v_subrev_u32_e32 v4, s24, v1
	v_ashrrev_i32_e32 v5, 31, v4
	v_lshlrev_b64 v[4:5], 4, v[4:5]
	v_add_co_u32_e32 v4, vcc, s18, v4
	v_addc_co_u32_e32 v5, vcc, v6, v5, vcc
	global_load_dwordx4 v[6:9], v[4:5], off
	s_waitcnt vmcnt(1)
	v_cndmask_b32_e64 v1, v3, -v3, s[26:27]
	v_cvt_f64_f32_e32 v[4:5], v1
	v_cvt_f64_f32_e32 v[2:3], v2
	v_mul_f64 v[20:21], -v[16:17], v[4:5]
	v_mul_f64 v[22:23], v[14:15], v[4:5]
	v_fmac_f64_e32 v[20:21], v[14:15], v[2:3]
	v_fmac_f64_e32 v[22:23], v[16:17], v[2:3]
	s_waitcnt vmcnt(0)
	v_mul_f64 v[2:3], v[8:9], -v[22:23]
	v_mul_f64 v[4:5], v[8:9], v[20:21]
	v_fmac_f64_e32 v[2:3], v[20:21], v[6:7]
	v_fmac_f64_e32 v[4:5], v[22:23], v[6:7]
.LBB213_14:
	s_or_b64 exec, exec, s[8:9]
	v_lshlrev_b32_e32 v1, 4, v0
	ds_write_b128 v1, v[2:5] offset:4096
.LBB213_15:
	s_or_b64 exec, exec, s[4:5]
	v_or_b32_e32 v1, 0x200, v0
	v_lshrrev_b32_e32 v1, s6, v1
	v_add_u32_e32 v1, s23, v1
	v_cmp_gt_u32_e32 vcc, s25, v1
	s_and_saveexec_b64 s[4:5], vcc
	s_cbranch_execz .LBB213_19
; %bb.16:
	v_add_u32_e32 v2, s22, v1
	v_mov_b32_e32 v3, 0
	v_lshlrev_b64 v[2:3], 2, v[2:3]
	v_mov_b32_e32 v1, s21
	v_add_co_u32_e32 v2, vcc, s20, v2
	v_addc_co_u32_e32 v3, vcc, v1, v3, vcc
	global_load_dword v2, v[2:3], off
	v_mov_b32_e32 v1, s13
	s_waitcnt vmcnt(0)
	v_ashrrev_i32_e32 v3, 31, v2
	v_lshlrev_b64 v[2:3], 3, v[2:3]
	v_add_co_u32_e32 v2, vcc, s12, v2
	v_addc_co_u32_e32 v3, vcc, v1, v3, vcc
	global_load_dwordx4 v[6:9], v[2:3], off
	v_pk_mov_b32 v[2:3], 0, 0
	s_waitcnt vmcnt(0)
	v_sub_co_u32_e32 v4, vcc, v8, v6
	v_subb_co_u32_e32 v5, vcc, v9, v7, vcc
	v_cmp_gt_i64_e32 vcc, v[4:5], v[18:19]
	v_pk_mov_b32 v[4:5], v[2:3], v[2:3] op_sel:[0,1]
	s_and_saveexec_b64 s[8:9], vcc
	s_cbranch_execz .LBB213_18
; %bb.17:
	v_subrev_co_u32_e32 v1, vcc, s24, v6
	v_subbrev_co_u32_e32 v3, vcc, 0, v7, vcc
	v_add_co_u32_e32 v2, vcc, v1, v18
	v_addc_co_u32_e32 v3, vcc, 0, v3, vcc
	v_lshlrev_b64 v[4:5], 2, v[2:3]
	v_mov_b32_e32 v1, s15
	v_add_co_u32_e32 v4, vcc, s14, v4
	v_addc_co_u32_e32 v5, vcc, v1, v5, vcc
	global_load_dword v1, v[4:5], off
	v_lshlrev_b64 v[2:3], 3, v[2:3]
	v_mov_b32_e32 v4, s17
	v_add_co_u32_e32 v2, vcc, s16, v2
	v_addc_co_u32_e32 v3, vcc, v4, v3, vcc
	global_load_dwordx2 v[2:3], v[2:3], off
	v_mov_b32_e32 v6, s19
	s_waitcnt vmcnt(1)
	v_subrev_u32_e32 v4, s24, v1
	v_ashrrev_i32_e32 v5, 31, v4
	v_lshlrev_b64 v[4:5], 4, v[4:5]
	v_add_co_u32_e32 v4, vcc, s18, v4
	v_addc_co_u32_e32 v5, vcc, v6, v5, vcc
	global_load_dwordx4 v[6:9], v[4:5], off
	s_waitcnt vmcnt(1)
	v_cndmask_b32_e64 v1, v3, -v3, s[26:27]
	v_cvt_f64_f32_e32 v[4:5], v1
	v_cvt_f64_f32_e32 v[2:3], v2
	v_mul_f64 v[20:21], -v[16:17], v[4:5]
	v_mul_f64 v[22:23], v[14:15], v[4:5]
	v_fmac_f64_e32 v[20:21], v[14:15], v[2:3]
	v_fmac_f64_e32 v[22:23], v[16:17], v[2:3]
	s_waitcnt vmcnt(0)
	v_mul_f64 v[2:3], v[8:9], -v[22:23]
	v_mul_f64 v[4:5], v[8:9], v[20:21]
	v_fmac_f64_e32 v[2:3], v[20:21], v[6:7]
	v_fmac_f64_e32 v[4:5], v[22:23], v[6:7]
.LBB213_18:
	s_or_b64 exec, exec, s[8:9]
	v_lshlrev_b32_e32 v1, 4, v0
	ds_write_b128 v1, v[2:5] offset:8192
.LBB213_19:
	s_or_b64 exec, exec, s[4:5]
	v_or_b32_e32 v1, 0x300, v0
	v_lshrrev_b32_e32 v1, s6, v1
	v_add_u32_e32 v1, s23, v1
	v_cmp_gt_u32_e32 vcc, s25, v1
	s_and_saveexec_b64 s[4:5], vcc
	s_cbranch_execz .LBB213_23
; %bb.20:
	v_add_u32_e32 v2, s22, v1
	v_mov_b32_e32 v3, 0
	v_lshlrev_b64 v[2:3], 2, v[2:3]
	v_mov_b32_e32 v1, s21
	v_add_co_u32_e32 v2, vcc, s20, v2
	v_addc_co_u32_e32 v3, vcc, v1, v3, vcc
	global_load_dword v2, v[2:3], off
	v_mov_b32_e32 v1, s13
	s_waitcnt vmcnt(0)
	v_ashrrev_i32_e32 v3, 31, v2
	v_lshlrev_b64 v[2:3], 3, v[2:3]
	v_add_co_u32_e32 v2, vcc, s12, v2
	v_addc_co_u32_e32 v3, vcc, v1, v3, vcc
	global_load_dwordx4 v[6:9], v[2:3], off
	v_pk_mov_b32 v[2:3], 0, 0
	s_waitcnt vmcnt(0)
	v_sub_co_u32_e32 v4, vcc, v8, v6
	v_subb_co_u32_e32 v5, vcc, v9, v7, vcc
	v_cmp_gt_i64_e32 vcc, v[4:5], v[18:19]
	v_pk_mov_b32 v[4:5], v[2:3], v[2:3] op_sel:[0,1]
	s_and_saveexec_b64 s[8:9], vcc
	s_cbranch_execz .LBB213_22
; %bb.21:
	v_subrev_co_u32_e32 v1, vcc, s24, v6
	v_subbrev_co_u32_e32 v3, vcc, 0, v7, vcc
	v_add_co_u32_e32 v2, vcc, v1, v18
	v_addc_co_u32_e32 v3, vcc, 0, v3, vcc
	v_lshlrev_b64 v[4:5], 2, v[2:3]
	v_mov_b32_e32 v1, s15
	v_add_co_u32_e32 v4, vcc, s14, v4
	v_addc_co_u32_e32 v5, vcc, v1, v5, vcc
	global_load_dword v1, v[4:5], off
	v_lshlrev_b64 v[2:3], 3, v[2:3]
	v_mov_b32_e32 v4, s17
	v_add_co_u32_e32 v2, vcc, s16, v2
	v_addc_co_u32_e32 v3, vcc, v4, v3, vcc
	global_load_dwordx2 v[2:3], v[2:3], off
	v_mov_b32_e32 v6, s19
	s_waitcnt vmcnt(1)
	v_subrev_u32_e32 v4, s24, v1
	v_ashrrev_i32_e32 v5, 31, v4
	v_lshlrev_b64 v[4:5], 4, v[4:5]
	v_add_co_u32_e32 v4, vcc, s18, v4
	v_addc_co_u32_e32 v5, vcc, v6, v5, vcc
	global_load_dwordx4 v[6:9], v[4:5], off
	s_waitcnt vmcnt(1)
	v_cndmask_b32_e64 v1, v3, -v3, s[26:27]
	v_cvt_f64_f32_e32 v[4:5], v1
	v_cvt_f64_f32_e32 v[2:3], v2
	v_mul_f64 v[18:19], -v[16:17], v[4:5]
	v_mul_f64 v[20:21], v[14:15], v[4:5]
	v_fmac_f64_e32 v[18:19], v[14:15], v[2:3]
	v_fmac_f64_e32 v[20:21], v[16:17], v[2:3]
	s_waitcnt vmcnt(0)
	v_mul_f64 v[2:3], v[8:9], -v[20:21]
	v_mul_f64 v[4:5], v[8:9], v[18:19]
	v_fmac_f64_e32 v[2:3], v[18:19], v[6:7]
	v_fmac_f64_e32 v[4:5], v[20:21], v[6:7]
.LBB213_22:
	s_or_b64 exec, exec, s[8:9]
	v_lshlrev_b32_e32 v1, 4, v0
	ds_write_b128 v1, v[2:5] offset:12288
.LBB213_23:
	s_or_b64 exec, exec, s[4:5]
	s_cmp_lt_u32 s6, 11
	s_waitcnt lgkmcnt(0)
	s_barrier
	s_cbranch_scc0 .LBB213_32
; %bb.24:
	v_cmp_neq_f64_e32 vcc, 0, v[10:11]
	v_cmp_neq_f64_e64 s[4:5], 0, v[12:13]
	s_sub_i32 s14, s25, s23
	s_add_i32 s22, s22, s23
	s_or_b64 s[4:5], vcc, s[4:5]
	s_mov_b32 s15, 0
	v_mov_b32_e32 v7, 0
	s_branch .LBB213_27
.LBB213_25:                             ;   in Loop: Header=BB213_27 Depth=1
	s_or_b64 exec, exec, s[12:13]
	v_mov_b32_e32 v1, s11
	v_add_co_u32_e32 v8, vcc, s10, v8
	v_addc_co_u32_e32 v9, vcc, v1, v9, vcc
	global_store_dwordx4 v[8:9], v[2:5], off
.LBB213_26:                             ;   in Loop: Header=BB213_27 Depth=1
	s_or_b64 exec, exec, s[8:9]
	s_addk_i32 s15, 0x100
	s_cmp_lt_u32 s15, s7
	s_cbranch_scc0 .LBB213_32
.LBB213_27:                             ; =>This Loop Header: Depth=1
                                        ;     Child Loop BB213_29 Depth 2
	v_add_u32_e32 v1, s15, v0
	v_cmp_gt_u32_e32 vcc, s14, v1
	s_and_saveexec_b64 s[8:9], vcc
	s_cbranch_execz .LBB213_26
; %bb.28:                               ;   in Loop: Header=BB213_27 Depth=1
	v_add_u32_e32 v6, s22, v1
	v_lshlrev_b64 v[2:3], 2, v[6:7]
	v_mov_b32_e32 v4, s21
	v_add_co_u32_e32 v2, vcc, s20, v2
	v_addc_co_u32_e32 v3, vcc, v4, v3, vcc
	global_load_dword v8, v[2:3], off
	v_lshlrev_b32_e32 v1, s6, v1
	v_pk_mov_b32 v[4:5], 0, 0
	v_lshlrev_b32_e32 v1, 4, v1
	s_mov_b32 s12, 1
	v_pk_mov_b32 v[2:3], v[4:5], v[4:5] op_sel:[0,1]
.LBB213_29:                             ;   Parent Loop BB213_27 Depth=1
                                        ; =>  This Inner Loop Header: Depth=2
	ds_read_b128 v[14:17], v1
	s_lshr_b32 s13, s12, s6
	s_add_i32 s12, s12, 1
	v_add_u32_e32 v1, 16, v1
	s_cmp_lg_u32 s13, 0
	s_waitcnt lgkmcnt(0)
	v_add_f64 v[2:3], v[2:3], v[14:15]
	v_add_f64 v[4:5], v[4:5], v[16:17]
	s_cbranch_scc0 .LBB213_29
; %bb.30:                               ;   in Loop: Header=BB213_27 Depth=1
	s_waitcnt vmcnt(0)
	v_ashrrev_i32_e32 v9, 31, v8
	v_lshlrev_b64 v[8:9], 4, v[8:9]
	s_and_saveexec_b64 s[12:13], s[4:5]
	s_cbranch_execz .LBB213_25
; %bb.31:                               ;   in Loop: Header=BB213_27 Depth=1
	v_mov_b32_e32 v1, s11
	v_add_co_u32_e32 v14, vcc, s10, v8
	v_addc_co_u32_e32 v15, vcc, v1, v9, vcc
	global_load_dwordx4 v[14:17], v[14:15], off
	s_waitcnt vmcnt(0)
	v_fmac_f64_e32 v[2:3], v[10:11], v[14:15]
	v_fmac_f64_e32 v[4:5], v[12:13], v[14:15]
	v_fma_f64 v[2:3], -v[12:13], v[16:17], v[2:3]
	v_fmac_f64_e32 v[4:5], v[10:11], v[16:17]
	s_branch .LBB213_25
.LBB213_32:
	s_endpgm
	.section	.rodata,"a",@progbits
	.p2align	6, 0x0
	.amdhsa_kernel _ZN9rocsparseL30csrmvn_lrb_short_rows_2_kernelIli21rocsparse_complex_numIfES1_IdES3_S3_EEvbT_PT0_S6_jNS_24const_host_device_scalarIT4_EEPKS4_PKS5_PKT1_PKT2_S9_PT3_21rocsparse_index_base_b
		.amdhsa_group_segment_fixed_size 16384
		.amdhsa_private_segment_fixed_size 24
		.amdhsa_kernarg_size 120
		.amdhsa_user_sgpr_count 8
		.amdhsa_user_sgpr_private_segment_buffer 1
		.amdhsa_user_sgpr_dispatch_ptr 0
		.amdhsa_user_sgpr_queue_ptr 0
		.amdhsa_user_sgpr_kernarg_segment_ptr 1
		.amdhsa_user_sgpr_dispatch_id 0
		.amdhsa_user_sgpr_flat_scratch_init 1
		.amdhsa_user_sgpr_kernarg_preload_length 0
		.amdhsa_user_sgpr_kernarg_preload_offset 0
		.amdhsa_user_sgpr_private_segment_size 0
		.amdhsa_uses_dynamic_stack 0
		.amdhsa_system_sgpr_private_segment_wavefront_offset 1
		.amdhsa_system_sgpr_workgroup_id_x 1
		.amdhsa_system_sgpr_workgroup_id_y 0
		.amdhsa_system_sgpr_workgroup_id_z 0
		.amdhsa_system_sgpr_workgroup_info 0
		.amdhsa_system_vgpr_workitem_id 0
		.amdhsa_next_free_vgpr 24
		.amdhsa_next_free_sgpr 32
		.amdhsa_accum_offset 24
		.amdhsa_reserve_vcc 1
		.amdhsa_reserve_flat_scratch 1
		.amdhsa_float_round_mode_32 0
		.amdhsa_float_round_mode_16_64 0
		.amdhsa_float_denorm_mode_32 3
		.amdhsa_float_denorm_mode_16_64 3
		.amdhsa_dx10_clamp 1
		.amdhsa_ieee_mode 1
		.amdhsa_fp16_overflow 0
		.amdhsa_tg_split 0
		.amdhsa_exception_fp_ieee_invalid_op 0
		.amdhsa_exception_fp_denorm_src 0
		.amdhsa_exception_fp_ieee_div_zero 0
		.amdhsa_exception_fp_ieee_overflow 0
		.amdhsa_exception_fp_ieee_underflow 0
		.amdhsa_exception_fp_ieee_inexact 0
		.amdhsa_exception_int_div_zero 0
	.end_amdhsa_kernel
	.section	.text._ZN9rocsparseL30csrmvn_lrb_short_rows_2_kernelIli21rocsparse_complex_numIfES1_IdES3_S3_EEvbT_PT0_S6_jNS_24const_host_device_scalarIT4_EEPKS4_PKS5_PKT1_PKT2_S9_PT3_21rocsparse_index_base_b,"axG",@progbits,_ZN9rocsparseL30csrmvn_lrb_short_rows_2_kernelIli21rocsparse_complex_numIfES1_IdES3_S3_EEvbT_PT0_S6_jNS_24const_host_device_scalarIT4_EEPKS4_PKS5_PKT1_PKT2_S9_PT3_21rocsparse_index_base_b,comdat
.Lfunc_end213:
	.size	_ZN9rocsparseL30csrmvn_lrb_short_rows_2_kernelIli21rocsparse_complex_numIfES1_IdES3_S3_EEvbT_PT0_S6_jNS_24const_host_device_scalarIT4_EEPKS4_PKS5_PKT1_PKT2_S9_PT3_21rocsparse_index_base_b, .Lfunc_end213-_ZN9rocsparseL30csrmvn_lrb_short_rows_2_kernelIli21rocsparse_complex_numIfES1_IdES3_S3_EEvbT_PT0_S6_jNS_24const_host_device_scalarIT4_EEPKS4_PKS5_PKT1_PKT2_S9_PT3_21rocsparse_index_base_b
                                        ; -- End function
	.section	.AMDGPU.csdata,"",@progbits
; Kernel info:
; codeLenInByte = 2100
; NumSgprs: 38
; NumVgprs: 24
; NumAgprs: 0
; TotalNumVgprs: 24
; ScratchSize: 24
; MemoryBound: 0
; FloatMode: 240
; IeeeMode: 1
; LDSByteSize: 16384 bytes/workgroup (compile time only)
; SGPRBlocks: 4
; VGPRBlocks: 2
; NumSGPRsForWavesPerEU: 38
; NumVGPRsForWavesPerEU: 24
; AccumOffset: 24
; Occupancy: 4
; WaveLimiterHint : 1
; COMPUTE_PGM_RSRC2:SCRATCH_EN: 1
; COMPUTE_PGM_RSRC2:USER_SGPR: 8
; COMPUTE_PGM_RSRC2:TRAP_HANDLER: 0
; COMPUTE_PGM_RSRC2:TGID_X_EN: 1
; COMPUTE_PGM_RSRC2:TGID_Y_EN: 0
; COMPUTE_PGM_RSRC2:TGID_Z_EN: 0
; COMPUTE_PGM_RSRC2:TIDIG_COMP_CNT: 0
; COMPUTE_PGM_RSRC3_GFX90A:ACCUM_OFFSET: 5
; COMPUTE_PGM_RSRC3_GFX90A:TG_SPLIT: 0
	.section	.text._ZN9rocsparseL41csrmvn_lrb_medium_rows_warp_reduce_kernelILj256ELj32Eli21rocsparse_complex_numIfES1_IdES3_S3_EEvbT1_lPT2_S6_jNS_24const_host_device_scalarIT6_EEPKS4_PKS5_PKT3_PKT4_S9_PT5_21rocsparse_index_base_b,"axG",@progbits,_ZN9rocsparseL41csrmvn_lrb_medium_rows_warp_reduce_kernelILj256ELj32Eli21rocsparse_complex_numIfES1_IdES3_S3_EEvbT1_lPT2_S6_jNS_24const_host_device_scalarIT6_EEPKS4_PKS5_PKT3_PKT4_S9_PT5_21rocsparse_index_base_b,comdat
	.globl	_ZN9rocsparseL41csrmvn_lrb_medium_rows_warp_reduce_kernelILj256ELj32Eli21rocsparse_complex_numIfES1_IdES3_S3_EEvbT1_lPT2_S6_jNS_24const_host_device_scalarIT6_EEPKS4_PKS5_PKT3_PKT4_S9_PT5_21rocsparse_index_base_b ; -- Begin function _ZN9rocsparseL41csrmvn_lrb_medium_rows_warp_reduce_kernelILj256ELj32Eli21rocsparse_complex_numIfES1_IdES3_S3_EEvbT1_lPT2_S6_jNS_24const_host_device_scalarIT6_EEPKS4_PKS5_PKT3_PKT4_S9_PT5_21rocsparse_index_base_b
	.p2align	8
	.type	_ZN9rocsparseL41csrmvn_lrb_medium_rows_warp_reduce_kernelILj256ELj32Eli21rocsparse_complex_numIfES1_IdES3_S3_EEvbT1_lPT2_S6_jNS_24const_host_device_scalarIT6_EEPKS4_PKS5_PKT3_PKT4_S9_PT5_21rocsparse_index_base_b,@function
_ZN9rocsparseL41csrmvn_lrb_medium_rows_warp_reduce_kernelILj256ELj32Eli21rocsparse_complex_numIfES1_IdES3_S3_EEvbT1_lPT2_S6_jNS_24const_host_device_scalarIT6_EEPKS4_PKS5_PKT3_PKT4_S9_PT5_21rocsparse_index_base_b: ; @_ZN9rocsparseL41csrmvn_lrb_medium_rows_warp_reduce_kernelILj256ELj32Eli21rocsparse_complex_numIfES1_IdES3_S3_EEvbT1_lPT2_S6_jNS_24const_host_device_scalarIT6_EEPKS4_PKS5_PKT3_PKT4_S9_PT5_21rocsparse_index_base_b
; %bb.0:
	s_load_dwordx2 s[2:3], s[6:7], 0x78
	s_load_dwordx4 s[12:15], s[6:7], 0x30
	s_load_dwordx2 s[20:21], s[4:5], 0x4
	s_load_dwordx4 s[16:19], s[6:7], 0x60
	s_mov_b64 s[10:11], src_shared_base
	v_and_b32_e32 v10, 0x3ff, v0
	s_waitcnt lgkmcnt(0)
	s_bitcmp1_b32 s3, 0
	s_cselect_b64 s[0:1], -1, 0
	s_and_b64 vcc, s[0:1], exec
	s_cselect_b32 s3, s11, s13
	s_lshr_b32 s4, s20, 16
	s_mul_i32 s4, s4, s21
	v_mul_lo_u32 v1, s4, v10
	v_bfe_u32 v2, v0, 10, 10
	v_mad_u32_u24 v1, v2, s21, v1
	v_bfe_u32 v0, v0, 20, 10
	v_add_lshl_u32 v4, v1, v0, 3
	v_mov_b32_e32 v5, s12
	v_add_u32_e32 v6, 0x800, v4
	v_pk_mov_b32 v[0:1], s[12:13], s[12:13] op_sel:[0,1]
	v_pk_mov_b32 v[2:3], s[16:17], s[16:17] op_sel:[0,1]
	ds_write2st64_b64 v4, v[2:3], v[0:1] offset1:4
	v_cndmask_b32_e64 v0, v5, v6, s[0:1]
	v_mov_b32_e32 v1, s3
	flat_load_dwordx2 v[0:1], v[0:1]
	s_xor_b64 s[4:5], s[0:1], -1
	v_pk_mov_b32 v[2:3], s[14:15], s[14:15] op_sel:[0,1]
	s_cbranch_vccnz .LBB214_2
; %bb.1:
	v_pk_mov_b32 v[2:3], s[12:13], s[12:13] op_sel:[0,1]
	flat_load_dwordx2 v[2:3], v[2:3] offset:8
.LBB214_2:
	s_and_b64 s[12:13], s[0:1], exec
	s_cselect_b32 s3, s11, s17
	v_mov_b32_e32 v5, s16
	v_cndmask_b32_e64 v4, v5, v4, s[0:1]
	v_mov_b32_e32 v5, s3
	flat_load_dwordx2 v[4:5], v[4:5]
	s_andn2_b64 vcc, exec, s[4:5]
	v_pk_mov_b32 v[6:7], s[18:19], s[18:19] op_sel:[0,1]
	s_cbranch_vccnz .LBB214_4
; %bb.3:
	v_pk_mov_b32 v[6:7], s[16:17], s[16:17] op_sel:[0,1]
	flat_load_dwordx2 v[6:7], v[6:7] offset:8
.LBB214_4:
	s_waitcnt vmcnt(0) lgkmcnt(0)
	v_cmp_eq_f64_e32 vcc, 0, v[0:1]
	v_cmp_eq_f64_e64 s[0:1], 0, v[2:3]
	s_and_b64 s[10:11], vcc, s[0:1]
	s_mov_b64 s[0:1], -1
	s_and_saveexec_b64 s[4:5], s[10:11]
; %bb.5:
	v_cmp_neq_f64_e32 vcc, 1.0, v[4:5]
	v_cmp_neq_f64_e64 s[0:1], 0, v[6:7]
	s_or_b64 s[0:1], vcc, s[0:1]
	s_orn2_b64 s[0:1], s[0:1], exec
; %bb.6:
	s_or_b64 exec, exec, s[4:5]
	s_and_saveexec_b64 s[4:5], s[0:1]
	s_cbranch_execz .LBB214_16
; %bb.7:
	s_load_dwordx2 s[0:1], s[6:7], 0x10
	v_lshrrev_b32_e32 v8, 5, v10
	v_lshl_or_b32 v8, s8, 3, v8
	v_ashrrev_i32_e32 v9, 31, v8
	s_waitcnt lgkmcnt(0)
	v_cmp_gt_i64_e32 vcc, s[0:1], v[8:9]
	s_and_b64 exec, exec, vcc
	s_cbranch_execz .LBB214_16
; %bb.8:
	s_load_dword s0, s[6:7], 0x28
	s_load_dwordx4 s[8:11], s[6:7], 0x18
	s_mov_b32 s1, 0
	v_and_b32_e32 v22, 31, v10
	s_load_dwordx2 s[4:5], s[6:7], 0x70
	s_waitcnt lgkmcnt(0)
	s_lshl_b64 s[0:1], s[0:1], 2
	s_add_u32 s0, s10, s0
	s_addc_u32 s1, s11, s1
	s_load_dword s0, s[0:1], 0x0
	v_mov_b32_e32 v11, s9
	s_waitcnt lgkmcnt(0)
	v_add_u32_e32 v8, s0, v8
	v_ashrrev_i32_e32 v9, 31, v8
	v_lshlrev_b64 v[8:9], 2, v[8:9]
	v_add_co_u32_e32 v8, vcc, s8, v8
	v_addc_co_u32_e32 v9, vcc, v11, v9, vcc
	global_load_dword v8, v[8:9], off
	s_load_dwordx2 s[0:1], s[6:7], 0x40
	s_waitcnt lgkmcnt(0)
	v_mov_b32_e32 v11, s1
	s_waitcnt vmcnt(0)
	v_ashrrev_i32_e32 v9, 31, v8
	v_lshlrev_b64 v[12:13], 3, v[8:9]
	v_add_co_u32_e32 v12, vcc, s0, v12
	v_addc_co_u32_e32 v13, vcc, v11, v13, vcc
	global_load_dwordx4 v[14:17], v[12:13], off
	v_subrev_co_u32_e32 v18, vcc, s2, v22
	v_subb_co_u32_e64 v19, s[0:1], 0, 0, vcc
	v_pk_mov_b32 v[10:11], 0, 0
	s_waitcnt vmcnt(0)
	v_subrev_co_u32_e32 v12, vcc, s2, v16
	v_subbrev_co_u32_e32 v13, vcc, 0, v17, vcc
	v_add_co_u32_e32 v14, vcc, v14, v18
	v_addc_co_u32_e32 v15, vcc, v15, v19, vcc
	v_cmp_lt_i64_e32 vcc, v[14:15], v[12:13]
	v_pk_mov_b32 v[16:17], v[10:11], v[10:11] op_sel:[0,1]
	s_and_saveexec_b64 s[8:9], vcc
	s_cbranch_execz .LBB214_12
; %bb.9:
	s_load_dword s0, s[6:7], 0x0
	s_load_dwordx4 s[12:15], s[6:7], 0x48
	s_load_dwordx2 s[10:11], s[6:7], 0x58
	v_lshlrev_b64 v[10:11], 3, v[14:15]
	s_waitcnt lgkmcnt(0)
	s_bitcmp1_b32 s0, 0
	v_mov_b32_e32 v16, s15
	v_add_co_u32_e32 v10, vcc, s14, v10
	v_addc_co_u32_e32 v11, vcc, v11, v16, vcc
	v_add_co_u32_e32 v18, vcc, 4, v10
	v_addc_co_u32_e32 v19, vcc, 0, v11, vcc
	v_lshlrev_b64 v[10:11], 2, v[14:15]
	v_mov_b32_e32 v16, s13
	v_add_co_u32_e32 v20, vcc, s12, v10
	v_addc_co_u32_e32 v21, vcc, v16, v11, vcc
	v_pk_mov_b32 v[10:11], 0, 0
	s_cselect_b64 s[6:7], -1, 0
	s_mov_b64 s[12:13], 0
	v_mov_b32_e32 v23, s11
	v_pk_mov_b32 v[16:17], v[10:11], v[10:11] op_sel:[0,1]
.LBB214_10:                             ; =>This Inner Loop Header: Depth=1
	global_load_dword v24, v[20:21], off
	global_load_dwordx2 v[28:29], v[18:19], off offset:-4
	s_waitcnt vmcnt(1)
	v_subrev_u32_e32 v24, s2, v24
	v_ashrrev_i32_e32 v25, 31, v24
	v_lshlrev_b64 v[24:25], 4, v[24:25]
	v_add_co_u32_e32 v24, vcc, s10, v24
	v_addc_co_u32_e32 v25, vcc, v23, v25, vcc
	global_load_dwordx4 v[24:27], v[24:25], off
	v_add_co_u32_e32 v14, vcc, 32, v14
	s_waitcnt vmcnt(1)
	v_cndmask_b32_e64 v30, v29, -v29, s[6:7]
	v_addc_co_u32_e32 v15, vcc, 0, v15, vcc
	v_cvt_f64_f32_e32 v[30:31], v30
	v_add_co_u32_e32 v18, vcc, 0x100, v18
	v_cvt_f64_f32_e32 v[28:29], v28
	v_mul_f64 v[32:33], -v[2:3], v[30:31]
	v_mul_f64 v[30:31], v[0:1], v[30:31]
	v_addc_co_u32_e32 v19, vcc, 0, v19, vcc
	v_fmac_f64_e32 v[32:33], v[0:1], v[28:29]
	v_fmac_f64_e32 v[30:31], v[2:3], v[28:29]
	v_add_co_u32_e32 v20, vcc, 0x80, v20
	v_cmp_ge_i64_e64 s[0:1], v[14:15], v[12:13]
	v_addc_co_u32_e32 v21, vcc, 0, v21, vcc
	s_or_b64 s[12:13], s[0:1], s[12:13]
	s_waitcnt vmcnt(0)
	v_fmac_f64_e32 v[16:17], v[32:33], v[24:25]
	v_fmac_f64_e32 v[10:11], v[30:31], v[24:25]
	v_fma_f64 v[16:17], -v[30:31], v[26:27], v[16:17]
	v_fmac_f64_e32 v[10:11], v[32:33], v[26:27]
	s_andn2_b64 exec, exec, s[12:13]
	s_cbranch_execnz .LBB214_10
; %bb.11:
	s_or_b64 exec, exec, s[12:13]
.LBB214_12:
	s_or_b64 exec, exec, s[8:9]
	v_mov_b32_dpp v0, v16 row_shr:1 row_mask:0xf bank_mask:0xf
	v_mov_b32_dpp v1, v17 row_shr:1 row_mask:0xf bank_mask:0xf
	;; [unrolled: 1-line block ×4, first 2 shown]
	v_add_f64 v[0:1], v[16:17], v[0:1]
	v_add_f64 v[10:11], v[10:11], v[12:13]
	v_cmp_eq_u32_e32 vcc, 31, v22
	v_mov_b32_dpp v2, v0 row_shr:2 row_mask:0xf bank_mask:0xf
	v_mov_b32_dpp v3, v1 row_shr:2 row_mask:0xf bank_mask:0xf
	v_mov_b32_dpp v12, v10 row_shr:2 row_mask:0xf bank_mask:0xf
	v_mov_b32_dpp v13, v11 row_shr:2 row_mask:0xf bank_mask:0xf
	v_add_f64 v[0:1], v[0:1], v[2:3]
	v_add_f64 v[10:11], v[10:11], v[12:13]
	s_nop 0
	v_mov_b32_dpp v2, v0 row_shr:4 row_mask:0xf bank_mask:0xe
	v_mov_b32_dpp v3, v1 row_shr:4 row_mask:0xf bank_mask:0xe
	v_mov_b32_dpp v12, v10 row_shr:4 row_mask:0xf bank_mask:0xe
	v_mov_b32_dpp v13, v11 row_shr:4 row_mask:0xf bank_mask:0xe
	v_add_f64 v[0:1], v[0:1], v[2:3]
	v_add_f64 v[10:11], v[10:11], v[12:13]
	s_nop 0
	v_mov_b32_dpp v2, v0 row_shr:8 row_mask:0xf bank_mask:0xc
	v_mov_b32_dpp v3, v1 row_shr:8 row_mask:0xf bank_mask:0xc
	v_mov_b32_dpp v12, v10 row_shr:8 row_mask:0xf bank_mask:0xc
	v_mov_b32_dpp v13, v11 row_shr:8 row_mask:0xf bank_mask:0xc
	v_add_f64 v[0:1], v[0:1], v[2:3]
	v_add_f64 v[10:11], v[10:11], v[12:13]
	s_nop 0
	v_mov_b32_dpp v2, v0 row_bcast:15 row_mask:0xa bank_mask:0xf
	v_mov_b32_dpp v3, v1 row_bcast:15 row_mask:0xa bank_mask:0xf
	;; [unrolled: 1-line block ×4, first 2 shown]
	s_and_b64 exec, exec, vcc
	s_cbranch_execz .LBB214_16
; %bb.13:
	v_cmp_neq_f64_e32 vcc, 0, v[4:5]
	v_cmp_neq_f64_e64 s[0:1], 0, v[6:7]
	v_add_f64 v[0:1], v[0:1], v[2:3]
	v_add_f64 v[2:3], v[10:11], v[12:13]
	s_or_b64 s[2:3], vcc, s[0:1]
	v_lshlrev_b64 v[8:9], 4, v[8:9]
	s_and_saveexec_b64 s[0:1], s[2:3]
	s_cbranch_execz .LBB214_15
; %bb.14:
	v_mov_b32_e32 v11, s5
	v_add_co_u32_e32 v10, vcc, s4, v8
	v_addc_co_u32_e32 v11, vcc, v11, v9, vcc
	global_load_dwordx4 v[10:13], v[10:11], off
	s_waitcnt vmcnt(0)
	v_fmac_f64_e32 v[0:1], v[4:5], v[10:11]
	v_fmac_f64_e32 v[2:3], v[6:7], v[10:11]
	v_fma_f64 v[0:1], -v[6:7], v[12:13], v[0:1]
	v_fmac_f64_e32 v[2:3], v[4:5], v[12:13]
.LBB214_15:
	s_or_b64 exec, exec, s[0:1]
	v_mov_b32_e32 v5, s5
	v_add_co_u32_e32 v4, vcc, s4, v8
	v_addc_co_u32_e32 v5, vcc, v5, v9, vcc
	global_store_dwordx4 v[4:5], v[0:3], off
.LBB214_16:
	s_endpgm
	.section	.rodata,"a",@progbits
	.p2align	6, 0x0
	.amdhsa_kernel _ZN9rocsparseL41csrmvn_lrb_medium_rows_warp_reduce_kernelILj256ELj32Eli21rocsparse_complex_numIfES1_IdES3_S3_EEvbT1_lPT2_S6_jNS_24const_host_device_scalarIT6_EEPKS4_PKS5_PKT3_PKT4_S9_PT5_21rocsparse_index_base_b
		.amdhsa_group_segment_fixed_size 4096
		.amdhsa_private_segment_fixed_size 0
		.amdhsa_kernarg_size 128
		.amdhsa_user_sgpr_count 8
		.amdhsa_user_sgpr_private_segment_buffer 1
		.amdhsa_user_sgpr_dispatch_ptr 1
		.amdhsa_user_sgpr_queue_ptr 0
		.amdhsa_user_sgpr_kernarg_segment_ptr 1
		.amdhsa_user_sgpr_dispatch_id 0
		.amdhsa_user_sgpr_flat_scratch_init 0
		.amdhsa_user_sgpr_kernarg_preload_length 0
		.amdhsa_user_sgpr_kernarg_preload_offset 0
		.amdhsa_user_sgpr_private_segment_size 0
		.amdhsa_uses_dynamic_stack 0
		.amdhsa_system_sgpr_private_segment_wavefront_offset 0
		.amdhsa_system_sgpr_workgroup_id_x 1
		.amdhsa_system_sgpr_workgroup_id_y 0
		.amdhsa_system_sgpr_workgroup_id_z 0
		.amdhsa_system_sgpr_workgroup_info 0
		.amdhsa_system_vgpr_workitem_id 2
		.amdhsa_next_free_vgpr 34
		.amdhsa_next_free_sgpr 22
		.amdhsa_accum_offset 36
		.amdhsa_reserve_vcc 1
		.amdhsa_reserve_flat_scratch 0
		.amdhsa_float_round_mode_32 0
		.amdhsa_float_round_mode_16_64 0
		.amdhsa_float_denorm_mode_32 3
		.amdhsa_float_denorm_mode_16_64 3
		.amdhsa_dx10_clamp 1
		.amdhsa_ieee_mode 1
		.amdhsa_fp16_overflow 0
		.amdhsa_tg_split 0
		.amdhsa_exception_fp_ieee_invalid_op 0
		.amdhsa_exception_fp_denorm_src 0
		.amdhsa_exception_fp_ieee_div_zero 0
		.amdhsa_exception_fp_ieee_overflow 0
		.amdhsa_exception_fp_ieee_underflow 0
		.amdhsa_exception_fp_ieee_inexact 0
		.amdhsa_exception_int_div_zero 0
	.end_amdhsa_kernel
	.section	.text._ZN9rocsparseL41csrmvn_lrb_medium_rows_warp_reduce_kernelILj256ELj32Eli21rocsparse_complex_numIfES1_IdES3_S3_EEvbT1_lPT2_S6_jNS_24const_host_device_scalarIT6_EEPKS4_PKS5_PKT3_PKT4_S9_PT5_21rocsparse_index_base_b,"axG",@progbits,_ZN9rocsparseL41csrmvn_lrb_medium_rows_warp_reduce_kernelILj256ELj32Eli21rocsparse_complex_numIfES1_IdES3_S3_EEvbT1_lPT2_S6_jNS_24const_host_device_scalarIT6_EEPKS4_PKS5_PKT3_PKT4_S9_PT5_21rocsparse_index_base_b,comdat
.Lfunc_end214:
	.size	_ZN9rocsparseL41csrmvn_lrb_medium_rows_warp_reduce_kernelILj256ELj32Eli21rocsparse_complex_numIfES1_IdES3_S3_EEvbT1_lPT2_S6_jNS_24const_host_device_scalarIT6_EEPKS4_PKS5_PKT3_PKT4_S9_PT5_21rocsparse_index_base_b, .Lfunc_end214-_ZN9rocsparseL41csrmvn_lrb_medium_rows_warp_reduce_kernelILj256ELj32Eli21rocsparse_complex_numIfES1_IdES3_S3_EEvbT1_lPT2_S6_jNS_24const_host_device_scalarIT6_EEPKS4_PKS5_PKT3_PKT4_S9_PT5_21rocsparse_index_base_b
                                        ; -- End function
	.section	.AMDGPU.csdata,"",@progbits
; Kernel info:
; codeLenInByte = 1224
; NumSgprs: 26
; NumVgprs: 34
; NumAgprs: 0
; TotalNumVgprs: 34
; ScratchSize: 0
; MemoryBound: 0
; FloatMode: 240
; IeeeMode: 1
; LDSByteSize: 4096 bytes/workgroup (compile time only)
; SGPRBlocks: 3
; VGPRBlocks: 4
; NumSGPRsForWavesPerEU: 26
; NumVGPRsForWavesPerEU: 34
; AccumOffset: 36
; Occupancy: 8
; WaveLimiterHint : 1
; COMPUTE_PGM_RSRC2:SCRATCH_EN: 0
; COMPUTE_PGM_RSRC2:USER_SGPR: 8
; COMPUTE_PGM_RSRC2:TRAP_HANDLER: 0
; COMPUTE_PGM_RSRC2:TGID_X_EN: 1
; COMPUTE_PGM_RSRC2:TGID_Y_EN: 0
; COMPUTE_PGM_RSRC2:TGID_Z_EN: 0
; COMPUTE_PGM_RSRC2:TIDIG_COMP_CNT: 2
; COMPUTE_PGM_RSRC3_GFX90A:ACCUM_OFFSET: 8
; COMPUTE_PGM_RSRC3_GFX90A:TG_SPLIT: 0
	.section	.text._ZN9rocsparseL41csrmvn_lrb_medium_rows_warp_reduce_kernelILj256ELj64Eli21rocsparse_complex_numIfES1_IdES3_S3_EEvbT1_lPT2_S6_jNS_24const_host_device_scalarIT6_EEPKS4_PKS5_PKT3_PKT4_S9_PT5_21rocsparse_index_base_b,"axG",@progbits,_ZN9rocsparseL41csrmvn_lrb_medium_rows_warp_reduce_kernelILj256ELj64Eli21rocsparse_complex_numIfES1_IdES3_S3_EEvbT1_lPT2_S6_jNS_24const_host_device_scalarIT6_EEPKS4_PKS5_PKT3_PKT4_S9_PT5_21rocsparse_index_base_b,comdat
	.globl	_ZN9rocsparseL41csrmvn_lrb_medium_rows_warp_reduce_kernelILj256ELj64Eli21rocsparse_complex_numIfES1_IdES3_S3_EEvbT1_lPT2_S6_jNS_24const_host_device_scalarIT6_EEPKS4_PKS5_PKT3_PKT4_S9_PT5_21rocsparse_index_base_b ; -- Begin function _ZN9rocsparseL41csrmvn_lrb_medium_rows_warp_reduce_kernelILj256ELj64Eli21rocsparse_complex_numIfES1_IdES3_S3_EEvbT1_lPT2_S6_jNS_24const_host_device_scalarIT6_EEPKS4_PKS5_PKT3_PKT4_S9_PT5_21rocsparse_index_base_b
	.p2align	8
	.type	_ZN9rocsparseL41csrmvn_lrb_medium_rows_warp_reduce_kernelILj256ELj64Eli21rocsparse_complex_numIfES1_IdES3_S3_EEvbT1_lPT2_S6_jNS_24const_host_device_scalarIT6_EEPKS4_PKS5_PKT3_PKT4_S9_PT5_21rocsparse_index_base_b,@function
_ZN9rocsparseL41csrmvn_lrb_medium_rows_warp_reduce_kernelILj256ELj64Eli21rocsparse_complex_numIfES1_IdES3_S3_EEvbT1_lPT2_S6_jNS_24const_host_device_scalarIT6_EEPKS4_PKS5_PKT3_PKT4_S9_PT5_21rocsparse_index_base_b: ; @_ZN9rocsparseL41csrmvn_lrb_medium_rows_warp_reduce_kernelILj256ELj64Eli21rocsparse_complex_numIfES1_IdES3_S3_EEvbT1_lPT2_S6_jNS_24const_host_device_scalarIT6_EEPKS4_PKS5_PKT3_PKT4_S9_PT5_21rocsparse_index_base_b
; %bb.0:
	s_load_dwordx2 s[2:3], s[6:7], 0x78
	s_load_dwordx4 s[12:15], s[6:7], 0x30
	s_load_dwordx2 s[20:21], s[4:5], 0x4
	s_load_dwordx4 s[16:19], s[6:7], 0x60
	s_mov_b64 s[10:11], src_shared_base
	v_and_b32_e32 v10, 0x3ff, v0
	s_waitcnt lgkmcnt(0)
	s_bitcmp1_b32 s3, 0
	s_cselect_b64 s[0:1], -1, 0
	s_and_b64 vcc, s[0:1], exec
	s_cselect_b32 s3, s11, s13
	s_lshr_b32 s4, s20, 16
	s_mul_i32 s4, s4, s21
	v_mul_lo_u32 v1, s4, v10
	v_bfe_u32 v2, v0, 10, 10
	v_mad_u32_u24 v1, v2, s21, v1
	v_bfe_u32 v0, v0, 20, 10
	v_add_lshl_u32 v4, v1, v0, 3
	v_mov_b32_e32 v5, s12
	v_add_u32_e32 v6, 0x800, v4
	v_pk_mov_b32 v[0:1], s[12:13], s[12:13] op_sel:[0,1]
	v_pk_mov_b32 v[2:3], s[16:17], s[16:17] op_sel:[0,1]
	ds_write2st64_b64 v4, v[2:3], v[0:1] offset1:4
	v_cndmask_b32_e64 v0, v5, v6, s[0:1]
	v_mov_b32_e32 v1, s3
	flat_load_dwordx2 v[0:1], v[0:1]
	s_xor_b64 s[4:5], s[0:1], -1
	v_pk_mov_b32 v[2:3], s[14:15], s[14:15] op_sel:[0,1]
	s_cbranch_vccnz .LBB215_2
; %bb.1:
	v_pk_mov_b32 v[2:3], s[12:13], s[12:13] op_sel:[0,1]
	flat_load_dwordx2 v[2:3], v[2:3] offset:8
.LBB215_2:
	s_and_b64 s[12:13], s[0:1], exec
	s_cselect_b32 s3, s11, s17
	v_mov_b32_e32 v5, s16
	v_cndmask_b32_e64 v4, v5, v4, s[0:1]
	v_mov_b32_e32 v5, s3
	flat_load_dwordx2 v[4:5], v[4:5]
	s_andn2_b64 vcc, exec, s[4:5]
	v_pk_mov_b32 v[6:7], s[18:19], s[18:19] op_sel:[0,1]
	s_cbranch_vccnz .LBB215_4
; %bb.3:
	v_pk_mov_b32 v[6:7], s[16:17], s[16:17] op_sel:[0,1]
	flat_load_dwordx2 v[6:7], v[6:7] offset:8
.LBB215_4:
	s_waitcnt vmcnt(0) lgkmcnt(0)
	v_cmp_eq_f64_e32 vcc, 0, v[0:1]
	v_cmp_eq_f64_e64 s[0:1], 0, v[2:3]
	s_and_b64 s[10:11], vcc, s[0:1]
	s_mov_b64 s[0:1], -1
	s_and_saveexec_b64 s[4:5], s[10:11]
; %bb.5:
	v_cmp_neq_f64_e32 vcc, 1.0, v[4:5]
	v_cmp_neq_f64_e64 s[0:1], 0, v[6:7]
	s_or_b64 s[0:1], vcc, s[0:1]
	s_orn2_b64 s[0:1], s[0:1], exec
; %bb.6:
	s_or_b64 exec, exec, s[4:5]
	s_and_saveexec_b64 s[4:5], s[0:1]
	s_cbranch_execz .LBB215_16
; %bb.7:
	s_load_dwordx2 s[0:1], s[6:7], 0x10
	v_lshrrev_b32_e32 v8, 6, v10
	v_lshl_or_b32 v8, s8, 2, v8
	v_ashrrev_i32_e32 v9, 31, v8
	s_waitcnt lgkmcnt(0)
	v_cmp_gt_i64_e32 vcc, s[0:1], v[8:9]
	s_and_b64 exec, exec, vcc
	s_cbranch_execz .LBB215_16
; %bb.8:
	s_load_dword s0, s[6:7], 0x28
	s_load_dwordx4 s[8:11], s[6:7], 0x18
	s_mov_b32 s1, 0
	v_and_b32_e32 v22, 63, v10
	s_load_dwordx2 s[4:5], s[6:7], 0x70
	s_waitcnt lgkmcnt(0)
	s_lshl_b64 s[0:1], s[0:1], 2
	s_add_u32 s0, s10, s0
	s_addc_u32 s1, s11, s1
	s_load_dword s0, s[0:1], 0x0
	v_mov_b32_e32 v11, s9
	s_waitcnt lgkmcnt(0)
	v_add_u32_e32 v8, s0, v8
	v_ashrrev_i32_e32 v9, 31, v8
	v_lshlrev_b64 v[8:9], 2, v[8:9]
	v_add_co_u32_e32 v8, vcc, s8, v8
	v_addc_co_u32_e32 v9, vcc, v11, v9, vcc
	global_load_dword v8, v[8:9], off
	s_load_dwordx2 s[0:1], s[6:7], 0x40
	s_waitcnt lgkmcnt(0)
	v_mov_b32_e32 v11, s1
	s_waitcnt vmcnt(0)
	v_ashrrev_i32_e32 v9, 31, v8
	v_lshlrev_b64 v[12:13], 3, v[8:9]
	v_add_co_u32_e32 v12, vcc, s0, v12
	v_addc_co_u32_e32 v13, vcc, v11, v13, vcc
	global_load_dwordx4 v[14:17], v[12:13], off
	v_subrev_co_u32_e32 v18, vcc, s2, v22
	v_subb_co_u32_e64 v19, s[0:1], 0, 0, vcc
	v_pk_mov_b32 v[10:11], 0, 0
	s_waitcnt vmcnt(0)
	v_subrev_co_u32_e32 v12, vcc, s2, v16
	v_subbrev_co_u32_e32 v13, vcc, 0, v17, vcc
	v_add_co_u32_e32 v14, vcc, v14, v18
	v_addc_co_u32_e32 v15, vcc, v15, v19, vcc
	v_cmp_lt_i64_e32 vcc, v[14:15], v[12:13]
	v_pk_mov_b32 v[16:17], v[10:11], v[10:11] op_sel:[0,1]
	s_and_saveexec_b64 s[8:9], vcc
	s_cbranch_execz .LBB215_12
; %bb.9:
	s_load_dword s0, s[6:7], 0x0
	s_load_dwordx4 s[12:15], s[6:7], 0x48
	s_load_dwordx2 s[10:11], s[6:7], 0x58
	v_lshlrev_b64 v[10:11], 3, v[14:15]
	s_waitcnt lgkmcnt(0)
	s_bitcmp1_b32 s0, 0
	v_mov_b32_e32 v16, s15
	v_add_co_u32_e32 v10, vcc, s14, v10
	v_addc_co_u32_e32 v11, vcc, v11, v16, vcc
	v_add_co_u32_e32 v18, vcc, 4, v10
	v_addc_co_u32_e32 v19, vcc, 0, v11, vcc
	v_lshlrev_b64 v[10:11], 2, v[14:15]
	v_mov_b32_e32 v16, s13
	v_add_co_u32_e32 v20, vcc, s12, v10
	v_addc_co_u32_e32 v21, vcc, v16, v11, vcc
	v_pk_mov_b32 v[10:11], 0, 0
	s_cselect_b64 s[6:7], -1, 0
	s_mov_b64 s[12:13], 0
	v_mov_b32_e32 v23, s11
	v_pk_mov_b32 v[16:17], v[10:11], v[10:11] op_sel:[0,1]
.LBB215_10:                             ; =>This Inner Loop Header: Depth=1
	global_load_dword v24, v[20:21], off
	global_load_dwordx2 v[28:29], v[18:19], off offset:-4
	s_waitcnt vmcnt(1)
	v_subrev_u32_e32 v24, s2, v24
	v_ashrrev_i32_e32 v25, 31, v24
	v_lshlrev_b64 v[24:25], 4, v[24:25]
	v_add_co_u32_e32 v24, vcc, s10, v24
	v_addc_co_u32_e32 v25, vcc, v23, v25, vcc
	global_load_dwordx4 v[24:27], v[24:25], off
	v_add_co_u32_e32 v14, vcc, 64, v14
	s_waitcnt vmcnt(1)
	v_cndmask_b32_e64 v30, v29, -v29, s[6:7]
	v_addc_co_u32_e32 v15, vcc, 0, v15, vcc
	v_cvt_f64_f32_e32 v[30:31], v30
	v_add_co_u32_e32 v18, vcc, 0x200, v18
	v_cvt_f64_f32_e32 v[28:29], v28
	v_mul_f64 v[32:33], -v[2:3], v[30:31]
	v_mul_f64 v[30:31], v[0:1], v[30:31]
	v_addc_co_u32_e32 v19, vcc, 0, v19, vcc
	v_fmac_f64_e32 v[32:33], v[0:1], v[28:29]
	v_fmac_f64_e32 v[30:31], v[2:3], v[28:29]
	v_add_co_u32_e32 v20, vcc, 0x100, v20
	v_cmp_ge_i64_e64 s[0:1], v[14:15], v[12:13]
	v_addc_co_u32_e32 v21, vcc, 0, v21, vcc
	s_or_b64 s[12:13], s[0:1], s[12:13]
	s_waitcnt vmcnt(0)
	v_fmac_f64_e32 v[16:17], v[32:33], v[24:25]
	v_fmac_f64_e32 v[10:11], v[30:31], v[24:25]
	v_fma_f64 v[16:17], -v[30:31], v[26:27], v[16:17]
	v_fmac_f64_e32 v[10:11], v[32:33], v[26:27]
	s_andn2_b64 exec, exec, s[12:13]
	s_cbranch_execnz .LBB215_10
; %bb.11:
	s_or_b64 exec, exec, s[12:13]
.LBB215_12:
	s_or_b64 exec, exec, s[8:9]
	v_mov_b32_dpp v0, v16 row_shr:1 row_mask:0xf bank_mask:0xf
	v_mov_b32_dpp v1, v17 row_shr:1 row_mask:0xf bank_mask:0xf
	;; [unrolled: 1-line block ×4, first 2 shown]
	v_add_f64 v[0:1], v[16:17], v[0:1]
	v_add_f64 v[10:11], v[10:11], v[12:13]
	v_cmp_eq_u32_e32 vcc, 63, v22
	v_mov_b32_dpp v2, v0 row_shr:2 row_mask:0xf bank_mask:0xf
	v_mov_b32_dpp v3, v1 row_shr:2 row_mask:0xf bank_mask:0xf
	v_mov_b32_dpp v12, v10 row_shr:2 row_mask:0xf bank_mask:0xf
	v_mov_b32_dpp v13, v11 row_shr:2 row_mask:0xf bank_mask:0xf
	v_add_f64 v[0:1], v[0:1], v[2:3]
	v_add_f64 v[10:11], v[10:11], v[12:13]
	s_nop 0
	v_mov_b32_dpp v2, v0 row_shr:4 row_mask:0xf bank_mask:0xe
	v_mov_b32_dpp v3, v1 row_shr:4 row_mask:0xf bank_mask:0xe
	v_mov_b32_dpp v12, v10 row_shr:4 row_mask:0xf bank_mask:0xe
	v_mov_b32_dpp v13, v11 row_shr:4 row_mask:0xf bank_mask:0xe
	v_add_f64 v[0:1], v[0:1], v[2:3]
	v_add_f64 v[10:11], v[10:11], v[12:13]
	s_nop 0
	;; [unrolled: 7-line block ×3, first 2 shown]
	v_mov_b32_dpp v2, v0 row_bcast:15 row_mask:0xa bank_mask:0xf
	v_mov_b32_dpp v3, v1 row_bcast:15 row_mask:0xa bank_mask:0xf
	;; [unrolled: 1-line block ×4, first 2 shown]
	v_add_f64 v[0:1], v[0:1], v[2:3]
	v_add_f64 v[10:11], v[10:11], v[12:13]
	s_nop 0
	v_mov_b32_dpp v2, v0 row_bcast:31 row_mask:0xc bank_mask:0xf
	v_mov_b32_dpp v3, v1 row_bcast:31 row_mask:0xc bank_mask:0xf
	;; [unrolled: 1-line block ×4, first 2 shown]
	s_and_b64 exec, exec, vcc
	s_cbranch_execz .LBB215_16
; %bb.13:
	v_cmp_neq_f64_e32 vcc, 0, v[4:5]
	v_cmp_neq_f64_e64 s[0:1], 0, v[6:7]
	v_add_f64 v[0:1], v[0:1], v[2:3]
	v_add_f64 v[2:3], v[10:11], v[12:13]
	s_or_b64 s[2:3], vcc, s[0:1]
	v_lshlrev_b64 v[8:9], 4, v[8:9]
	s_and_saveexec_b64 s[0:1], s[2:3]
	s_cbranch_execz .LBB215_15
; %bb.14:
	v_mov_b32_e32 v11, s5
	v_add_co_u32_e32 v10, vcc, s4, v8
	v_addc_co_u32_e32 v11, vcc, v11, v9, vcc
	global_load_dwordx4 v[10:13], v[10:11], off
	s_waitcnt vmcnt(0)
	v_fmac_f64_e32 v[0:1], v[4:5], v[10:11]
	v_fmac_f64_e32 v[2:3], v[6:7], v[10:11]
	v_fma_f64 v[0:1], -v[6:7], v[12:13], v[0:1]
	v_fmac_f64_e32 v[2:3], v[4:5], v[12:13]
.LBB215_15:
	s_or_b64 exec, exec, s[0:1]
	v_mov_b32_e32 v5, s5
	v_add_co_u32_e32 v4, vcc, s4, v8
	v_addc_co_u32_e32 v5, vcc, v5, v9, vcc
	global_store_dwordx4 v[4:5], v[0:3], off
.LBB215_16:
	s_endpgm
	.section	.rodata,"a",@progbits
	.p2align	6, 0x0
	.amdhsa_kernel _ZN9rocsparseL41csrmvn_lrb_medium_rows_warp_reduce_kernelILj256ELj64Eli21rocsparse_complex_numIfES1_IdES3_S3_EEvbT1_lPT2_S6_jNS_24const_host_device_scalarIT6_EEPKS4_PKS5_PKT3_PKT4_S9_PT5_21rocsparse_index_base_b
		.amdhsa_group_segment_fixed_size 4096
		.amdhsa_private_segment_fixed_size 0
		.amdhsa_kernarg_size 128
		.amdhsa_user_sgpr_count 8
		.amdhsa_user_sgpr_private_segment_buffer 1
		.amdhsa_user_sgpr_dispatch_ptr 1
		.amdhsa_user_sgpr_queue_ptr 0
		.amdhsa_user_sgpr_kernarg_segment_ptr 1
		.amdhsa_user_sgpr_dispatch_id 0
		.amdhsa_user_sgpr_flat_scratch_init 0
		.amdhsa_user_sgpr_kernarg_preload_length 0
		.amdhsa_user_sgpr_kernarg_preload_offset 0
		.amdhsa_user_sgpr_private_segment_size 0
		.amdhsa_uses_dynamic_stack 0
		.amdhsa_system_sgpr_private_segment_wavefront_offset 0
		.amdhsa_system_sgpr_workgroup_id_x 1
		.amdhsa_system_sgpr_workgroup_id_y 0
		.amdhsa_system_sgpr_workgroup_id_z 0
		.amdhsa_system_sgpr_workgroup_info 0
		.amdhsa_system_vgpr_workitem_id 2
		.amdhsa_next_free_vgpr 34
		.amdhsa_next_free_sgpr 22
		.amdhsa_accum_offset 36
		.amdhsa_reserve_vcc 1
		.amdhsa_reserve_flat_scratch 0
		.amdhsa_float_round_mode_32 0
		.amdhsa_float_round_mode_16_64 0
		.amdhsa_float_denorm_mode_32 3
		.amdhsa_float_denorm_mode_16_64 3
		.amdhsa_dx10_clamp 1
		.amdhsa_ieee_mode 1
		.amdhsa_fp16_overflow 0
		.amdhsa_tg_split 0
		.amdhsa_exception_fp_ieee_invalid_op 0
		.amdhsa_exception_fp_denorm_src 0
		.amdhsa_exception_fp_ieee_div_zero 0
		.amdhsa_exception_fp_ieee_overflow 0
		.amdhsa_exception_fp_ieee_underflow 0
		.amdhsa_exception_fp_ieee_inexact 0
		.amdhsa_exception_int_div_zero 0
	.end_amdhsa_kernel
	.section	.text._ZN9rocsparseL41csrmvn_lrb_medium_rows_warp_reduce_kernelILj256ELj64Eli21rocsparse_complex_numIfES1_IdES3_S3_EEvbT1_lPT2_S6_jNS_24const_host_device_scalarIT6_EEPKS4_PKS5_PKT3_PKT4_S9_PT5_21rocsparse_index_base_b,"axG",@progbits,_ZN9rocsparseL41csrmvn_lrb_medium_rows_warp_reduce_kernelILj256ELj64Eli21rocsparse_complex_numIfES1_IdES3_S3_EEvbT1_lPT2_S6_jNS_24const_host_device_scalarIT6_EEPKS4_PKS5_PKT3_PKT4_S9_PT5_21rocsparse_index_base_b,comdat
.Lfunc_end215:
	.size	_ZN9rocsparseL41csrmvn_lrb_medium_rows_warp_reduce_kernelILj256ELj64Eli21rocsparse_complex_numIfES1_IdES3_S3_EEvbT1_lPT2_S6_jNS_24const_host_device_scalarIT6_EEPKS4_PKS5_PKT3_PKT4_S9_PT5_21rocsparse_index_base_b, .Lfunc_end215-_ZN9rocsparseL41csrmvn_lrb_medium_rows_warp_reduce_kernelILj256ELj64Eli21rocsparse_complex_numIfES1_IdES3_S3_EEvbT1_lPT2_S6_jNS_24const_host_device_scalarIT6_EEPKS4_PKS5_PKT3_PKT4_S9_PT5_21rocsparse_index_base_b
                                        ; -- End function
	.section	.AMDGPU.csdata,"",@progbits
; Kernel info:
; codeLenInByte = 1276
; NumSgprs: 26
; NumVgprs: 34
; NumAgprs: 0
; TotalNumVgprs: 34
; ScratchSize: 0
; MemoryBound: 0
; FloatMode: 240
; IeeeMode: 1
; LDSByteSize: 4096 bytes/workgroup (compile time only)
; SGPRBlocks: 3
; VGPRBlocks: 4
; NumSGPRsForWavesPerEU: 26
; NumVGPRsForWavesPerEU: 34
; AccumOffset: 36
; Occupancy: 8
; WaveLimiterHint : 1
; COMPUTE_PGM_RSRC2:SCRATCH_EN: 0
; COMPUTE_PGM_RSRC2:USER_SGPR: 8
; COMPUTE_PGM_RSRC2:TRAP_HANDLER: 0
; COMPUTE_PGM_RSRC2:TGID_X_EN: 1
; COMPUTE_PGM_RSRC2:TGID_Y_EN: 0
; COMPUTE_PGM_RSRC2:TGID_Z_EN: 0
; COMPUTE_PGM_RSRC2:TIDIG_COMP_CNT: 2
; COMPUTE_PGM_RSRC3_GFX90A:ACCUM_OFFSET: 8
; COMPUTE_PGM_RSRC3_GFX90A:TG_SPLIT: 0
	.section	.text._ZN9rocsparseL29csrmvn_lrb_medium_rows_kernelILj256Eli21rocsparse_complex_numIfES1_IdES3_S3_EEvbT0_PT1_S6_jNS_24const_host_device_scalarIT5_EEPKS4_PKS5_PKT2_PKT3_S9_PT4_21rocsparse_index_base_b,"axG",@progbits,_ZN9rocsparseL29csrmvn_lrb_medium_rows_kernelILj256Eli21rocsparse_complex_numIfES1_IdES3_S3_EEvbT0_PT1_S6_jNS_24const_host_device_scalarIT5_EEPKS4_PKS5_PKT2_PKT3_S9_PT4_21rocsparse_index_base_b,comdat
	.globl	_ZN9rocsparseL29csrmvn_lrb_medium_rows_kernelILj256Eli21rocsparse_complex_numIfES1_IdES3_S3_EEvbT0_PT1_S6_jNS_24const_host_device_scalarIT5_EEPKS4_PKS5_PKT2_PKT3_S9_PT4_21rocsparse_index_base_b ; -- Begin function _ZN9rocsparseL29csrmvn_lrb_medium_rows_kernelILj256Eli21rocsparse_complex_numIfES1_IdES3_S3_EEvbT0_PT1_S6_jNS_24const_host_device_scalarIT5_EEPKS4_PKS5_PKT2_PKT3_S9_PT4_21rocsparse_index_base_b
	.p2align	8
	.type	_ZN9rocsparseL29csrmvn_lrb_medium_rows_kernelILj256Eli21rocsparse_complex_numIfES1_IdES3_S3_EEvbT0_PT1_S6_jNS_24const_host_device_scalarIT5_EEPKS4_PKS5_PKT2_PKT3_S9_PT4_21rocsparse_index_base_b,@function
_ZN9rocsparseL29csrmvn_lrb_medium_rows_kernelILj256Eli21rocsparse_complex_numIfES1_IdES3_S3_EEvbT0_PT1_S6_jNS_24const_host_device_scalarIT5_EEPKS4_PKS5_PKT2_PKT3_S9_PT4_21rocsparse_index_base_b: ; @_ZN9rocsparseL29csrmvn_lrb_medium_rows_kernelILj256Eli21rocsparse_complex_numIfES1_IdES3_S3_EEvbT0_PT1_S6_jNS_24const_host_device_scalarIT5_EEPKS4_PKS5_PKT2_PKT3_S9_PT4_21rocsparse_index_base_b
; %bb.0:
	s_load_dwordx2 s[10:11], s[6:7], 0x70
	s_load_dwordx4 s[12:15], s[6:7], 0x28
	s_load_dwordx2 s[20:21], s[4:5], 0x4
	s_load_dwordx4 s[16:19], s[6:7], 0x58
	s_mov_b64 s[2:3], src_shared_base
	v_and_b32_e32 v18, 0x3ff, v0
	s_waitcnt lgkmcnt(0)
	s_bitcmp1_b32 s11, 0
	s_cselect_b64 s[0:1], -1, 0
	s_and_b64 vcc, s[0:1], exec
	s_cselect_b32 s2, s3, s13
	s_lshr_b32 s4, s20, 16
	s_mul_i32 s4, s4, s21
	v_mul_lo_u32 v1, s4, v18
	v_bfe_u32 v2, v0, 10, 10
	v_mad_u32_u24 v1, v2, s21, v1
	v_bfe_u32 v0, v0, 20, 10
	v_add_lshl_u32 v5, v1, v0, 3
	v_mov_b32_e32 v4, s12
	v_add_u32_e32 v6, 0x1800, v5
	v_pk_mov_b32 v[0:1], s[12:13], s[12:13] op_sel:[0,1]
	v_pk_mov_b32 v[2:3], s[16:17], s[16:17] op_sel:[0,1]
	ds_write2st64_b64 v5, v[2:3], v[0:1] offset0:8 offset1:12
	v_cndmask_b32_e64 v0, v4, v6, s[0:1]
	v_mov_b32_e32 v1, s2
	flat_load_dwordx2 v[8:9], v[0:1]
	s_xor_b64 s[4:5], s[0:1], -1
	v_add_u32_e32 v0, 0x1000, v5
	v_pk_mov_b32 v[10:11], s[14:15], s[14:15] op_sel:[0,1]
	s_cbranch_vccnz .LBB216_2
; %bb.1:
	v_pk_mov_b32 v[2:3], s[12:13], s[12:13] op_sel:[0,1]
	flat_load_dwordx2 v[10:11], v[2:3] offset:8
.LBB216_2:
	s_and_b64 s[12:13], s[0:1], exec
	s_cselect_b32 s2, s3, s17
	v_mov_b32_e32 v1, s16
	v_cndmask_b32_e64 v0, v1, v0, s[0:1]
	v_mov_b32_e32 v1, s2
	flat_load_dwordx2 v[4:5], v[0:1]
	s_andn2_b64 vcc, exec, s[4:5]
	v_pk_mov_b32 v[6:7], s[18:19], s[18:19] op_sel:[0,1]
	s_cbranch_vccnz .LBB216_4
; %bb.3:
	v_pk_mov_b32 v[0:1], s[16:17], s[16:17] op_sel:[0,1]
	flat_load_dwordx2 v[6:7], v[0:1] offset:8
.LBB216_4:
	s_waitcnt vmcnt(0) lgkmcnt(0)
	v_cmp_eq_f64_e32 vcc, 0, v[8:9]
	v_cmp_eq_f64_e64 s[0:1], 0, v[10:11]
	s_and_b64 s[4:5], vcc, s[0:1]
	s_mov_b64 s[0:1], -1
	s_and_saveexec_b64 s[2:3], s[4:5]
; %bb.5:
	v_cmp_neq_f64_e32 vcc, 1.0, v[4:5]
	v_cmp_neq_f64_e64 s[0:1], 0, v[6:7]
	s_or_b64 s[0:1], vcc, s[0:1]
	s_orn2_b64 s[0:1], s[0:1], exec
; %bb.6:
	s_or_b64 exec, exec, s[2:3]
	s_and_saveexec_b64 s[2:3], s[0:1]
	s_cbranch_execz .LBB216_31
; %bb.7:
	s_load_dword s4, s[6:7], 0x20
	s_load_dwordx4 s[0:3], s[6:7], 0x10
	s_mov_b32 s5, 0
	v_subrev_co_u32_e32 v0, vcc, s10, v18
	s_waitcnt lgkmcnt(0)
	s_lshl_b64 s[4:5], s[4:5], 2
	s_add_u32 s2, s2, s4
	s_addc_u32 s3, s3, s5
	s_load_dword s2, s[2:3], 0x0
	v_pk_mov_b32 v[2:3], 0, 0
	s_waitcnt lgkmcnt(0)
	s_add_i32 s2, s2, s8
	s_ashr_i32 s3, s2, 31
	s_lshl_b64 s[2:3], s[2:3], 2
	s_add_u32 s0, s0, s2
	s_addc_u32 s1, s1, s3
	s_load_dword s4, s[0:1], 0x0
	s_load_dwordx2 s[8:9], s[6:7], 0x38
	s_load_dwordx2 s[2:3], s[6:7], 0x68
	s_waitcnt lgkmcnt(0)
	s_ashr_i32 s5, s4, 31
	s_lshl_b64 s[0:1], s[4:5], 3
	s_add_u32 s0, s8, s0
	s_addc_u32 s1, s9, s1
	s_load_dwordx4 s[12:15], s[0:1], 0x0
	v_subb_co_u32_e64 v1, s[0:1], 0, 0, vcc
	s_waitcnt lgkmcnt(0)
	s_sub_u32 s8, s14, s10
	v_mov_b32_e32 v13, s13
	v_add_co_u32_e32 v12, vcc, s12, v0
	s_subb_u32 s9, s15, 0
	v_addc_co_u32_e32 v13, vcc, v13, v1, vcc
	v_cmp_gt_i64_e32 vcc, s[8:9], v[12:13]
	v_pk_mov_b32 v[0:1], v[2:3], v[2:3] op_sel:[0,1]
	s_and_saveexec_b64 s[12:13], vcc
	s_cbranch_execz .LBB216_11
; %bb.8:
	s_load_dword s0, s[6:7], 0x0
	s_load_dwordx4 s[16:19], s[6:7], 0x40
	s_load_dwordx2 s[14:15], s[6:7], 0x50
	v_lshlrev_b64 v[0:1], 3, v[12:13]
	s_movk_i32 s11, 0x100
	s_waitcnt lgkmcnt(0)
	s_bitcmp1_b32 s0, 0
	v_mov_b32_e32 v2, s19
	v_add_co_u32_e32 v0, vcc, s18, v0
	v_addc_co_u32_e32 v1, vcc, v1, v2, vcc
	v_add_co_u32_e32 v14, vcc, 4, v0
	v_addc_co_u32_e32 v15, vcc, 0, v1, vcc
	v_lshlrev_b64 v[0:1], 2, v[12:13]
	v_mov_b32_e32 v2, s17
	v_add_co_u32_e32 v16, vcc, s16, v0
	v_addc_co_u32_e32 v17, vcc, v2, v1, vcc
	v_pk_mov_b32 v[2:3], 0, 0
	s_cselect_b64 s[6:7], -1, 0
	s_mov_b64 s[16:17], 0
	v_mov_b32_e32 v19, s15
	v_pk_mov_b32 v[0:1], v[2:3], v[2:3] op_sel:[0,1]
.LBB216_9:                              ; =>This Inner Loop Header: Depth=1
	global_load_dword v20, v[16:17], off
	global_load_dwordx2 v[24:25], v[14:15], off offset:-4
	s_waitcnt vmcnt(1)
	v_subrev_u32_e32 v20, s10, v20
	v_ashrrev_i32_e32 v21, 31, v20
	v_lshlrev_b64 v[20:21], 4, v[20:21]
	v_add_co_u32_e32 v20, vcc, s14, v20
	v_addc_co_u32_e32 v21, vcc, v19, v21, vcc
	global_load_dwordx4 v[20:23], v[20:21], off
	v_add_co_u32_e32 v12, vcc, s11, v12
	s_waitcnt vmcnt(1)
	v_cndmask_b32_e64 v26, v25, -v25, s[6:7]
	v_addc_co_u32_e32 v13, vcc, 0, v13, vcc
	v_cvt_f64_f32_e32 v[26:27], v26
	v_add_co_u32_e32 v14, vcc, 0x800, v14
	v_cvt_f64_f32_e32 v[24:25], v24
	v_mul_f64 v[28:29], -v[10:11], v[26:27]
	v_mul_f64 v[26:27], v[8:9], v[26:27]
	v_addc_co_u32_e32 v15, vcc, 0, v15, vcc
	v_fmac_f64_e32 v[28:29], v[8:9], v[24:25]
	v_fmac_f64_e32 v[26:27], v[10:11], v[24:25]
	v_add_co_u32_e32 v16, vcc, 0x400, v16
	v_cmp_le_i64_e64 s[0:1], s[8:9], v[12:13]
	v_addc_co_u32_e32 v17, vcc, 0, v17, vcc
	s_or_b64 s[16:17], s[0:1], s[16:17]
	s_waitcnt vmcnt(0)
	v_fmac_f64_e32 v[0:1], v[28:29], v[20:21]
	v_fmac_f64_e32 v[2:3], v[26:27], v[20:21]
	v_fma_f64 v[0:1], -v[26:27], v[22:23], v[0:1]
	v_fmac_f64_e32 v[2:3], v[28:29], v[22:23]
	s_andn2_b64 exec, exec, s[16:17]
	s_cbranch_execnz .LBB216_9
; %bb.10:
	s_or_b64 exec, exec, s[16:17]
.LBB216_11:
	s_or_b64 exec, exec, s[12:13]
	s_movk_i32 s0, 0x80
	v_lshlrev_b32_e32 v8, 4, v18
	v_cmp_gt_u32_e32 vcc, s0, v18
	ds_write_b128 v8, v[0:3]
	s_waitcnt lgkmcnt(0)
	s_barrier
	s_and_saveexec_b64 s[0:1], vcc
	s_cbranch_execz .LBB216_13
; %bb.12:
	ds_read_b128 v[0:3], v8 offset:2048
	ds_read_b128 v[10:13], v8
	s_waitcnt lgkmcnt(0)
	v_add_f64 v[0:1], v[0:1], v[10:11]
	v_add_f64 v[2:3], v[2:3], v[12:13]
	ds_write_b128 v8, v[0:3]
.LBB216_13:
	s_or_b64 exec, exec, s[0:1]
	v_cmp_gt_u32_e32 vcc, 64, v18
	s_waitcnt lgkmcnt(0)
	s_barrier
	s_and_saveexec_b64 s[0:1], vcc
	s_cbranch_execz .LBB216_15
; %bb.14:
	ds_read_b128 v[0:3], v8 offset:1024
	ds_read_b128 v[10:13], v8
	s_waitcnt lgkmcnt(0)
	v_add_f64 v[0:1], v[0:1], v[10:11]
	v_add_f64 v[2:3], v[2:3], v[12:13]
	ds_write_b128 v8, v[0:3]
.LBB216_15:
	s_or_b64 exec, exec, s[0:1]
	v_cmp_gt_u32_e32 vcc, 32, v18
	;; [unrolled: 14-line block ×6, first 2 shown]
	s_waitcnt lgkmcnt(0)
	s_barrier
	s_and_saveexec_b64 s[0:1], vcc
	s_cbranch_execz .LBB216_25
; %bb.24:
	ds_read_b128 v[0:3], v8
	ds_read_b128 v[10:13], v8 offset:32
	s_waitcnt lgkmcnt(0)
	v_add_f64 v[0:1], v[10:11], v[0:1]
	v_add_f64 v[2:3], v[12:13], v[2:3]
	ds_write_b128 v8, v[0:3]
.LBB216_25:
	s_or_b64 exec, exec, s[0:1]
	v_cmp_eq_u32_e32 vcc, 0, v18
	s_waitcnt lgkmcnt(0)
	s_barrier
	s_and_saveexec_b64 s[0:1], vcc
	s_cbranch_execz .LBB216_27
; %bb.26:
	v_mov_b32_e32 v12, 0
	ds_read_b128 v[0:3], v12
	ds_read_b128 v[8:11], v12 offset:16
	s_waitcnt lgkmcnt(0)
	v_add_f64 v[0:1], v[8:9], v[0:1]
	v_add_f64 v[2:3], v[10:11], v[2:3]
	ds_write_b128 v12, v[0:3]
.LBB216_27:
	s_or_b64 exec, exec, s[0:1]
	s_waitcnt lgkmcnt(0)
	s_barrier
	s_and_b64 exec, exec, vcc
	s_cbranch_execz .LBB216_31
; %bb.28:
	v_mov_b32_e32 v8, 0
	ds_read_b128 v[0:3], v8
	v_cmp_neq_f64_e32 vcc, 0, v[4:5]
	v_cmp_neq_f64_e64 s[0:1], 0, v[6:7]
	s_or_b64 s[6:7], vcc, s[0:1]
	s_and_saveexec_b64 s[0:1], s[6:7]
	s_cbranch_execz .LBB216_30
; %bb.29:
	s_lshl_b64 s[6:7], s[4:5], 4
	s_add_u32 s6, s2, s6
	s_addc_u32 s7, s3, s7
	s_load_dwordx4 s[8:11], s[6:7], 0x0
	s_waitcnt lgkmcnt(0)
	v_fmac_f64_e32 v[0:1], s[8:9], v[4:5]
	v_fmac_f64_e32 v[2:3], s[8:9], v[6:7]
	v_fma_f64 v[0:1], -v[6:7], s[10:11], v[0:1]
	v_fmac_f64_e32 v[2:3], s[10:11], v[4:5]
.LBB216_30:
	s_or_b64 exec, exec, s[0:1]
	s_lshl_b64 s[0:1], s[4:5], 4
	s_add_u32 s0, s2, s0
	s_addc_u32 s1, s3, s1
	s_waitcnt lgkmcnt(0)
	global_store_dwordx4 v8, v[0:3], s[0:1]
.LBB216_31:
	s_endpgm
	.section	.rodata,"a",@progbits
	.p2align	6, 0x0
	.amdhsa_kernel _ZN9rocsparseL29csrmvn_lrb_medium_rows_kernelILj256Eli21rocsparse_complex_numIfES1_IdES3_S3_EEvbT0_PT1_S6_jNS_24const_host_device_scalarIT5_EEPKS4_PKS5_PKT2_PKT3_S9_PT4_21rocsparse_index_base_b
		.amdhsa_group_segment_fixed_size 8192
		.amdhsa_private_segment_fixed_size 0
		.amdhsa_kernarg_size 120
		.amdhsa_user_sgpr_count 8
		.amdhsa_user_sgpr_private_segment_buffer 1
		.amdhsa_user_sgpr_dispatch_ptr 1
		.amdhsa_user_sgpr_queue_ptr 0
		.amdhsa_user_sgpr_kernarg_segment_ptr 1
		.amdhsa_user_sgpr_dispatch_id 0
		.amdhsa_user_sgpr_flat_scratch_init 0
		.amdhsa_user_sgpr_kernarg_preload_length 0
		.amdhsa_user_sgpr_kernarg_preload_offset 0
		.amdhsa_user_sgpr_private_segment_size 0
		.amdhsa_uses_dynamic_stack 0
		.amdhsa_system_sgpr_private_segment_wavefront_offset 0
		.amdhsa_system_sgpr_workgroup_id_x 1
		.amdhsa_system_sgpr_workgroup_id_y 0
		.amdhsa_system_sgpr_workgroup_id_z 0
		.amdhsa_system_sgpr_workgroup_info 0
		.amdhsa_system_vgpr_workitem_id 2
		.amdhsa_next_free_vgpr 30
		.amdhsa_next_free_sgpr 22
		.amdhsa_accum_offset 32
		.amdhsa_reserve_vcc 1
		.amdhsa_reserve_flat_scratch 0
		.amdhsa_float_round_mode_32 0
		.amdhsa_float_round_mode_16_64 0
		.amdhsa_float_denorm_mode_32 3
		.amdhsa_float_denorm_mode_16_64 3
		.amdhsa_dx10_clamp 1
		.amdhsa_ieee_mode 1
		.amdhsa_fp16_overflow 0
		.amdhsa_tg_split 0
		.amdhsa_exception_fp_ieee_invalid_op 0
		.amdhsa_exception_fp_denorm_src 0
		.amdhsa_exception_fp_ieee_div_zero 0
		.amdhsa_exception_fp_ieee_overflow 0
		.amdhsa_exception_fp_ieee_underflow 0
		.amdhsa_exception_fp_ieee_inexact 0
		.amdhsa_exception_int_div_zero 0
	.end_amdhsa_kernel
	.section	.text._ZN9rocsparseL29csrmvn_lrb_medium_rows_kernelILj256Eli21rocsparse_complex_numIfES1_IdES3_S3_EEvbT0_PT1_S6_jNS_24const_host_device_scalarIT5_EEPKS4_PKS5_PKT2_PKT3_S9_PT4_21rocsparse_index_base_b,"axG",@progbits,_ZN9rocsparseL29csrmvn_lrb_medium_rows_kernelILj256Eli21rocsparse_complex_numIfES1_IdES3_S3_EEvbT0_PT1_S6_jNS_24const_host_device_scalarIT5_EEPKS4_PKS5_PKT2_PKT3_S9_PT4_21rocsparse_index_base_b,comdat
.Lfunc_end216:
	.size	_ZN9rocsparseL29csrmvn_lrb_medium_rows_kernelILj256Eli21rocsparse_complex_numIfES1_IdES3_S3_EEvbT0_PT1_S6_jNS_24const_host_device_scalarIT5_EEPKS4_PKS5_PKT2_PKT3_S9_PT4_21rocsparse_index_base_b, .Lfunc_end216-_ZN9rocsparseL29csrmvn_lrb_medium_rows_kernelILj256Eli21rocsparse_complex_numIfES1_IdES3_S3_EEvbT0_PT1_S6_jNS_24const_host_device_scalarIT5_EEPKS4_PKS5_PKT2_PKT3_S9_PT4_21rocsparse_index_base_b
                                        ; -- End function
	.section	.AMDGPU.csdata,"",@progbits
; Kernel info:
; codeLenInByte = 1500
; NumSgprs: 26
; NumVgprs: 30
; NumAgprs: 0
; TotalNumVgprs: 30
; ScratchSize: 0
; MemoryBound: 0
; FloatMode: 240
; IeeeMode: 1
; LDSByteSize: 8192 bytes/workgroup (compile time only)
; SGPRBlocks: 3
; VGPRBlocks: 3
; NumSGPRsForWavesPerEU: 26
; NumVGPRsForWavesPerEU: 30
; AccumOffset: 32
; Occupancy: 8
; WaveLimiterHint : 1
; COMPUTE_PGM_RSRC2:SCRATCH_EN: 0
; COMPUTE_PGM_RSRC2:USER_SGPR: 8
; COMPUTE_PGM_RSRC2:TRAP_HANDLER: 0
; COMPUTE_PGM_RSRC2:TGID_X_EN: 1
; COMPUTE_PGM_RSRC2:TGID_Y_EN: 0
; COMPUTE_PGM_RSRC2:TGID_Z_EN: 0
; COMPUTE_PGM_RSRC2:TIDIG_COMP_CNT: 2
; COMPUTE_PGM_RSRC3_GFX90A:ACCUM_OFFSET: 7
; COMPUTE_PGM_RSRC3_GFX90A:TG_SPLIT: 0
	.section	.text._ZN9rocsparseL27csrmvn_lrb_long_rows_kernelIli21rocsparse_complex_numIfES1_IdES3_S3_EEvbT_PjPT0_S7_jNS_24const_host_device_scalarIT4_EEPKS4_PKS6_PKT1_PKT2_SA_PT3_21rocsparse_index_base_b,"axG",@progbits,_ZN9rocsparseL27csrmvn_lrb_long_rows_kernelIli21rocsparse_complex_numIfES1_IdES3_S3_EEvbT_PjPT0_S7_jNS_24const_host_device_scalarIT4_EEPKS4_PKS6_PKT1_PKT2_SA_PT3_21rocsparse_index_base_b,comdat
	.globl	_ZN9rocsparseL27csrmvn_lrb_long_rows_kernelIli21rocsparse_complex_numIfES1_IdES3_S3_EEvbT_PjPT0_S7_jNS_24const_host_device_scalarIT4_EEPKS4_PKS6_PKT1_PKT2_SA_PT3_21rocsparse_index_base_b ; -- Begin function _ZN9rocsparseL27csrmvn_lrb_long_rows_kernelIli21rocsparse_complex_numIfES1_IdES3_S3_EEvbT_PjPT0_S7_jNS_24const_host_device_scalarIT4_EEPKS4_PKS6_PKT1_PKT2_SA_PT3_21rocsparse_index_base_b
	.p2align	8
	.type	_ZN9rocsparseL27csrmvn_lrb_long_rows_kernelIli21rocsparse_complex_numIfES1_IdES3_S3_EEvbT_PjPT0_S7_jNS_24const_host_device_scalarIT4_EEPKS4_PKS6_PKT1_PKT2_SA_PT3_21rocsparse_index_base_b,@function
_ZN9rocsparseL27csrmvn_lrb_long_rows_kernelIli21rocsparse_complex_numIfES1_IdES3_S3_EEvbT_PjPT0_S7_jNS_24const_host_device_scalarIT4_EEPKS4_PKS6_PKT1_PKT2_SA_PT3_21rocsparse_index_base_b: ; @_ZN9rocsparseL27csrmvn_lrb_long_rows_kernelIli21rocsparse_complex_numIfES1_IdES3_S3_EEvbT_PjPT0_S7_jNS_24const_host_device_scalarIT4_EEPKS4_PKS6_PKT1_PKT2_SA_PT3_21rocsparse_index_base_b
; %bb.0:
	s_load_dwordx2 s[20:21], s[6:7], 0x78
	s_load_dwordx4 s[12:15], s[6:7], 0x30
	s_load_dwordx2 s[10:11], s[4:5], 0x4
	s_load_dwordx4 s[16:19], s[6:7], 0x60
	s_mov_b64 s[2:3], src_shared_base
	v_and_b32_e32 v14, 0x3ff, v0
	s_waitcnt lgkmcnt(0)
	s_bitcmp1_b32 s21, 0
	s_cselect_b64 s[0:1], -1, 0
	s_and_b64 vcc, s[0:1], exec
	s_cselect_b32 s2, s3, s13
	s_lshr_b32 s4, s10, 16
	s_mul_i32 s4, s4, s11
	v_mul_lo_u32 v1, s4, v14
	v_bfe_u32 v2, v0, 10, 10
	v_mad_u32_u24 v1, v2, s11, v1
	v_bfe_u32 v0, v0, 20, 10
	v_add_lshl_u32 v6, v1, v0, 3
	v_mov_b32_e32 v4, s12
	v_add_u32_e32 v5, 0x1800, v6
	v_pk_mov_b32 v[0:1], s[12:13], s[12:13] op_sel:[0,1]
	v_pk_mov_b32 v[2:3], s[16:17], s[16:17] op_sel:[0,1]
	ds_write2st64_b64 v6, v[2:3], v[0:1] offset0:8 offset1:12
	v_cndmask_b32_e64 v0, v4, v5, s[0:1]
	v_mov_b32_e32 v1, s2
	flat_load_dwordx2 v[4:5], v[0:1]
	s_xor_b64 s[4:5], s[0:1], -1
	v_add_u32_e32 v0, 0x1000, v6
	v_pk_mov_b32 v[6:7], s[14:15], s[14:15] op_sel:[0,1]
	s_cbranch_vccnz .LBB217_2
; %bb.1:
	v_pk_mov_b32 v[2:3], s[12:13], s[12:13] op_sel:[0,1]
	flat_load_dwordx2 v[6:7], v[2:3] offset:8
.LBB217_2:
	s_and_b64 s[10:11], s[0:1], exec
	s_cselect_b32 s2, s3, s17
	v_mov_b32_e32 v1, s16
	v_cndmask_b32_e64 v0, v1, v0, s[0:1]
	v_mov_b32_e32 v1, s2
	flat_load_dwordx2 v[10:11], v[0:1]
	s_andn2_b64 vcc, exec, s[4:5]
	v_pk_mov_b32 v[8:9], s[18:19], s[18:19] op_sel:[0,1]
	s_cbranch_vccnz .LBB217_4
; %bb.3:
	v_pk_mov_b32 v[0:1], s[16:17], s[16:17] op_sel:[0,1]
	flat_load_dwordx2 v[8:9], v[0:1] offset:8
.LBB217_4:
	s_waitcnt vmcnt(0) lgkmcnt(0)
	v_cmp_eq_f64_e32 vcc, 0, v[4:5]
	v_cmp_eq_f64_e64 s[0:1], 0, v[6:7]
	s_and_b64 s[4:5], vcc, s[0:1]
	s_mov_b64 s[0:1], -1
	s_and_saveexec_b64 s[2:3], s[4:5]
; %bb.5:
	v_cmp_neq_f64_e32 vcc, 1.0, v[10:11]
	v_cmp_neq_f64_e64 s[0:1], 0, v[8:9]
	s_or_b64 s[0:1], vcc, s[0:1]
	s_orn2_b64 s[0:1], s[0:1], exec
; %bb.6:
	s_or_b64 exec, exec, s[2:3]
	s_and_saveexec_b64 s[2:3], s[0:1]
	s_cbranch_execz .LBB217_44
; %bb.7:
	s_load_dword s22, s[6:7], 0x28
	s_load_dwordx2 s[0:1], s[6:7], 0x20
	s_mov_b32 s23, 0
	s_waitcnt lgkmcnt(0)
	s_lshl_b64 s[2:3], s[22:23], 2
	s_add_u32 s0, s0, s2
	s_addc_u32 s1, s1, s3
	s_lshl_b32 s2, -1, s22
	s_not_b32 s2, s2
	s_mul_hi_u32 s2, s2, 0x2aaaaaab
	s_lshr_b32 s2, s2, 7
	s_add_i32 s3, s2, 1
	v_cvt_f32_u32_e32 v0, s3
	s_load_dwordx4 s[12:15], s[6:7], 0x10
	s_load_dword s4, s[0:1], 0x0
	s_not_b32 s0, s2
	v_rcp_iflag_f32_e32 v0, v0
	v_mul_f32_e32 v0, 0x4f7ffffe, v0
	v_cvt_u32_f32_e32 v0, v0
	v_readfirstlane_b32 s1, v0
	s_mul_i32 s0, s0, s1
	s_mul_hi_u32 s0, s1, s0
	s_add_i32 s1, s1, s0
	s_mul_hi_u32 s0, s8, s1
	s_mul_i32 s1, s0, s3
	s_sub_i32 s1, s8, s1
	s_add_i32 s2, s0, 1
	s_sub_i32 s5, s1, s3
	s_cmp_ge_u32 s1, s3
	s_cselect_b32 s0, s2, s0
	s_cselect_b32 s1, s5, s1
	s_add_i32 s2, s0, 1
	s_cmp_ge_u32 s1, s3
	s_cselect_b32 s0, s2, s0
	s_mul_i32 s18, s0, s3
	s_waitcnt lgkmcnt(0)
	s_add_i32 s0, s0, s4
	s_ashr_i32 s1, s0, 31
	s_sub_i32 s28, s8, s18
	s_lshl_b64 s[0:1], s[0:1], 2
	s_add_u32 s0, s14, s0
	s_addc_u32 s1, s15, s1
	s_load_dword s14, s[0:1], 0x0
	s_load_dwordx2 s[2:3], s[6:7], 0x40
	s_load_dwordx2 s[4:5], s[6:7], 0x70
	v_or_b32_e32 v0, s28, v14
	v_cmp_eq_u32_e32 vcc, 0, v0
	s_waitcnt lgkmcnt(0)
	s_ashr_i32 s15, s14, 31
	s_lshl_b64 s[0:1], s[14:15], 3
	s_add_u32 s0, s2, s0
	s_addc_u32 s1, s3, s1
	s_ashr_i32 s9, s8, 31
	s_lshl_b64 s[8:9], s[8:9], 2
	s_add_u32 s16, s12, s8
	s_addc_u32 s17, s13, s9
	s_load_dwordx4 s[0:3], s[0:1], 0x0
	v_pk_mov_b32 v[0:1], 0, 0
	s_load_dword s21, s[16:17], 0x0
	v_pk_mov_b32 v[2:3], v[0:1], v[0:1] op_sel:[0,1]
	s_and_saveexec_b64 s[24:25], vcc
	s_cbranch_execz .LBB217_11
; %bb.8:
	s_lshl_b64 s[8:9], s[14:15], 4
	s_add_u32 s8, s4, s8
	s_addc_u32 s9, s5, s9
	s_load_dwordx4 s[8:11], s[8:9], 0x0
	s_mov_b64 s[26:27], exec
	v_mbcnt_lo_u32_b32 v12, s26, 0
	v_add_f64 v[10:11], v[10:11], -1.0
	v_mbcnt_hi_u32_b32 v12, s27, v12
	s_waitcnt lgkmcnt(0)
	v_mul_f64 v[0:1], s[10:11], -v[8:9]
	v_mul_f64 v[2:3], v[10:11], s[10:11]
	v_cmp_eq_u32_e32 vcc, 0, v12
	s_waitcnt vmcnt(0) expcnt(0) lgkmcnt(0)
	s_and_saveexec_b64 s[10:11], vcc
	s_cbranch_execz .LBB217_10
; %bb.9:
	s_ashr_i32 s19, s18, 31
	s_lshl_b64 s[30:31], s[18:19], 2
	s_add_u32 s30, s12, s30
	s_addc_u32 s31, s13, s31
	s_bcnt1_i32_b64 s19, s[26:27]
	s_and_b32 s19, s19, 1
	v_mov_b32_e32 v12, 0
	v_mov_b32_e32 v13, s19
	global_atomic_xor v12, v13, s[30:31]
.LBB217_10:
	s_or_b64 exec, exec, s[10:11]
	v_fmac_f64_e32 v[0:1], s[8:9], v[10:11]
	v_fmac_f64_e32 v[2:3], s[8:9], v[8:9]
.LBB217_11:
	s_or_b64 exec, exec, s[24:25]
	s_mul_i32 s22, s28, 3
	s_lshl_b64 s[8:9], s[22:23], 8
	s_waitcnt lgkmcnt(0)
	s_sub_u32 s0, s0, s20
	s_subb_u32 s1, s1, 0
	s_add_u32 s10, s0, s8
	s_addc_u32 s11, s1, s9
	s_sub_u32 s0, s2, s20
	s_subb_u32 s1, s3, 0
	s_add_u32 s2, s10, 0x300
	s_addc_u32 s3, s11, 0
	v_pk_mov_b32 v[8:9], s[0:1], s[0:1] op_sel:[0,1]
	v_cmp_lt_i64_e32 vcc, s[2:3], v[8:9]
	s_and_b64 s[8:9], vcc, exec
	v_mov_b32_e32 v9, s11
	v_add_co_u32_e32 v8, vcc, s10, v14
	s_cselect_b32 s3, s3, s1
	s_cselect_b32 s2, s2, s0
	v_addc_co_u32_e32 v9, vcc, 0, v9, vcc
	v_cmp_gt_i64_e32 vcc, s[2:3], v[8:9]
	s_and_saveexec_b64 s[8:9], vcc
	s_cbranch_execz .LBB217_15
; %bb.12:
	s_load_dword s0, s[6:7], 0x0
	s_load_dwordx4 s[24:27], s[6:7], 0x48
	s_load_dwordx2 s[10:11], s[6:7], 0x58
	v_lshlrev_b64 v[10:11], 3, v[8:9]
	s_mov_b64 s[22:23], 0
	s_waitcnt lgkmcnt(0)
	s_bitcmp1_b32 s0, 0
	v_mov_b32_e32 v12, s27
	v_add_co_u32_e32 v10, vcc, s26, v10
	v_addc_co_u32_e32 v11, vcc, v11, v12, vcc
	v_add_co_u32_e32 v10, vcc, 4, v10
	v_addc_co_u32_e32 v11, vcc, 0, v11, vcc
	v_lshlrev_b64 v[12:13], 2, v[8:9]
	v_mov_b32_e32 v15, s25
	v_add_co_u32_e32 v12, vcc, s24, v12
	s_cselect_b64 s[6:7], -1, 0
	v_addc_co_u32_e32 v13, vcc, v15, v13, vcc
	v_mov_b32_e32 v15, s11
	s_movk_i32 s11, 0x100
.LBB217_13:                             ; =>This Inner Loop Header: Depth=1
	global_load_dword v16, v[12:13], off
	global_load_dwordx2 v[20:21], v[10:11], off offset:-4
	s_waitcnt vmcnt(1)
	v_subrev_u32_e32 v16, s20, v16
	v_ashrrev_i32_e32 v17, 31, v16
	v_lshlrev_b64 v[16:17], 4, v[16:17]
	v_add_co_u32_e32 v16, vcc, s10, v16
	v_addc_co_u32_e32 v17, vcc, v15, v17, vcc
	global_load_dwordx4 v[16:19], v[16:17], off
	v_add_co_u32_e32 v8, vcc, s11, v8
	s_waitcnt vmcnt(1)
	v_cndmask_b32_e64 v22, v21, -v21, s[6:7]
	v_addc_co_u32_e32 v9, vcc, 0, v9, vcc
	v_cvt_f64_f32_e32 v[22:23], v22
	v_add_co_u32_e32 v10, vcc, 0x800, v10
	v_cvt_f64_f32_e32 v[20:21], v20
	v_mul_f64 v[24:25], -v[6:7], v[22:23]
	v_mul_f64 v[22:23], v[4:5], v[22:23]
	v_addc_co_u32_e32 v11, vcc, 0, v11, vcc
	v_fmac_f64_e32 v[24:25], v[4:5], v[20:21]
	v_fmac_f64_e32 v[22:23], v[6:7], v[20:21]
	v_add_co_u32_e32 v12, vcc, 0x400, v12
	v_cmp_le_i64_e64 s[0:1], s[2:3], v[8:9]
	v_addc_co_u32_e32 v13, vcc, 0, v13, vcc
	s_or_b64 s[22:23], s[0:1], s[22:23]
	s_waitcnt vmcnt(0)
	v_fmac_f64_e32 v[0:1], v[24:25], v[16:17]
	v_fmac_f64_e32 v[2:3], v[22:23], v[16:17]
	v_fma_f64 v[0:1], -v[22:23], v[18:19], v[0:1]
	v_fmac_f64_e32 v[2:3], v[24:25], v[18:19]
	s_andn2_b64 exec, exec, s[22:23]
	s_cbranch_execnz .LBB217_13
; %bb.14:
	s_or_b64 exec, exec, s[22:23]
.LBB217_15:
	s_or_b64 exec, exec, s[8:9]
	s_movk_i32 s0, 0x80
	v_lshlrev_b32_e32 v4, 4, v14
	v_cmp_gt_u32_e32 vcc, s0, v14
	ds_write_b128 v4, v[0:3]
	s_waitcnt lgkmcnt(0)
	s_barrier
	s_and_saveexec_b64 s[0:1], vcc
	s_cbranch_execz .LBB217_17
; %bb.16:
	ds_read_b128 v[0:3], v4 offset:2048
	ds_read_b128 v[6:9], v4
	s_waitcnt lgkmcnt(0)
	v_add_f64 v[0:1], v[0:1], v[6:7]
	v_add_f64 v[2:3], v[2:3], v[8:9]
	ds_write_b128 v4, v[0:3]
.LBB217_17:
	s_or_b64 exec, exec, s[0:1]
	v_cmp_gt_u32_e32 vcc, 64, v14
	s_waitcnt lgkmcnt(0)
	s_barrier
	s_and_saveexec_b64 s[0:1], vcc
	s_cbranch_execz .LBB217_19
; %bb.18:
	ds_read_b128 v[0:3], v4 offset:1024
	ds_read_b128 v[6:9], v4
	s_waitcnt lgkmcnt(0)
	v_add_f64 v[0:1], v[0:1], v[6:7]
	v_add_f64 v[2:3], v[2:3], v[8:9]
	ds_write_b128 v4, v[0:3]
.LBB217_19:
	s_or_b64 exec, exec, s[0:1]
	v_cmp_gt_u32_e32 vcc, 32, v14
	;; [unrolled: 14-line block ×6, first 2 shown]
	s_waitcnt lgkmcnt(0)
	s_barrier
	s_and_saveexec_b64 s[0:1], vcc
	s_cbranch_execz .LBB217_29
; %bb.28:
	ds_read_b128 v[0:3], v4
	ds_read_b128 v[6:9], v4 offset:32
	s_waitcnt lgkmcnt(0)
	v_add_f64 v[0:1], v[6:7], v[0:1]
	v_add_f64 v[2:3], v[8:9], v[2:3]
	ds_write_b128 v4, v[0:3]
.LBB217_29:
	s_or_b64 exec, exec, s[0:1]
	v_cmp_eq_u32_e32 vcc, 0, v14
	s_waitcnt lgkmcnt(0)
	s_barrier
	s_and_saveexec_b64 s[0:1], vcc
	s_cbranch_execz .LBB217_31
; %bb.30:
	v_mov_b32_e32 v8, 0
	ds_read_b128 v[0:3], v8
	ds_read_b128 v[4:7], v8 offset:16
	s_waitcnt lgkmcnt(0)
	v_add_f64 v[0:1], v[4:5], v[0:1]
	v_add_f64 v[2:3], v[6:7], v[2:3]
	ds_write_b128 v8, v[0:3]
.LBB217_31:
	s_or_b64 exec, exec, s[0:1]
	s_waitcnt lgkmcnt(0)
	s_barrier
	s_and_b64 exec, exec, vcc
	s_cbranch_execz .LBB217_44
; %bb.32:
	s_cmp_eq_u32 s28, 0
	s_cbranch_scc1 .LBB217_38
; %bb.33:
	s_ashr_i32 s19, s18, 31
	s_lshl_b64 s[0:1], s[18:19], 2
	s_add_u32 s0, s12, s0
	s_addc_u32 s1, s13, s1
	v_mov_b32_e32 v0, 0
	s_branch .LBB217_35
.LBB217_34:                             ;   in Loop: Header=BB217_35 Depth=1
	s_or_b64 exec, exec, s[2:3]
	s_waitcnt vmcnt(0)
	v_readfirstlane_b32 s2, v1
	s_cmp_eq_u32 s2, s21
	s_cbranch_scc0 .LBB217_37
.LBB217_35:                             ; =>This Inner Loop Header: Depth=1
	v_mbcnt_lo_u32_b32 v1, exec_lo, 0
	v_mbcnt_hi_u32_b32 v1, exec_hi, v1
	v_cmp_eq_u32_e32 vcc, 0, v1
                                        ; implicit-def: $vgpr1
	s_and_saveexec_b64 s[2:3], vcc
	s_cbranch_execz .LBB217_34
; %bb.36:                               ;   in Loop: Header=BB217_35 Depth=1
	global_load_dword v1, v0, s[0:1] glc
	s_branch .LBB217_34
.LBB217_37:
	v_mov_b32_e32 v0, 0
	global_load_dword v1, v0, s[16:17]
	s_waitcnt vmcnt(0)
	v_xor_b32_e32 v1, 1, v1
	global_store_dword v0, v1, s[16:17]
.LBB217_38:
	v_mov_b32_e32 v8, 0
	ds_read_b128 v[0:3], v8
	s_mov_b64 s[6:7], exec
	s_lshl_b64 s[0:1], s[14:15], 4
	v_mbcnt_lo_u32_b32 v4, s6, 0
	s_add_u32 s0, s4, s0
	v_mbcnt_hi_u32_b32 v4, s7, v4
	s_addc_u32 s1, s5, s1
	v_cmp_eq_u32_e32 vcc, 0, v4
	s_and_saveexec_b64 s[2:3], vcc
	s_cbranch_execz .LBB217_41
; %bb.39:
	global_load_dwordx2 v[6:7], v8, s[0:1]
	s_bcnt1_i32_b64 s4, s[6:7]
	v_cvt_f64_u32_e32 v[4:5], s4
	s_waitcnt lgkmcnt(0)
	v_mul_f64 v[0:1], v[0:1], v[4:5]
	s_mov_b64 s[4:5], 0
.LBB217_40:                             ; =>This Inner Loop Header: Depth=1
	s_waitcnt vmcnt(0)
	v_add_f64 v[4:5], v[6:7], v[0:1]
	global_atomic_cmpswap_x2 v[4:5], v8, v[4:7], s[0:1] glc
	s_waitcnt vmcnt(0)
	v_cmp_eq_u64_e32 vcc, v[4:5], v[6:7]
	s_or_b64 s[4:5], vcc, s[4:5]
	v_pk_mov_b32 v[6:7], v[4:5], v[4:5] op_sel:[0,1]
	s_andn2_b64 exec, exec, s[4:5]
	s_cbranch_execnz .LBB217_40
.LBB217_41:
	s_or_b64 exec, exec, s[2:3]
	s_mov_b64 s[2:3], exec
	s_waitcnt lgkmcnt(0)
	v_mbcnt_lo_u32_b32 v0, s2, 0
	v_mbcnt_hi_u32_b32 v0, s3, v0
	v_cmp_eq_u32_e32 vcc, 0, v0
	s_and_b64 s[4:5], exec, vcc
	s_mov_b64 exec, s[4:5]
	s_cbranch_execz .LBB217_44
; %bb.42:
	v_mov_b32_e32 v6, 0
	global_load_dwordx2 v[4:5], v6, s[0:1] offset:8
	s_bcnt1_i32_b64 s2, s[2:3]
	v_cvt_f64_u32_e32 v[0:1], s2
	v_mul_f64 v[0:1], v[2:3], v[0:1]
	s_mov_b64 s[2:3], 0
.LBB217_43:                             ; =>This Inner Loop Header: Depth=1
	s_waitcnt vmcnt(0)
	v_add_f64 v[2:3], v[4:5], v[0:1]
	global_atomic_cmpswap_x2 v[2:3], v6, v[2:5], s[0:1] offset:8 glc
	s_waitcnt vmcnt(0)
	v_cmp_eq_u64_e32 vcc, v[2:3], v[4:5]
	s_or_b64 s[2:3], vcc, s[2:3]
	v_pk_mov_b32 v[4:5], v[2:3], v[2:3] op_sel:[0,1]
	s_andn2_b64 exec, exec, s[2:3]
	s_cbranch_execnz .LBB217_43
.LBB217_44:
	s_endpgm
	.section	.rodata,"a",@progbits
	.p2align	6, 0x0
	.amdhsa_kernel _ZN9rocsparseL27csrmvn_lrb_long_rows_kernelIli21rocsparse_complex_numIfES1_IdES3_S3_EEvbT_PjPT0_S7_jNS_24const_host_device_scalarIT4_EEPKS4_PKS6_PKT1_PKT2_SA_PT3_21rocsparse_index_base_b
		.amdhsa_group_segment_fixed_size 8192
		.amdhsa_private_segment_fixed_size 0
		.amdhsa_kernarg_size 128
		.amdhsa_user_sgpr_count 8
		.amdhsa_user_sgpr_private_segment_buffer 1
		.amdhsa_user_sgpr_dispatch_ptr 1
		.amdhsa_user_sgpr_queue_ptr 0
		.amdhsa_user_sgpr_kernarg_segment_ptr 1
		.amdhsa_user_sgpr_dispatch_id 0
		.amdhsa_user_sgpr_flat_scratch_init 0
		.amdhsa_user_sgpr_kernarg_preload_length 0
		.amdhsa_user_sgpr_kernarg_preload_offset 0
		.amdhsa_user_sgpr_private_segment_size 0
		.amdhsa_uses_dynamic_stack 0
		.amdhsa_system_sgpr_private_segment_wavefront_offset 0
		.amdhsa_system_sgpr_workgroup_id_x 1
		.amdhsa_system_sgpr_workgroup_id_y 0
		.amdhsa_system_sgpr_workgroup_id_z 0
		.amdhsa_system_sgpr_workgroup_info 0
		.amdhsa_system_vgpr_workitem_id 2
		.amdhsa_next_free_vgpr 26
		.amdhsa_next_free_sgpr 32
		.amdhsa_accum_offset 28
		.amdhsa_reserve_vcc 1
		.amdhsa_reserve_flat_scratch 0
		.amdhsa_float_round_mode_32 0
		.amdhsa_float_round_mode_16_64 0
		.amdhsa_float_denorm_mode_32 3
		.amdhsa_float_denorm_mode_16_64 3
		.amdhsa_dx10_clamp 1
		.amdhsa_ieee_mode 1
		.amdhsa_fp16_overflow 0
		.amdhsa_tg_split 0
		.amdhsa_exception_fp_ieee_invalid_op 0
		.amdhsa_exception_fp_denorm_src 0
		.amdhsa_exception_fp_ieee_div_zero 0
		.amdhsa_exception_fp_ieee_overflow 0
		.amdhsa_exception_fp_ieee_underflow 0
		.amdhsa_exception_fp_ieee_inexact 0
		.amdhsa_exception_int_div_zero 0
	.end_amdhsa_kernel
	.section	.text._ZN9rocsparseL27csrmvn_lrb_long_rows_kernelIli21rocsparse_complex_numIfES1_IdES3_S3_EEvbT_PjPT0_S7_jNS_24const_host_device_scalarIT4_EEPKS4_PKS6_PKT1_PKT2_SA_PT3_21rocsparse_index_base_b,"axG",@progbits,_ZN9rocsparseL27csrmvn_lrb_long_rows_kernelIli21rocsparse_complex_numIfES1_IdES3_S3_EEvbT_PjPT0_S7_jNS_24const_host_device_scalarIT4_EEPKS4_PKS6_PKT1_PKT2_SA_PT3_21rocsparse_index_base_b,comdat
.Lfunc_end217:
	.size	_ZN9rocsparseL27csrmvn_lrb_long_rows_kernelIli21rocsparse_complex_numIfES1_IdES3_S3_EEvbT_PjPT0_S7_jNS_24const_host_device_scalarIT4_EEPKS4_PKS6_PKT1_PKT2_SA_PT3_21rocsparse_index_base_b, .Lfunc_end217-_ZN9rocsparseL27csrmvn_lrb_long_rows_kernelIli21rocsparse_complex_numIfES1_IdES3_S3_EEvbT_PjPT0_S7_jNS_24const_host_device_scalarIT4_EEPKS4_PKS6_PKT1_PKT2_SA_PT3_21rocsparse_index_base_b
                                        ; -- End function
	.section	.AMDGPU.csdata,"",@progbits
; Kernel info:
; codeLenInByte = 2108
; NumSgprs: 36
; NumVgprs: 26
; NumAgprs: 0
; TotalNumVgprs: 26
; ScratchSize: 0
; MemoryBound: 0
; FloatMode: 240
; IeeeMode: 1
; LDSByteSize: 8192 bytes/workgroup (compile time only)
; SGPRBlocks: 4
; VGPRBlocks: 3
; NumSGPRsForWavesPerEU: 36
; NumVGPRsForWavesPerEU: 26
; AccumOffset: 28
; Occupancy: 8
; WaveLimiterHint : 1
; COMPUTE_PGM_RSRC2:SCRATCH_EN: 0
; COMPUTE_PGM_RSRC2:USER_SGPR: 8
; COMPUTE_PGM_RSRC2:TRAP_HANDLER: 0
; COMPUTE_PGM_RSRC2:TGID_X_EN: 1
; COMPUTE_PGM_RSRC2:TGID_Y_EN: 0
; COMPUTE_PGM_RSRC2:TGID_Z_EN: 0
; COMPUTE_PGM_RSRC2:TIDIG_COMP_CNT: 2
; COMPUTE_PGM_RSRC3_GFX90A:ACCUM_OFFSET: 6
; COMPUTE_PGM_RSRC3_GFX90A:TG_SPLIT: 0
	.section	.text._ZN9rocsparseL28csrmvn_lrb_short_rows_kernelIll21rocsparse_complex_numIfES1_IdES3_S3_EEvbT_PT0_S6_jNS_24const_host_device_scalarIT4_EEPKS4_PKS5_PKT1_PKT2_S9_PT3_21rocsparse_index_base_b,"axG",@progbits,_ZN9rocsparseL28csrmvn_lrb_short_rows_kernelIll21rocsparse_complex_numIfES1_IdES3_S3_EEvbT_PT0_S6_jNS_24const_host_device_scalarIT4_EEPKS4_PKS5_PKT1_PKT2_S9_PT3_21rocsparse_index_base_b,comdat
	.globl	_ZN9rocsparseL28csrmvn_lrb_short_rows_kernelIll21rocsparse_complex_numIfES1_IdES3_S3_EEvbT_PT0_S6_jNS_24const_host_device_scalarIT4_EEPKS4_PKS5_PKT1_PKT2_S9_PT3_21rocsparse_index_base_b ; -- Begin function _ZN9rocsparseL28csrmvn_lrb_short_rows_kernelIll21rocsparse_complex_numIfES1_IdES3_S3_EEvbT_PT0_S6_jNS_24const_host_device_scalarIT4_EEPKS4_PKS5_PKT1_PKT2_S9_PT3_21rocsparse_index_base_b
	.p2align	8
	.type	_ZN9rocsparseL28csrmvn_lrb_short_rows_kernelIll21rocsparse_complex_numIfES1_IdES3_S3_EEvbT_PT0_S6_jNS_24const_host_device_scalarIT4_EEPKS4_PKS5_PKT1_PKT2_S9_PT3_21rocsparse_index_base_b,@function
_ZN9rocsparseL28csrmvn_lrb_short_rows_kernelIll21rocsparse_complex_numIfES1_IdES3_S3_EEvbT_PT0_S6_jNS_24const_host_device_scalarIT4_EEPKS4_PKS5_PKT1_PKT2_S9_PT3_21rocsparse_index_base_b: ; @_ZN9rocsparseL28csrmvn_lrb_short_rows_kernelIll21rocsparse_complex_numIfES1_IdES3_S3_EEvbT_PT0_S6_jNS_24const_host_device_scalarIT4_EEPKS4_PKS5_PKT1_PKT2_S9_PT3_21rocsparse_index_base_b
; %bb.0:
	s_add_u32 flat_scratch_lo, s6, s9
	s_load_dwordx2 s[20:21], s[4:5], 0x70
	s_load_dwordx4 s[16:19], s[4:5], 0x28
	s_addc_u32 flat_scratch_hi, s7, 0
	s_add_u32 s0, s0, s9
	s_load_dwordx4 s[12:15], s[4:5], 0x58
	s_addc_u32 s1, s1, 0
	s_waitcnt lgkmcnt(0)
	s_bitcmp1_b32 s21, 0
	v_mov_b32_e32 v1, 0
	v_mov_b32_e32 v3, s16
	s_cselect_b64 s[6:7], -1, 0
	v_cndmask_b32_e64 v2, v3, v1, s[6:7]
	v_mov_b32_e32 v1, s17
	s_mov_b64 s[10:11], src_private_base
	s_and_b64 vcc, s[6:7], exec
	buffer_store_dword v1, off, s[0:3], 0 offset:4
	buffer_store_dword v3, off, s[0:3], 0
	v_mov_b32_e32 v1, s13
	s_cselect_b32 s9, s11, s17
	buffer_store_dword v1, off, s[0:3], 0 offset:12
	v_mov_b32_e32 v1, s12
	buffer_store_dword v1, off, s[0:3], 0 offset:8
	v_mov_b32_e32 v3, s9
	flat_load_dwordx2 v[10:11], v[2:3]
	s_xor_b64 s[22:23], s[6:7], -1
	v_pk_mov_b32 v[12:13], s[18:19], s[18:19] op_sel:[0,1]
	s_cbranch_vccnz .LBB218_2
; %bb.1:
	v_pk_mov_b32 v[2:3], s[16:17], s[16:17] op_sel:[0,1]
	flat_load_dwordx2 v[12:13], v[2:3] offset:8
.LBB218_2:
	s_and_b64 s[16:17], s[6:7], exec
	s_cselect_b32 s9, s11, s13
	v_mov_b32_e32 v1, 8
	v_mov_b32_e32 v2, s12
	v_cndmask_b32_e64 v2, v2, v1, s[6:7]
	v_mov_b32_e32 v3, s9
	flat_load_dwordx2 v[6:7], v[2:3]
	s_andn2_b64 vcc, exec, s[22:23]
	v_pk_mov_b32 v[8:9], s[14:15], s[14:15] op_sel:[0,1]
	s_cbranch_vccnz .LBB218_4
; %bb.3:
	v_pk_mov_b32 v[2:3], s[12:13], s[12:13] op_sel:[0,1]
	flat_load_dwordx2 v[8:9], v[2:3] offset:8
.LBB218_4:
	s_waitcnt vmcnt(0) lgkmcnt(0)
	v_cmp_eq_f64_e32 vcc, 0, v[10:11]
	v_cmp_eq_f64_e64 s[6:7], 0, v[12:13]
	s_and_b64 s[12:13], vcc, s[6:7]
	s_mov_b64 s[6:7], -1
	s_and_saveexec_b64 s[10:11], s[12:13]
; %bb.5:
	v_cmp_neq_f64_e32 vcc, 1.0, v[6:7]
	v_cmp_neq_f64_e64 s[6:7], 0, v[8:9]
	s_or_b64 s[6:7], vcc, s[6:7]
	s_orn2_b64 s[6:7], s[6:7], exec
; %bb.6:
	s_or_b64 exec, exec, s[10:11]
	s_and_saveexec_b64 s[10:11], s[6:7]
	s_cbranch_execz .LBB218_20
; %bb.7:
	s_load_dword s6, s[4:5], 0x20
	s_load_dwordx4 s[16:19], s[4:5], 0x10
	s_mov_b32 s21, 0
	s_mov_b32 s7, s21
	;; [unrolled: 1-line block ×3, first 2 shown]
	s_waitcnt lgkmcnt(0)
	s_lshl_b64 s[10:11], s[6:7], 3
	s_add_u32 s10, s18, s10
	s_addc_u32 s11, s19, s11
	s_add_i32 s12, s6, 1
	s_lshl_b64 s[12:13], s[12:13], 3
	s_add_u32 s12, s18, s12
	s_addc_u32 s13, s19, s13
	s_load_dwordx2 s[18:19], s[10:11], 0x0
	s_load_dword s7, s[12:13], 0x0
	s_lshl_b32 s22, s8, 8
	s_add_i32 s8, s22, 0x100
	s_waitcnt lgkmcnt(0)
	s_sub_i32 s7, s7, s18
	s_min_u32 s7, s7, s8
	s_cmp_gt_u32 s6, 23
	s_cbranch_scc1 .LBB218_14
; %bb.8:
	s_load_dword s24, s[4:5], 0x0
	s_load_dwordx8 s[8:15], s[4:5], 0x38
	s_lshl_b32 s23, 0x100, s6
	v_mov_b32_e32 v17, 0
	v_bfe_u32 v14, v0, 0, s6
	s_waitcnt lgkmcnt(0)
	s_bitcmp1_b32 s24, 0
	s_cselect_b64 s[24:25], -1, 0
	s_lshl_b64 s[26:27], s[18:19], 3
	s_add_u32 s30, s16, s26
	s_addc_u32 s31, s17, s27
	v_mov_b32_e32 v15, v17
	v_lshl_add_u32 v1, v0, 4, 0
	s_mov_b32 s33, s21
	s_branch .LBB218_11
.LBB218_9:                              ;   in Loop: Header=BB218_11 Depth=1
	s_or_b64 exec, exec, s[28:29]
	ds_write2_b64 v1, v[18:19], v[4:5] offset1:1
.LBB218_10:                             ;   in Loop: Header=BB218_11 Depth=1
	s_or_b64 exec, exec, s[26:27]
	s_addk_i32 s33, 0x100
	s_cmp_ge_u32 s33, s23
	v_add_u32_e32 v1, 0x1000, v1
	s_cbranch_scc1 .LBB218_14
.LBB218_11:                             ; =>This Inner Loop Header: Depth=1
	v_add_u32_e32 v2, s33, v0
	v_lshrrev_b32_e32 v2, s6, v2
	v_add_u32_e32 v16, s22, v2
	v_cmp_gt_u32_e32 vcc, s7, v16
	s_and_saveexec_b64 s[26:27], vcc
	s_cbranch_execz .LBB218_10
; %bb.12:                               ;   in Loop: Header=BB218_11 Depth=1
	v_lshlrev_b64 v[2:3], 3, v[16:17]
	v_mov_b32_e32 v4, s31
	v_add_co_u32_e32 v2, vcc, s30, v2
	v_addc_co_u32_e32 v3, vcc, v4, v3, vcc
	global_load_dwordx2 v[2:3], v[2:3], off
	v_mov_b32_e32 v4, s9
	v_pk_mov_b32 v[18:19], 0, 0
	s_waitcnt vmcnt(0)
	v_lshlrev_b64 v[2:3], 3, v[2:3]
	v_add_co_u32_e32 v2, vcc, s8, v2
	v_addc_co_u32_e32 v3, vcc, v4, v3, vcc
	global_load_dwordx4 v[2:5], v[2:3], off
	s_waitcnt vmcnt(0)
	v_sub_co_u32_e32 v4, vcc, v4, v2
	v_subb_co_u32_e32 v5, vcc, v5, v3, vcc
	v_cmp_gt_i64_e32 vcc, v[4:5], v[14:15]
	v_pk_mov_b32 v[4:5], v[18:19], v[18:19] op_sel:[0,1]
	s_and_saveexec_b64 s[28:29], vcc
	s_cbranch_execz .LBB218_9
; %bb.13:                               ;   in Loop: Header=BB218_11 Depth=1
	v_mov_b32_e32 v16, s21
	v_subrev_co_u32_e32 v2, vcc, s20, v2
	v_subb_co_u32_e32 v3, vcc, v3, v16, vcc
	v_add_co_u32_e32 v2, vcc, v2, v14
	v_addc_co_u32_e32 v3, vcc, 0, v3, vcc
	v_lshlrev_b64 v[2:3], 3, v[2:3]
	v_mov_b32_e32 v5, s11
	v_add_co_u32_e32 v4, vcc, s10, v2
	v_addc_co_u32_e32 v5, vcc, v5, v3, vcc
	global_load_dwordx2 v[4:5], v[4:5], off
	v_mov_b32_e32 v18, s13
	v_add_co_u32_e32 v2, vcc, s12, v2
	v_addc_co_u32_e32 v3, vcc, v18, v3, vcc
	global_load_dwordx2 v[18:19], v[2:3], off
	v_mov_b32_e32 v20, s15
	s_waitcnt vmcnt(1)
	v_subrev_co_u32_e32 v2, vcc, s20, v4
	v_subb_co_u32_e32 v3, vcc, v5, v16, vcc
	v_lshlrev_b64 v[2:3], 4, v[2:3]
	v_add_co_u32_e32 v2, vcc, s14, v2
	v_addc_co_u32_e32 v3, vcc, v20, v3, vcc
	global_load_dwordx4 v[2:5], v[2:3], off
	s_waitcnt vmcnt(1)
	v_cndmask_b32_e64 v16, v19, -v19, s[24:25]
	v_cvt_f64_f32_e32 v[20:21], v16
	v_cvt_f64_f32_e32 v[18:19], v18
	v_mul_f64 v[22:23], -v[12:13], v[20:21]
	v_mul_f64 v[20:21], v[10:11], v[20:21]
	v_fmac_f64_e32 v[22:23], v[10:11], v[18:19]
	v_fmac_f64_e32 v[20:21], v[12:13], v[18:19]
	s_waitcnt vmcnt(0)
	v_mul_f64 v[18:19], v[4:5], -v[20:21]
	v_mul_f64 v[4:5], v[4:5], v[22:23]
	v_fmac_f64_e32 v[18:19], v[22:23], v[2:3]
	v_fmac_f64_e32 v[4:5], v[20:21], v[2:3]
	s_branch .LBB218_9
.LBB218_14:
	s_sub_i32 s7, s7, s22
	v_cmp_gt_u32_e32 vcc, s7, v0
	s_waitcnt lgkmcnt(0)
	s_barrier
	s_and_b64 exec, exec, vcc
	s_cbranch_execz .LBB218_20
; %bb.15:
	s_lshl_b64 s[8:9], s[18:19], 3
	s_mov_b32 s23, 0
	s_add_u32 s7, s16, s8
	s_addc_u32 s10, s17, s9
	s_lshl_b64 s[8:9], s[22:23], 3
	s_add_u32 s8, s7, s8
	s_addc_u32 s9, s10, s9
	v_lshlrev_b32_e32 v1, 3, v0
	global_load_dwordx2 v[4:5], v1, s[8:9]
	s_load_dwordx2 s[8:9], s[4:5], 0x68
	v_lshlrev_b32_e32 v0, s6, v0
	v_pk_mov_b32 v[2:3], 0, 0
	v_lshl_add_u32 v10, v0, 4, 0
	s_mov_b32 s4, 1
	v_pk_mov_b32 v[0:1], v[2:3], v[2:3] op_sel:[0,1]
.LBB218_16:                             ; =>This Inner Loop Header: Depth=1
	ds_read2_b64 v[12:15], v10 offset1:1
	s_lshr_b32 s5, s4, s6
	s_add_i32 s4, s4, 1
	v_add_u32_e32 v10, 16, v10
	s_cmp_lg_u32 s5, 0
	s_waitcnt lgkmcnt(0)
	v_add_f64 v[0:1], v[0:1], v[12:13]
	v_add_f64 v[2:3], v[2:3], v[14:15]
	s_cbranch_scc0 .LBB218_16
; %bb.17:
	v_cmp_neq_f64_e32 vcc, 0, v[6:7]
	v_cmp_neq_f64_e64 s[4:5], 0, v[8:9]
	s_or_b64 s[6:7], vcc, s[4:5]
	s_waitcnt vmcnt(0)
	v_lshlrev_b64 v[4:5], 4, v[4:5]
	s_and_saveexec_b64 s[4:5], s[6:7]
	s_cbranch_execz .LBB218_19
; %bb.18:
	v_mov_b32_e32 v11, s9
	v_add_co_u32_e32 v10, vcc, s8, v4
	v_addc_co_u32_e32 v11, vcc, v11, v5, vcc
	global_load_dwordx4 v[10:13], v[10:11], off
	s_waitcnt vmcnt(0)
	v_fmac_f64_e32 v[0:1], v[6:7], v[10:11]
	v_fmac_f64_e32 v[2:3], v[8:9], v[10:11]
	v_fma_f64 v[0:1], -v[8:9], v[12:13], v[0:1]
	v_fmac_f64_e32 v[2:3], v[6:7], v[12:13]
.LBB218_19:
	s_or_b64 exec, exec, s[4:5]
	v_mov_b32_e32 v6, s9
	v_add_co_u32_e32 v4, vcc, s8, v4
	v_addc_co_u32_e32 v5, vcc, v6, v5, vcc
	global_store_dwordx4 v[4:5], v[0:3], off
.LBB218_20:
	s_endpgm
	.section	.rodata,"a",@progbits
	.p2align	6, 0x0
	.amdhsa_kernel _ZN9rocsparseL28csrmvn_lrb_short_rows_kernelIll21rocsparse_complex_numIfES1_IdES3_S3_EEvbT_PT0_S6_jNS_24const_host_device_scalarIT4_EEPKS4_PKS5_PKT1_PKT2_S9_PT3_21rocsparse_index_base_b
		.amdhsa_group_segment_fixed_size 0
		.amdhsa_private_segment_fixed_size 24
		.amdhsa_kernarg_size 120
		.amdhsa_user_sgpr_count 8
		.amdhsa_user_sgpr_private_segment_buffer 1
		.amdhsa_user_sgpr_dispatch_ptr 0
		.amdhsa_user_sgpr_queue_ptr 0
		.amdhsa_user_sgpr_kernarg_segment_ptr 1
		.amdhsa_user_sgpr_dispatch_id 0
		.amdhsa_user_sgpr_flat_scratch_init 1
		.amdhsa_user_sgpr_kernarg_preload_length 0
		.amdhsa_user_sgpr_kernarg_preload_offset 0
		.amdhsa_user_sgpr_private_segment_size 0
		.amdhsa_uses_dynamic_stack 0
		.amdhsa_system_sgpr_private_segment_wavefront_offset 1
		.amdhsa_system_sgpr_workgroup_id_x 1
		.amdhsa_system_sgpr_workgroup_id_y 0
		.amdhsa_system_sgpr_workgroup_id_z 0
		.amdhsa_system_sgpr_workgroup_info 0
		.amdhsa_system_vgpr_workitem_id 0
		.amdhsa_next_free_vgpr 24
		.amdhsa_next_free_sgpr 34
		.amdhsa_accum_offset 24
		.amdhsa_reserve_vcc 1
		.amdhsa_reserve_flat_scratch 1
		.amdhsa_float_round_mode_32 0
		.amdhsa_float_round_mode_16_64 0
		.amdhsa_float_denorm_mode_32 3
		.amdhsa_float_denorm_mode_16_64 3
		.amdhsa_dx10_clamp 1
		.amdhsa_ieee_mode 1
		.amdhsa_fp16_overflow 0
		.amdhsa_tg_split 0
		.amdhsa_exception_fp_ieee_invalid_op 0
		.amdhsa_exception_fp_denorm_src 0
		.amdhsa_exception_fp_ieee_div_zero 0
		.amdhsa_exception_fp_ieee_overflow 0
		.amdhsa_exception_fp_ieee_underflow 0
		.amdhsa_exception_fp_ieee_inexact 0
		.amdhsa_exception_int_div_zero 0
	.end_amdhsa_kernel
	.section	.text._ZN9rocsparseL28csrmvn_lrb_short_rows_kernelIll21rocsparse_complex_numIfES1_IdES3_S3_EEvbT_PT0_S6_jNS_24const_host_device_scalarIT4_EEPKS4_PKS5_PKT1_PKT2_S9_PT3_21rocsparse_index_base_b,"axG",@progbits,_ZN9rocsparseL28csrmvn_lrb_short_rows_kernelIll21rocsparse_complex_numIfES1_IdES3_S3_EEvbT_PT0_S6_jNS_24const_host_device_scalarIT4_EEPKS4_PKS5_PKT1_PKT2_S9_PT3_21rocsparse_index_base_b,comdat
.Lfunc_end218:
	.size	_ZN9rocsparseL28csrmvn_lrb_short_rows_kernelIll21rocsparse_complex_numIfES1_IdES3_S3_EEvbT_PT0_S6_jNS_24const_host_device_scalarIT4_EEPKS4_PKS5_PKT1_PKT2_S9_PT3_21rocsparse_index_base_b, .Lfunc_end218-_ZN9rocsparseL28csrmvn_lrb_short_rows_kernelIll21rocsparse_complex_numIfES1_IdES3_S3_EEvbT_PT0_S6_jNS_24const_host_device_scalarIT4_EEPKS4_PKS5_PKT1_PKT2_S9_PT3_21rocsparse_index_base_b
                                        ; -- End function
	.section	.AMDGPU.csdata,"",@progbits
; Kernel info:
; codeLenInByte = 1088
; NumSgprs: 40
; NumVgprs: 24
; NumAgprs: 0
; TotalNumVgprs: 24
; ScratchSize: 24
; MemoryBound: 0
; FloatMode: 240
; IeeeMode: 1
; LDSByteSize: 0 bytes/workgroup (compile time only)
; SGPRBlocks: 4
; VGPRBlocks: 2
; NumSGPRsForWavesPerEU: 40
; NumVGPRsForWavesPerEU: 24
; AccumOffset: 24
; Occupancy: 8
; WaveLimiterHint : 1
; COMPUTE_PGM_RSRC2:SCRATCH_EN: 1
; COMPUTE_PGM_RSRC2:USER_SGPR: 8
; COMPUTE_PGM_RSRC2:TRAP_HANDLER: 0
; COMPUTE_PGM_RSRC2:TGID_X_EN: 1
; COMPUTE_PGM_RSRC2:TGID_Y_EN: 0
; COMPUTE_PGM_RSRC2:TGID_Z_EN: 0
; COMPUTE_PGM_RSRC2:TIDIG_COMP_CNT: 0
; COMPUTE_PGM_RSRC3_GFX90A:ACCUM_OFFSET: 5
; COMPUTE_PGM_RSRC3_GFX90A:TG_SPLIT: 0
	.section	.text._ZN9rocsparseL30csrmvn_lrb_short_rows_2_kernelIll21rocsparse_complex_numIfES1_IdES3_S3_EEvbT_PT0_S6_jNS_24const_host_device_scalarIT4_EEPKS4_PKS5_PKT1_PKT2_S9_PT3_21rocsparse_index_base_b,"axG",@progbits,_ZN9rocsparseL30csrmvn_lrb_short_rows_2_kernelIll21rocsparse_complex_numIfES1_IdES3_S3_EEvbT_PT0_S6_jNS_24const_host_device_scalarIT4_EEPKS4_PKS5_PKT1_PKT2_S9_PT3_21rocsparse_index_base_b,comdat
	.globl	_ZN9rocsparseL30csrmvn_lrb_short_rows_2_kernelIll21rocsparse_complex_numIfES1_IdES3_S3_EEvbT_PT0_S6_jNS_24const_host_device_scalarIT4_EEPKS4_PKS5_PKT1_PKT2_S9_PT3_21rocsparse_index_base_b ; -- Begin function _ZN9rocsparseL30csrmvn_lrb_short_rows_2_kernelIll21rocsparse_complex_numIfES1_IdES3_S3_EEvbT_PT0_S6_jNS_24const_host_device_scalarIT4_EEPKS4_PKS5_PKT1_PKT2_S9_PT3_21rocsparse_index_base_b
	.p2align	8
	.type	_ZN9rocsparseL30csrmvn_lrb_short_rows_2_kernelIll21rocsparse_complex_numIfES1_IdES3_S3_EEvbT_PT0_S6_jNS_24const_host_device_scalarIT4_EEPKS4_PKS5_PKT1_PKT2_S9_PT3_21rocsparse_index_base_b,@function
_ZN9rocsparseL30csrmvn_lrb_short_rows_2_kernelIll21rocsparse_complex_numIfES1_IdES3_S3_EEvbT_PT0_S6_jNS_24const_host_device_scalarIT4_EEPKS4_PKS5_PKT1_PKT2_S9_PT3_21rocsparse_index_base_b: ; @_ZN9rocsparseL30csrmvn_lrb_short_rows_2_kernelIll21rocsparse_complex_numIfES1_IdES3_S3_EEvbT_PT0_S6_jNS_24const_host_device_scalarIT4_EEPKS4_PKS5_PKT1_PKT2_S9_PT3_21rocsparse_index_base_b
; %bb.0:
	s_add_u32 flat_scratch_lo, s6, s9
	s_load_dwordx2 s[20:21], s[4:5], 0x70
	s_load_dwordx4 s[16:19], s[4:5], 0x28
	s_addc_u32 flat_scratch_hi, s7, 0
	s_add_u32 s0, s0, s9
	s_load_dwordx4 s[12:15], s[4:5], 0x58
	s_addc_u32 s1, s1, 0
	s_waitcnt lgkmcnt(0)
	s_bitcmp1_b32 s21, 0
	v_mov_b32_e32 v1, 0
	v_mov_b32_e32 v3, s16
	s_cselect_b64 s[6:7], -1, 0
	v_cndmask_b32_e64 v2, v3, v1, s[6:7]
	v_mov_b32_e32 v1, s17
	s_mov_b64 s[10:11], src_private_base
	s_and_b64 vcc, s[6:7], exec
	buffer_store_dword v1, off, s[0:3], 0 offset:4
	buffer_store_dword v3, off, s[0:3], 0
	v_mov_b32_e32 v1, s13
	s_cselect_b32 s9, s11, s17
	buffer_store_dword v1, off, s[0:3], 0 offset:12
	v_mov_b32_e32 v1, s12
	buffer_store_dword v1, off, s[0:3], 0 offset:8
	v_mov_b32_e32 v3, s9
	flat_load_dwordx2 v[14:15], v[2:3]
	s_xor_b64 s[22:23], s[6:7], -1
	v_pk_mov_b32 v[16:17], s[18:19], s[18:19] op_sel:[0,1]
	s_cbranch_vccnz .LBB219_2
; %bb.1:
	v_pk_mov_b32 v[2:3], s[16:17], s[16:17] op_sel:[0,1]
	flat_load_dwordx2 v[16:17], v[2:3] offset:8
.LBB219_2:
	s_and_b64 s[16:17], s[6:7], exec
	s_cselect_b32 s9, s11, s13
	v_mov_b32_e32 v1, 8
	v_mov_b32_e32 v2, s12
	v_cndmask_b32_e64 v2, v2, v1, s[6:7]
	v_mov_b32_e32 v3, s9
	flat_load_dwordx2 v[10:11], v[2:3]
	s_andn2_b64 vcc, exec, s[22:23]
	v_pk_mov_b32 v[12:13], s[14:15], s[14:15] op_sel:[0,1]
	s_cbranch_vccnz .LBB219_4
; %bb.3:
	v_pk_mov_b32 v[2:3], s[12:13], s[12:13] op_sel:[0,1]
	flat_load_dwordx2 v[12:13], v[2:3] offset:8
.LBB219_4:
	s_waitcnt vmcnt(0) lgkmcnt(0)
	v_cmp_eq_f64_e32 vcc, 0, v[14:15]
	v_cmp_eq_f64_e64 s[6:7], 0, v[16:17]
	s_and_b64 s[12:13], vcc, s[6:7]
	s_mov_b64 s[6:7], -1
	s_and_saveexec_b64 s[10:11], s[12:13]
; %bb.5:
	v_cmp_neq_f64_e32 vcc, 1.0, v[10:11]
	v_cmp_neq_f64_e64 s[6:7], 0, v[12:13]
	s_or_b64 s[6:7], vcc, s[6:7]
	s_orn2_b64 s[6:7], s[6:7], exec
; %bb.6:
	s_or_b64 exec, exec, s[10:11]
	s_and_saveexec_b64 s[10:11], s[6:7]
	s_cbranch_execz .LBB219_32
; %bb.7:
	s_load_dword s6, s[4:5], 0x20
	s_load_dword s9, s[4:5], 0x0
	s_load_dwordx4 s[24:27], s[4:5], 0x10
	s_mov_b32 s7, 0
	v_mov_b32_e32 v19, 0
	s_waitcnt lgkmcnt(0)
	v_lshrrev_b32_e32 v1, s6, v0
	s_bitcmp1_b32 s9, 0
	s_cselect_b64 s[22:23], -1, 0
	s_lshl_b64 s[10:11], s[6:7], 3
	s_add_u32 s28, s26, s10
	s_addc_u32 s29, s27, s11
	s_add_i32 s10, s6, 1
	s_mov_b32 s11, s7
	s_lshl_b64 s[10:11], s[10:11], 3
	s_add_u32 s26, s26, s10
	s_addc_u32 s27, s27, s11
	s_load_dwordx2 s[30:31], s[28:29], 0x0
	s_load_dword s7, s[26:27], 0x0
	s_load_dwordx2 s[10:11], s[4:5], 0x68
	s_load_dwordx8 s[12:19], s[4:5], 0x38
	v_bfe_u32 v18, v0, 0, s6
	s_waitcnt lgkmcnt(0)
	s_sub_i32 s4, s7, s30
	s_lshr_b32 s7, 0x400, s6
	s_mul_i32 s8, s7, s8
	s_add_i32 s5, s8, s7
	s_min_u32 s9, s4, s5
	s_lshl_b64 s[4:5], s[30:31], 3
	s_add_u32 s21, s24, s4
	v_add_u32_e32 v2, s8, v1
	s_addc_u32 s26, s25, s5
	v_cmp_gt_u32_e32 vcc, s9, v2
	s_and_saveexec_b64 s[4:5], vcc
	s_cbranch_execz .LBB219_11
; %bb.8:
	v_mov_b32_e32 v3, v19
	v_lshlrev_b64 v[2:3], 3, v[2:3]
	v_mov_b32_e32 v1, s26
	v_add_co_u32_e32 v2, vcc, s21, v2
	v_addc_co_u32_e32 v3, vcc, v1, v3, vcc
	global_load_dwordx2 v[2:3], v[2:3], off
	v_mov_b32_e32 v1, s13
	s_waitcnt vmcnt(0)
	v_lshlrev_b64 v[2:3], 3, v[2:3]
	v_add_co_u32_e32 v2, vcc, s12, v2
	v_addc_co_u32_e32 v3, vcc, v1, v3, vcc
	global_load_dwordx4 v[6:9], v[2:3], off
	v_pk_mov_b32 v[2:3], 0, 0
	s_waitcnt vmcnt(0)
	v_sub_co_u32_e32 v4, vcc, v8, v6
	v_subb_co_u32_e32 v5, vcc, v9, v7, vcc
	v_cmp_gt_i64_e32 vcc, v[4:5], v[18:19]
	v_pk_mov_b32 v[4:5], v[2:3], v[2:3] op_sel:[0,1]
	s_and_saveexec_b64 s[24:25], vcc
	s_cbranch_execz .LBB219_10
; %bb.9:
	v_subrev_co_u32_e32 v1, vcc, s20, v6
	v_subbrev_co_u32_e32 v3, vcc, 0, v7, vcc
	v_add_co_u32_e32 v2, vcc, v1, v18
	v_addc_co_u32_e32 v3, vcc, 0, v3, vcc
	v_lshlrev_b64 v[2:3], 3, v[2:3]
	v_mov_b32_e32 v1, s15
	v_add_co_u32_e32 v4, vcc, s14, v2
	v_addc_co_u32_e32 v5, vcc, v1, v3, vcc
	global_load_dwordx2 v[4:5], v[4:5], off
	v_mov_b32_e32 v1, s17
	v_add_co_u32_e32 v2, vcc, s16, v2
	v_addc_co_u32_e32 v3, vcc, v1, v3, vcc
	global_load_dwordx2 v[2:3], v[2:3], off
	v_mov_b32_e32 v6, s19
	s_waitcnt vmcnt(1)
	v_subrev_co_u32_e32 v4, vcc, s20, v4
	v_subbrev_co_u32_e32 v5, vcc, 0, v5, vcc
	v_lshlrev_b64 v[4:5], 4, v[4:5]
	v_add_co_u32_e32 v4, vcc, s18, v4
	v_addc_co_u32_e32 v5, vcc, v6, v5, vcc
	global_load_dwordx4 v[6:9], v[4:5], off
	s_waitcnt vmcnt(1)
	v_cndmask_b32_e64 v1, v3, -v3, s[22:23]
	v_cvt_f64_f32_e32 v[4:5], v1
	v_cvt_f64_f32_e32 v[2:3], v2
	v_mul_f64 v[20:21], -v[16:17], v[4:5]
	v_mul_f64 v[22:23], v[14:15], v[4:5]
	v_fmac_f64_e32 v[20:21], v[14:15], v[2:3]
	v_fmac_f64_e32 v[22:23], v[16:17], v[2:3]
	s_waitcnt vmcnt(0)
	v_mul_f64 v[2:3], v[8:9], -v[22:23]
	v_mul_f64 v[4:5], v[8:9], v[20:21]
	v_fmac_f64_e32 v[2:3], v[20:21], v[6:7]
	v_fmac_f64_e32 v[4:5], v[22:23], v[6:7]
.LBB219_10:
	s_or_b64 exec, exec, s[24:25]
	v_lshlrev_b32_e32 v1, 4, v0
	ds_write_b128 v1, v[2:5]
.LBB219_11:
	s_or_b64 exec, exec, s[4:5]
	v_or_b32_e32 v1, 0x100, v0
	v_lshrrev_b32_e32 v1, s6, v1
	v_add_u32_e32 v2, s8, v1
	v_cmp_gt_u32_e32 vcc, s9, v2
	s_and_saveexec_b64 s[4:5], vcc
	s_cbranch_execz .LBB219_15
; %bb.12:
	v_mov_b32_e32 v3, 0
	v_lshlrev_b64 v[2:3], 3, v[2:3]
	v_mov_b32_e32 v1, s26
	v_add_co_u32_e32 v2, vcc, s21, v2
	v_addc_co_u32_e32 v3, vcc, v1, v3, vcc
	global_load_dwordx2 v[2:3], v[2:3], off
	v_mov_b32_e32 v1, s13
	s_waitcnt vmcnt(0)
	v_lshlrev_b64 v[2:3], 3, v[2:3]
	v_add_co_u32_e32 v2, vcc, s12, v2
	v_addc_co_u32_e32 v3, vcc, v1, v3, vcc
	global_load_dwordx4 v[6:9], v[2:3], off
	v_pk_mov_b32 v[2:3], 0, 0
	s_waitcnt vmcnt(0)
	v_sub_co_u32_e32 v4, vcc, v8, v6
	v_subb_co_u32_e32 v5, vcc, v9, v7, vcc
	v_cmp_gt_i64_e32 vcc, v[4:5], v[18:19]
	v_pk_mov_b32 v[4:5], v[2:3], v[2:3] op_sel:[0,1]
	s_and_saveexec_b64 s[24:25], vcc
	s_cbranch_execz .LBB219_14
; %bb.13:
	v_subrev_co_u32_e32 v1, vcc, s20, v6
	v_subbrev_co_u32_e32 v3, vcc, 0, v7, vcc
	v_add_co_u32_e32 v2, vcc, v1, v18
	v_addc_co_u32_e32 v3, vcc, 0, v3, vcc
	v_lshlrev_b64 v[2:3], 3, v[2:3]
	v_mov_b32_e32 v1, s15
	v_add_co_u32_e32 v4, vcc, s14, v2
	v_addc_co_u32_e32 v5, vcc, v1, v3, vcc
	global_load_dwordx2 v[4:5], v[4:5], off
	v_mov_b32_e32 v1, s17
	v_add_co_u32_e32 v2, vcc, s16, v2
	v_addc_co_u32_e32 v3, vcc, v1, v3, vcc
	global_load_dwordx2 v[2:3], v[2:3], off
	v_mov_b32_e32 v6, s19
	s_waitcnt vmcnt(1)
	v_subrev_co_u32_e32 v4, vcc, s20, v4
	v_subbrev_co_u32_e32 v5, vcc, 0, v5, vcc
	v_lshlrev_b64 v[4:5], 4, v[4:5]
	v_add_co_u32_e32 v4, vcc, s18, v4
	v_addc_co_u32_e32 v5, vcc, v6, v5, vcc
	global_load_dwordx4 v[6:9], v[4:5], off
	s_waitcnt vmcnt(1)
	v_cndmask_b32_e64 v1, v3, -v3, s[22:23]
	v_cvt_f64_f32_e32 v[4:5], v1
	v_cvt_f64_f32_e32 v[2:3], v2
	v_mul_f64 v[20:21], -v[16:17], v[4:5]
	v_mul_f64 v[22:23], v[14:15], v[4:5]
	v_fmac_f64_e32 v[20:21], v[14:15], v[2:3]
	v_fmac_f64_e32 v[22:23], v[16:17], v[2:3]
	s_waitcnt vmcnt(0)
	v_mul_f64 v[2:3], v[8:9], -v[22:23]
	v_mul_f64 v[4:5], v[8:9], v[20:21]
	v_fmac_f64_e32 v[2:3], v[20:21], v[6:7]
	v_fmac_f64_e32 v[4:5], v[22:23], v[6:7]
.LBB219_14:
	s_or_b64 exec, exec, s[24:25]
	v_lshlrev_b32_e32 v1, 4, v0
	ds_write_b128 v1, v[2:5] offset:4096
.LBB219_15:
	s_or_b64 exec, exec, s[4:5]
	v_or_b32_e32 v1, 0x200, v0
	v_lshrrev_b32_e32 v1, s6, v1
	v_add_u32_e32 v2, s8, v1
	v_cmp_gt_u32_e32 vcc, s9, v2
	s_and_saveexec_b64 s[4:5], vcc
	s_cbranch_execz .LBB219_19
; %bb.16:
	v_mov_b32_e32 v3, 0
	v_lshlrev_b64 v[2:3], 3, v[2:3]
	v_mov_b32_e32 v1, s26
	v_add_co_u32_e32 v2, vcc, s21, v2
	v_addc_co_u32_e32 v3, vcc, v1, v3, vcc
	global_load_dwordx2 v[2:3], v[2:3], off
	v_mov_b32_e32 v1, s13
	s_waitcnt vmcnt(0)
	v_lshlrev_b64 v[2:3], 3, v[2:3]
	v_add_co_u32_e32 v2, vcc, s12, v2
	v_addc_co_u32_e32 v3, vcc, v1, v3, vcc
	global_load_dwordx4 v[6:9], v[2:3], off
	v_pk_mov_b32 v[2:3], 0, 0
	s_waitcnt vmcnt(0)
	v_sub_co_u32_e32 v4, vcc, v8, v6
	v_subb_co_u32_e32 v5, vcc, v9, v7, vcc
	v_cmp_gt_i64_e32 vcc, v[4:5], v[18:19]
	v_pk_mov_b32 v[4:5], v[2:3], v[2:3] op_sel:[0,1]
	s_and_saveexec_b64 s[24:25], vcc
	s_cbranch_execz .LBB219_18
; %bb.17:
	v_subrev_co_u32_e32 v1, vcc, s20, v6
	v_subbrev_co_u32_e32 v3, vcc, 0, v7, vcc
	v_add_co_u32_e32 v2, vcc, v1, v18
	v_addc_co_u32_e32 v3, vcc, 0, v3, vcc
	v_lshlrev_b64 v[2:3], 3, v[2:3]
	v_mov_b32_e32 v1, s15
	v_add_co_u32_e32 v4, vcc, s14, v2
	v_addc_co_u32_e32 v5, vcc, v1, v3, vcc
	global_load_dwordx2 v[4:5], v[4:5], off
	v_mov_b32_e32 v1, s17
	v_add_co_u32_e32 v2, vcc, s16, v2
	v_addc_co_u32_e32 v3, vcc, v1, v3, vcc
	global_load_dwordx2 v[2:3], v[2:3], off
	v_mov_b32_e32 v6, s19
	s_waitcnt vmcnt(1)
	v_subrev_co_u32_e32 v4, vcc, s20, v4
	v_subbrev_co_u32_e32 v5, vcc, 0, v5, vcc
	v_lshlrev_b64 v[4:5], 4, v[4:5]
	v_add_co_u32_e32 v4, vcc, s18, v4
	v_addc_co_u32_e32 v5, vcc, v6, v5, vcc
	global_load_dwordx4 v[6:9], v[4:5], off
	s_waitcnt vmcnt(1)
	v_cndmask_b32_e64 v1, v3, -v3, s[22:23]
	v_cvt_f64_f32_e32 v[4:5], v1
	v_cvt_f64_f32_e32 v[2:3], v2
	v_mul_f64 v[20:21], -v[16:17], v[4:5]
	v_mul_f64 v[22:23], v[14:15], v[4:5]
	v_fmac_f64_e32 v[20:21], v[14:15], v[2:3]
	v_fmac_f64_e32 v[22:23], v[16:17], v[2:3]
	s_waitcnt vmcnt(0)
	v_mul_f64 v[2:3], v[8:9], -v[22:23]
	v_mul_f64 v[4:5], v[8:9], v[20:21]
	v_fmac_f64_e32 v[2:3], v[20:21], v[6:7]
	v_fmac_f64_e32 v[4:5], v[22:23], v[6:7]
.LBB219_18:
	s_or_b64 exec, exec, s[24:25]
	v_lshlrev_b32_e32 v1, 4, v0
	ds_write_b128 v1, v[2:5] offset:8192
.LBB219_19:
	s_or_b64 exec, exec, s[4:5]
	v_or_b32_e32 v1, 0x300, v0
	v_lshrrev_b32_e32 v1, s6, v1
	v_add_u32_e32 v2, s8, v1
	v_cmp_gt_u32_e32 vcc, s9, v2
	s_and_saveexec_b64 s[4:5], vcc
	s_cbranch_execz .LBB219_23
; %bb.20:
	v_mov_b32_e32 v3, 0
	v_lshlrev_b64 v[2:3], 3, v[2:3]
	v_mov_b32_e32 v1, s26
	v_add_co_u32_e32 v2, vcc, s21, v2
	v_addc_co_u32_e32 v3, vcc, v1, v3, vcc
	global_load_dwordx2 v[2:3], v[2:3], off
	v_mov_b32_e32 v1, s13
	s_waitcnt vmcnt(0)
	v_lshlrev_b64 v[2:3], 3, v[2:3]
	v_add_co_u32_e32 v2, vcc, s12, v2
	v_addc_co_u32_e32 v3, vcc, v1, v3, vcc
	global_load_dwordx4 v[6:9], v[2:3], off
	v_pk_mov_b32 v[2:3], 0, 0
	s_waitcnt vmcnt(0)
	v_sub_co_u32_e32 v4, vcc, v8, v6
	v_subb_co_u32_e32 v5, vcc, v9, v7, vcc
	v_cmp_gt_i64_e32 vcc, v[4:5], v[18:19]
	v_pk_mov_b32 v[4:5], v[2:3], v[2:3] op_sel:[0,1]
	s_and_saveexec_b64 s[12:13], vcc
	s_cbranch_execz .LBB219_22
; %bb.21:
	v_subrev_co_u32_e32 v1, vcc, s20, v6
	v_subbrev_co_u32_e32 v3, vcc, 0, v7, vcc
	v_add_co_u32_e32 v2, vcc, v1, v18
	v_addc_co_u32_e32 v3, vcc, 0, v3, vcc
	v_lshlrev_b64 v[2:3], 3, v[2:3]
	v_mov_b32_e32 v1, s15
	v_add_co_u32_e32 v4, vcc, s14, v2
	v_addc_co_u32_e32 v5, vcc, v1, v3, vcc
	global_load_dwordx2 v[4:5], v[4:5], off
	v_mov_b32_e32 v1, s17
	v_add_co_u32_e32 v2, vcc, s16, v2
	v_addc_co_u32_e32 v3, vcc, v1, v3, vcc
	global_load_dwordx2 v[2:3], v[2:3], off
	v_mov_b32_e32 v6, s19
	s_waitcnt vmcnt(1)
	v_subrev_co_u32_e32 v4, vcc, s20, v4
	v_subbrev_co_u32_e32 v5, vcc, 0, v5, vcc
	v_lshlrev_b64 v[4:5], 4, v[4:5]
	v_add_co_u32_e32 v4, vcc, s18, v4
	v_addc_co_u32_e32 v5, vcc, v6, v5, vcc
	global_load_dwordx4 v[6:9], v[4:5], off
	s_waitcnt vmcnt(1)
	v_cndmask_b32_e64 v1, v3, -v3, s[22:23]
	v_cvt_f64_f32_e32 v[4:5], v1
	v_cvt_f64_f32_e32 v[2:3], v2
	v_mul_f64 v[18:19], -v[16:17], v[4:5]
	v_mul_f64 v[20:21], v[14:15], v[4:5]
	v_fmac_f64_e32 v[18:19], v[14:15], v[2:3]
	v_fmac_f64_e32 v[20:21], v[16:17], v[2:3]
	s_waitcnt vmcnt(0)
	v_mul_f64 v[2:3], v[8:9], -v[20:21]
	v_mul_f64 v[4:5], v[8:9], v[18:19]
	v_fmac_f64_e32 v[2:3], v[18:19], v[6:7]
	v_fmac_f64_e32 v[4:5], v[20:21], v[6:7]
.LBB219_22:
	s_or_b64 exec, exec, s[12:13]
	v_lshlrev_b32_e32 v1, 4, v0
	ds_write_b128 v1, v[2:5] offset:12288
.LBB219_23:
	s_or_b64 exec, exec, s[4:5]
	s_cmp_lt_u32 s6, 11
	s_waitcnt lgkmcnt(0)
	s_barrier
	s_cbranch_scc0 .LBB219_32
; %bb.24:
	s_sub_i32 s16, s9, s8
	s_mov_b32 s9, 0
	s_lshl_b64 s[4:5], s[8:9], 3
	s_add_u32 s8, s21, s4
	s_addc_u32 s17, s26, s5
	v_cmp_neq_f64_e32 vcc, 0, v[10:11]
	v_cmp_neq_f64_e64 s[4:5], 0, v[12:13]
	s_or_b64 s[4:5], vcc, s[4:5]
	v_mov_b32_e32 v7, 0
	s_branch .LBB219_27
.LBB219_25:                             ;   in Loop: Header=BB219_27 Depth=1
	s_or_b64 exec, exec, s[14:15]
	v_mov_b32_e32 v1, s11
	v_add_co_u32_e32 v8, vcc, s10, v8
	v_addc_co_u32_e32 v9, vcc, v1, v9, vcc
	global_store_dwordx4 v[8:9], v[2:5], off
.LBB219_26:                             ;   in Loop: Header=BB219_27 Depth=1
	s_or_b64 exec, exec, s[12:13]
	s_addk_i32 s9, 0x100
	s_cmp_lt_u32 s9, s7
	s_cbranch_scc0 .LBB219_32
.LBB219_27:                             ; =>This Loop Header: Depth=1
                                        ;     Child Loop BB219_29 Depth 2
	v_add_u32_e32 v6, s9, v0
	v_cmp_gt_u32_e32 vcc, s16, v6
	s_and_saveexec_b64 s[12:13], vcc
	s_cbranch_execz .LBB219_26
; %bb.28:                               ;   in Loop: Header=BB219_27 Depth=1
	v_lshlrev_b64 v[2:3], 3, v[6:7]
	v_mov_b32_e32 v1, s17
	v_add_co_u32_e32 v2, vcc, s8, v2
	v_addc_co_u32_e32 v3, vcc, v1, v3, vcc
	global_load_dwordx2 v[8:9], v[2:3], off
	v_lshlrev_b32_e32 v1, s6, v6
	v_pk_mov_b32 v[4:5], 0, 0
	v_lshlrev_b32_e32 v1, 4, v1
	s_mov_b32 s14, 1
	v_pk_mov_b32 v[2:3], v[4:5], v[4:5] op_sel:[0,1]
.LBB219_29:                             ;   Parent Loop BB219_27 Depth=1
                                        ; =>  This Inner Loop Header: Depth=2
	ds_read_b128 v[14:17], v1
	s_lshr_b32 s15, s14, s6
	s_add_i32 s14, s14, 1
	v_add_u32_e32 v1, 16, v1
	s_cmp_lg_u32 s15, 0
	s_waitcnt lgkmcnt(0)
	v_add_f64 v[2:3], v[2:3], v[14:15]
	v_add_f64 v[4:5], v[4:5], v[16:17]
	s_cbranch_scc0 .LBB219_29
; %bb.30:                               ;   in Loop: Header=BB219_27 Depth=1
	s_waitcnt vmcnt(0)
	v_lshlrev_b64 v[8:9], 4, v[8:9]
	s_and_saveexec_b64 s[14:15], s[4:5]
	s_cbranch_execz .LBB219_25
; %bb.31:                               ;   in Loop: Header=BB219_27 Depth=1
	v_mov_b32_e32 v1, s11
	v_add_co_u32_e32 v14, vcc, s10, v8
	v_addc_co_u32_e32 v15, vcc, v1, v9, vcc
	global_load_dwordx4 v[14:17], v[14:15], off
	s_waitcnt vmcnt(0)
	v_fmac_f64_e32 v[2:3], v[10:11], v[14:15]
	v_fmac_f64_e32 v[4:5], v[12:13], v[14:15]
	v_fma_f64 v[2:3], -v[12:13], v[16:17], v[2:3]
	v_fmac_f64_e32 v[4:5], v[10:11], v[16:17]
	s_branch .LBB219_25
.LBB219_32:
	s_endpgm
	.section	.rodata,"a",@progbits
	.p2align	6, 0x0
	.amdhsa_kernel _ZN9rocsparseL30csrmvn_lrb_short_rows_2_kernelIll21rocsparse_complex_numIfES1_IdES3_S3_EEvbT_PT0_S6_jNS_24const_host_device_scalarIT4_EEPKS4_PKS5_PKT1_PKT2_S9_PT3_21rocsparse_index_base_b
		.amdhsa_group_segment_fixed_size 16384
		.amdhsa_private_segment_fixed_size 24
		.amdhsa_kernarg_size 120
		.amdhsa_user_sgpr_count 8
		.amdhsa_user_sgpr_private_segment_buffer 1
		.amdhsa_user_sgpr_dispatch_ptr 0
		.amdhsa_user_sgpr_queue_ptr 0
		.amdhsa_user_sgpr_kernarg_segment_ptr 1
		.amdhsa_user_sgpr_dispatch_id 0
		.amdhsa_user_sgpr_flat_scratch_init 1
		.amdhsa_user_sgpr_kernarg_preload_length 0
		.amdhsa_user_sgpr_kernarg_preload_offset 0
		.amdhsa_user_sgpr_private_segment_size 0
		.amdhsa_uses_dynamic_stack 0
		.amdhsa_system_sgpr_private_segment_wavefront_offset 1
		.amdhsa_system_sgpr_workgroup_id_x 1
		.amdhsa_system_sgpr_workgroup_id_y 0
		.amdhsa_system_sgpr_workgroup_id_z 0
		.amdhsa_system_sgpr_workgroup_info 0
		.amdhsa_system_vgpr_workitem_id 0
		.amdhsa_next_free_vgpr 24
		.amdhsa_next_free_sgpr 32
		.amdhsa_accum_offset 24
		.amdhsa_reserve_vcc 1
		.amdhsa_reserve_flat_scratch 1
		.amdhsa_float_round_mode_32 0
		.amdhsa_float_round_mode_16_64 0
		.amdhsa_float_denorm_mode_32 3
		.amdhsa_float_denorm_mode_16_64 3
		.amdhsa_dx10_clamp 1
		.amdhsa_ieee_mode 1
		.amdhsa_fp16_overflow 0
		.amdhsa_tg_split 0
		.amdhsa_exception_fp_ieee_invalid_op 0
		.amdhsa_exception_fp_denorm_src 0
		.amdhsa_exception_fp_ieee_div_zero 0
		.amdhsa_exception_fp_ieee_overflow 0
		.amdhsa_exception_fp_ieee_underflow 0
		.amdhsa_exception_fp_ieee_inexact 0
		.amdhsa_exception_int_div_zero 0
	.end_amdhsa_kernel
	.section	.text._ZN9rocsparseL30csrmvn_lrb_short_rows_2_kernelIll21rocsparse_complex_numIfES1_IdES3_S3_EEvbT_PT0_S6_jNS_24const_host_device_scalarIT4_EEPKS4_PKS5_PKT1_PKT2_S9_PT3_21rocsparse_index_base_b,"axG",@progbits,_ZN9rocsparseL30csrmvn_lrb_short_rows_2_kernelIll21rocsparse_complex_numIfES1_IdES3_S3_EEvbT_PT0_S6_jNS_24const_host_device_scalarIT4_EEPKS4_PKS5_PKT1_PKT2_S9_PT3_21rocsparse_index_base_b,comdat
.Lfunc_end219:
	.size	_ZN9rocsparseL30csrmvn_lrb_short_rows_2_kernelIll21rocsparse_complex_numIfES1_IdES3_S3_EEvbT_PT0_S6_jNS_24const_host_device_scalarIT4_EEPKS4_PKS5_PKT1_PKT2_S9_PT3_21rocsparse_index_base_b, .Lfunc_end219-_ZN9rocsparseL30csrmvn_lrb_short_rows_2_kernelIll21rocsparse_complex_numIfES1_IdES3_S3_EEvbT_PT0_S6_jNS_24const_host_device_scalarIT4_EEPKS4_PKS5_PKT1_PKT2_S9_PT3_21rocsparse_index_base_b
                                        ; -- End function
	.section	.AMDGPU.csdata,"",@progbits
; Kernel info:
; codeLenInByte = 2048
; NumSgprs: 38
; NumVgprs: 24
; NumAgprs: 0
; TotalNumVgprs: 24
; ScratchSize: 24
; MemoryBound: 0
; FloatMode: 240
; IeeeMode: 1
; LDSByteSize: 16384 bytes/workgroup (compile time only)
; SGPRBlocks: 4
; VGPRBlocks: 2
; NumSGPRsForWavesPerEU: 38
; NumVGPRsForWavesPerEU: 24
; AccumOffset: 24
; Occupancy: 4
; WaveLimiterHint : 1
; COMPUTE_PGM_RSRC2:SCRATCH_EN: 1
; COMPUTE_PGM_RSRC2:USER_SGPR: 8
; COMPUTE_PGM_RSRC2:TRAP_HANDLER: 0
; COMPUTE_PGM_RSRC2:TGID_X_EN: 1
; COMPUTE_PGM_RSRC2:TGID_Y_EN: 0
; COMPUTE_PGM_RSRC2:TGID_Z_EN: 0
; COMPUTE_PGM_RSRC2:TIDIG_COMP_CNT: 0
; COMPUTE_PGM_RSRC3_GFX90A:ACCUM_OFFSET: 5
; COMPUTE_PGM_RSRC3_GFX90A:TG_SPLIT: 0
	.section	.text._ZN9rocsparseL41csrmvn_lrb_medium_rows_warp_reduce_kernelILj256ELj32Ell21rocsparse_complex_numIfES1_IdES3_S3_EEvbT1_lPT2_S6_jNS_24const_host_device_scalarIT6_EEPKS4_PKS5_PKT3_PKT4_S9_PT5_21rocsparse_index_base_b,"axG",@progbits,_ZN9rocsparseL41csrmvn_lrb_medium_rows_warp_reduce_kernelILj256ELj32Ell21rocsparse_complex_numIfES1_IdES3_S3_EEvbT1_lPT2_S6_jNS_24const_host_device_scalarIT6_EEPKS4_PKS5_PKT3_PKT4_S9_PT5_21rocsparse_index_base_b,comdat
	.globl	_ZN9rocsparseL41csrmvn_lrb_medium_rows_warp_reduce_kernelILj256ELj32Ell21rocsparse_complex_numIfES1_IdES3_S3_EEvbT1_lPT2_S6_jNS_24const_host_device_scalarIT6_EEPKS4_PKS5_PKT3_PKT4_S9_PT5_21rocsparse_index_base_b ; -- Begin function _ZN9rocsparseL41csrmvn_lrb_medium_rows_warp_reduce_kernelILj256ELj32Ell21rocsparse_complex_numIfES1_IdES3_S3_EEvbT1_lPT2_S6_jNS_24const_host_device_scalarIT6_EEPKS4_PKS5_PKT3_PKT4_S9_PT5_21rocsparse_index_base_b
	.p2align	8
	.type	_ZN9rocsparseL41csrmvn_lrb_medium_rows_warp_reduce_kernelILj256ELj32Ell21rocsparse_complex_numIfES1_IdES3_S3_EEvbT1_lPT2_S6_jNS_24const_host_device_scalarIT6_EEPKS4_PKS5_PKT3_PKT4_S9_PT5_21rocsparse_index_base_b,@function
_ZN9rocsparseL41csrmvn_lrb_medium_rows_warp_reduce_kernelILj256ELj32Ell21rocsparse_complex_numIfES1_IdES3_S3_EEvbT1_lPT2_S6_jNS_24const_host_device_scalarIT6_EEPKS4_PKS5_PKT3_PKT4_S9_PT5_21rocsparse_index_base_b: ; @_ZN9rocsparseL41csrmvn_lrb_medium_rows_warp_reduce_kernelILj256ELj32Ell21rocsparse_complex_numIfES1_IdES3_S3_EEvbT1_lPT2_S6_jNS_24const_host_device_scalarIT6_EEPKS4_PKS5_PKT3_PKT4_S9_PT5_21rocsparse_index_base_b
; %bb.0:
	s_load_dwordx2 s[2:3], s[6:7], 0x78
	s_load_dwordx4 s[12:15], s[6:7], 0x30
	s_load_dwordx2 s[20:21], s[4:5], 0x4
	s_load_dwordx4 s[16:19], s[6:7], 0x60
	s_mov_b64 s[10:11], src_shared_base
	v_and_b32_e32 v10, 0x3ff, v0
	s_waitcnt lgkmcnt(0)
	s_bitcmp1_b32 s3, 0
	s_cselect_b64 s[0:1], -1, 0
	s_and_b64 vcc, s[0:1], exec
	s_cselect_b32 s3, s11, s13
	s_lshr_b32 s4, s20, 16
	s_mul_i32 s4, s4, s21
	v_mul_lo_u32 v1, s4, v10
	v_bfe_u32 v2, v0, 10, 10
	v_mad_u32_u24 v1, v2, s21, v1
	v_bfe_u32 v0, v0, 20, 10
	v_add_lshl_u32 v4, v1, v0, 3
	v_mov_b32_e32 v5, s12
	v_add_u32_e32 v6, 0x800, v4
	v_pk_mov_b32 v[0:1], s[12:13], s[12:13] op_sel:[0,1]
	v_pk_mov_b32 v[2:3], s[16:17], s[16:17] op_sel:[0,1]
	ds_write2st64_b64 v4, v[2:3], v[0:1] offset1:4
	v_cndmask_b32_e64 v0, v5, v6, s[0:1]
	v_mov_b32_e32 v1, s3
	flat_load_dwordx2 v[0:1], v[0:1]
	s_xor_b64 s[4:5], s[0:1], -1
	v_pk_mov_b32 v[2:3], s[14:15], s[14:15] op_sel:[0,1]
	s_cbranch_vccnz .LBB220_2
; %bb.1:
	v_pk_mov_b32 v[2:3], s[12:13], s[12:13] op_sel:[0,1]
	flat_load_dwordx2 v[2:3], v[2:3] offset:8
.LBB220_2:
	s_and_b64 s[12:13], s[0:1], exec
	s_cselect_b32 s3, s11, s17
	v_mov_b32_e32 v5, s16
	v_cndmask_b32_e64 v4, v5, v4, s[0:1]
	v_mov_b32_e32 v5, s3
	flat_load_dwordx2 v[4:5], v[4:5]
	s_andn2_b64 vcc, exec, s[4:5]
	v_pk_mov_b32 v[6:7], s[18:19], s[18:19] op_sel:[0,1]
	s_cbranch_vccnz .LBB220_4
; %bb.3:
	v_pk_mov_b32 v[6:7], s[16:17], s[16:17] op_sel:[0,1]
	flat_load_dwordx2 v[6:7], v[6:7] offset:8
.LBB220_4:
	s_waitcnt vmcnt(0) lgkmcnt(0)
	v_cmp_eq_f64_e32 vcc, 0, v[0:1]
	v_cmp_eq_f64_e64 s[0:1], 0, v[2:3]
	s_and_b64 s[10:11], vcc, s[0:1]
	s_mov_b64 s[0:1], -1
	s_and_saveexec_b64 s[4:5], s[10:11]
; %bb.5:
	v_cmp_neq_f64_e32 vcc, 1.0, v[4:5]
	v_cmp_neq_f64_e64 s[0:1], 0, v[6:7]
	s_or_b64 s[0:1], vcc, s[0:1]
	s_orn2_b64 s[0:1], s[0:1], exec
; %bb.6:
	s_or_b64 exec, exec, s[4:5]
	s_and_saveexec_b64 s[4:5], s[0:1]
	s_cbranch_execz .LBB220_16
; %bb.7:
	s_load_dwordx2 s[0:1], s[6:7], 0x10
	v_lshrrev_b32_e32 v8, 5, v10
	v_lshl_or_b32 v8, s8, 3, v8
	v_ashrrev_i32_e32 v9, 31, v8
	s_waitcnt lgkmcnt(0)
	v_cmp_gt_i64_e32 vcc, s[0:1], v[8:9]
	s_and_b64 exec, exec, vcc
	s_cbranch_execz .LBB220_16
; %bb.8:
	s_load_dword s0, s[6:7], 0x28
	s_load_dwordx4 s[8:11], s[6:7], 0x18
	s_mov_b32 s1, 0
	v_lshlrev_b64 v[8:9], 3, v[8:9]
	v_and_b32_e32 v22, 31, v10
	s_waitcnt lgkmcnt(0)
	s_lshl_b64 s[4:5], s[0:1], 3
	s_add_u32 s4, s10, s4
	s_addc_u32 s5, s11, s5
	s_load_dwordx2 s[4:5], s[4:5], 0x0
	s_waitcnt lgkmcnt(0)
	s_lshl_b64 s[4:5], s[4:5], 3
	s_add_u32 s0, s8, s4
	s_addc_u32 s3, s9, s5
	v_mov_b32_e32 v11, s3
	v_add_co_u32_e32 v8, vcc, s0, v8
	v_addc_co_u32_e32 v9, vcc, v11, v9, vcc
	global_load_dwordx2 v[8:9], v[8:9], off
	s_load_dwordx2 s[4:5], s[6:7], 0x40
	s_waitcnt lgkmcnt(0)
	v_mov_b32_e32 v11, s5
	s_waitcnt vmcnt(0)
	v_lshlrev_b64 v[12:13], 3, v[8:9]
	v_add_co_u32_e32 v12, vcc, s4, v12
	v_addc_co_u32_e32 v13, vcc, v11, v13, vcc
	global_load_dwordx4 v[14:17], v[12:13], off
	v_subrev_co_u32_e32 v18, vcc, s2, v22
	s_load_dwordx2 s[4:5], s[6:7], 0x70
	v_subb_co_u32_e64 v19, s[8:9], 0, 0, vcc
	v_pk_mov_b32 v[10:11], 0, 0
	s_waitcnt vmcnt(0)
	v_subrev_co_u32_e32 v12, vcc, s2, v16
	v_subbrev_co_u32_e32 v13, vcc, 0, v17, vcc
	v_add_co_u32_e32 v14, vcc, v14, v18
	v_addc_co_u32_e32 v15, vcc, v15, v19, vcc
	v_cmp_lt_i64_e32 vcc, v[14:15], v[12:13]
	v_pk_mov_b32 v[16:17], v[10:11], v[10:11] op_sel:[0,1]
	s_and_saveexec_b64 s[8:9], vcc
	s_cbranch_execz .LBB220_12
; %bb.9:
	s_mov_b32 s0, s1
	s_load_dword s1, s[6:7], 0x0
	s_load_dwordx4 s[12:15], s[6:7], 0x48
	s_load_dwordx2 s[10:11], s[6:7], 0x58
	v_lshlrev_b64 v[10:11], 3, v[14:15]
	v_mov_b32_e32 v23, s0
	s_waitcnt lgkmcnt(0)
	s_bitcmp1_b32 s1, 0
	v_mov_b32_e32 v16, s15
	v_add_co_u32_e32 v17, vcc, s14, v10
	v_addc_co_u32_e32 v16, vcc, v11, v16, vcc
	v_add_co_u32_e32 v18, vcc, 4, v17
	v_addc_co_u32_e32 v19, vcc, 0, v16, vcc
	v_mov_b32_e32 v16, s13
	v_add_co_u32_e32 v20, vcc, s12, v10
	v_addc_co_u32_e32 v21, vcc, v16, v11, vcc
	v_pk_mov_b32 v[10:11], 0, 0
	s_cselect_b64 s[6:7], -1, 0
	s_mov_b64 s[12:13], 0
	v_mov_b32_e32 v24, s11
	v_pk_mov_b32 v[16:17], v[10:11], v[10:11] op_sel:[0,1]
.LBB220_10:                             ; =>This Inner Loop Header: Depth=1
	global_load_dwordx2 v[26:27], v[20:21], off
	global_load_dwordx2 v[30:31], v[18:19], off offset:-4
	s_waitcnt vmcnt(1)
	v_subrev_co_u32_e32 v26, vcc, s2, v26
	v_subb_co_u32_e32 v27, vcc, v27, v23, vcc
	v_lshlrev_b64 v[26:27], 4, v[26:27]
	v_add_co_u32_e32 v26, vcc, s10, v26
	v_addc_co_u32_e32 v27, vcc, v24, v27, vcc
	global_load_dwordx4 v[26:29], v[26:27], off
	v_add_co_u32_e32 v14, vcc, 32, v14
	s_waitcnt vmcnt(1)
	v_cndmask_b32_e64 v25, v31, -v31, s[6:7]
	v_addc_co_u32_e32 v15, vcc, 0, v15, vcc
	v_cvt_f64_f32_e32 v[32:33], v25
	v_add_co_u32_e32 v18, vcc, 0x100, v18
	v_cvt_f64_f32_e32 v[30:31], v30
	v_mul_f64 v[34:35], -v[2:3], v[32:33]
	v_mul_f64 v[32:33], v[0:1], v[32:33]
	v_addc_co_u32_e32 v19, vcc, 0, v19, vcc
	v_fmac_f64_e32 v[34:35], v[0:1], v[30:31]
	v_fmac_f64_e32 v[32:33], v[2:3], v[30:31]
	v_add_co_u32_e32 v20, vcc, 0x100, v20
	v_cmp_ge_i64_e64 s[0:1], v[14:15], v[12:13]
	v_addc_co_u32_e32 v21, vcc, 0, v21, vcc
	s_or_b64 s[12:13], s[0:1], s[12:13]
	s_waitcnt vmcnt(0)
	v_fmac_f64_e32 v[16:17], v[34:35], v[26:27]
	v_fmac_f64_e32 v[10:11], v[32:33], v[26:27]
	v_fma_f64 v[16:17], -v[32:33], v[28:29], v[16:17]
	v_fmac_f64_e32 v[10:11], v[34:35], v[28:29]
	s_andn2_b64 exec, exec, s[12:13]
	s_cbranch_execnz .LBB220_10
; %bb.11:
	s_or_b64 exec, exec, s[12:13]
.LBB220_12:
	s_or_b64 exec, exec, s[8:9]
	v_mov_b32_dpp v0, v16 row_shr:1 row_mask:0xf bank_mask:0xf
	v_mov_b32_dpp v1, v17 row_shr:1 row_mask:0xf bank_mask:0xf
	v_mov_b32_dpp v12, v10 row_shr:1 row_mask:0xf bank_mask:0xf
	v_mov_b32_dpp v13, v11 row_shr:1 row_mask:0xf bank_mask:0xf
	v_add_f64 v[0:1], v[16:17], v[0:1]
	v_add_f64 v[10:11], v[10:11], v[12:13]
	v_cmp_eq_u32_e32 vcc, 31, v22
	v_mov_b32_dpp v2, v0 row_shr:2 row_mask:0xf bank_mask:0xf
	v_mov_b32_dpp v3, v1 row_shr:2 row_mask:0xf bank_mask:0xf
	v_mov_b32_dpp v12, v10 row_shr:2 row_mask:0xf bank_mask:0xf
	v_mov_b32_dpp v13, v11 row_shr:2 row_mask:0xf bank_mask:0xf
	v_add_f64 v[0:1], v[0:1], v[2:3]
	v_add_f64 v[10:11], v[10:11], v[12:13]
	s_nop 0
	v_mov_b32_dpp v2, v0 row_shr:4 row_mask:0xf bank_mask:0xe
	v_mov_b32_dpp v3, v1 row_shr:4 row_mask:0xf bank_mask:0xe
	v_mov_b32_dpp v12, v10 row_shr:4 row_mask:0xf bank_mask:0xe
	v_mov_b32_dpp v13, v11 row_shr:4 row_mask:0xf bank_mask:0xe
	v_add_f64 v[0:1], v[0:1], v[2:3]
	v_add_f64 v[10:11], v[10:11], v[12:13]
	s_nop 0
	;; [unrolled: 7-line block ×3, first 2 shown]
	v_mov_b32_dpp v2, v0 row_bcast:15 row_mask:0xa bank_mask:0xf
	v_mov_b32_dpp v3, v1 row_bcast:15 row_mask:0xa bank_mask:0xf
	;; [unrolled: 1-line block ×4, first 2 shown]
	s_and_b64 exec, exec, vcc
	s_cbranch_execz .LBB220_16
; %bb.13:
	v_cmp_neq_f64_e32 vcc, 0, v[4:5]
	v_cmp_neq_f64_e64 s[0:1], 0, v[6:7]
	v_add_f64 v[0:1], v[0:1], v[2:3]
	v_add_f64 v[2:3], v[10:11], v[12:13]
	s_or_b64 s[2:3], vcc, s[0:1]
	v_lshlrev_b64 v[8:9], 4, v[8:9]
	s_and_saveexec_b64 s[0:1], s[2:3]
	s_cbranch_execz .LBB220_15
; %bb.14:
	s_waitcnt lgkmcnt(0)
	v_mov_b32_e32 v11, s5
	v_add_co_u32_e32 v10, vcc, s4, v8
	v_addc_co_u32_e32 v11, vcc, v11, v9, vcc
	global_load_dwordx4 v[10:13], v[10:11], off
	s_waitcnt vmcnt(0)
	v_fmac_f64_e32 v[0:1], v[4:5], v[10:11]
	v_fmac_f64_e32 v[2:3], v[6:7], v[10:11]
	v_fma_f64 v[0:1], -v[6:7], v[12:13], v[0:1]
	v_fmac_f64_e32 v[2:3], v[4:5], v[12:13]
.LBB220_15:
	s_or_b64 exec, exec, s[0:1]
	s_waitcnt lgkmcnt(0)
	v_mov_b32_e32 v5, s5
	v_add_co_u32_e32 v4, vcc, s4, v8
	v_addc_co_u32_e32 v5, vcc, v5, v9, vcc
	global_store_dwordx4 v[4:5], v[0:3], off
.LBB220_16:
	s_endpgm
	.section	.rodata,"a",@progbits
	.p2align	6, 0x0
	.amdhsa_kernel _ZN9rocsparseL41csrmvn_lrb_medium_rows_warp_reduce_kernelILj256ELj32Ell21rocsparse_complex_numIfES1_IdES3_S3_EEvbT1_lPT2_S6_jNS_24const_host_device_scalarIT6_EEPKS4_PKS5_PKT3_PKT4_S9_PT5_21rocsparse_index_base_b
		.amdhsa_group_segment_fixed_size 4096
		.amdhsa_private_segment_fixed_size 0
		.amdhsa_kernarg_size 128
		.amdhsa_user_sgpr_count 8
		.amdhsa_user_sgpr_private_segment_buffer 1
		.amdhsa_user_sgpr_dispatch_ptr 1
		.amdhsa_user_sgpr_queue_ptr 0
		.amdhsa_user_sgpr_kernarg_segment_ptr 1
		.amdhsa_user_sgpr_dispatch_id 0
		.amdhsa_user_sgpr_flat_scratch_init 0
		.amdhsa_user_sgpr_kernarg_preload_length 0
		.amdhsa_user_sgpr_kernarg_preload_offset 0
		.amdhsa_user_sgpr_private_segment_size 0
		.amdhsa_uses_dynamic_stack 0
		.amdhsa_system_sgpr_private_segment_wavefront_offset 0
		.amdhsa_system_sgpr_workgroup_id_x 1
		.amdhsa_system_sgpr_workgroup_id_y 0
		.amdhsa_system_sgpr_workgroup_id_z 0
		.amdhsa_system_sgpr_workgroup_info 0
		.amdhsa_system_vgpr_workitem_id 2
		.amdhsa_next_free_vgpr 36
		.amdhsa_next_free_sgpr 22
		.amdhsa_accum_offset 36
		.amdhsa_reserve_vcc 1
		.amdhsa_reserve_flat_scratch 0
		.amdhsa_float_round_mode_32 0
		.amdhsa_float_round_mode_16_64 0
		.amdhsa_float_denorm_mode_32 3
		.amdhsa_float_denorm_mode_16_64 3
		.amdhsa_dx10_clamp 1
		.amdhsa_ieee_mode 1
		.amdhsa_fp16_overflow 0
		.amdhsa_tg_split 0
		.amdhsa_exception_fp_ieee_invalid_op 0
		.amdhsa_exception_fp_denorm_src 0
		.amdhsa_exception_fp_ieee_div_zero 0
		.amdhsa_exception_fp_ieee_overflow 0
		.amdhsa_exception_fp_ieee_underflow 0
		.amdhsa_exception_fp_ieee_inexact 0
		.amdhsa_exception_int_div_zero 0
	.end_amdhsa_kernel
	.section	.text._ZN9rocsparseL41csrmvn_lrb_medium_rows_warp_reduce_kernelILj256ELj32Ell21rocsparse_complex_numIfES1_IdES3_S3_EEvbT1_lPT2_S6_jNS_24const_host_device_scalarIT6_EEPKS4_PKS5_PKT3_PKT4_S9_PT5_21rocsparse_index_base_b,"axG",@progbits,_ZN9rocsparseL41csrmvn_lrb_medium_rows_warp_reduce_kernelILj256ELj32Ell21rocsparse_complex_numIfES1_IdES3_S3_EEvbT1_lPT2_S6_jNS_24const_host_device_scalarIT6_EEPKS4_PKS5_PKT3_PKT4_S9_PT5_21rocsparse_index_base_b,comdat
.Lfunc_end220:
	.size	_ZN9rocsparseL41csrmvn_lrb_medium_rows_warp_reduce_kernelILj256ELj32Ell21rocsparse_complex_numIfES1_IdES3_S3_EEvbT1_lPT2_S6_jNS_24const_host_device_scalarIT6_EEPKS4_PKS5_PKT3_PKT4_S9_PT5_21rocsparse_index_base_b, .Lfunc_end220-_ZN9rocsparseL41csrmvn_lrb_medium_rows_warp_reduce_kernelILj256ELj32Ell21rocsparse_complex_numIfES1_IdES3_S3_EEvbT1_lPT2_S6_jNS_24const_host_device_scalarIT6_EEPKS4_PKS5_PKT3_PKT4_S9_PT5_21rocsparse_index_base_b
                                        ; -- End function
	.section	.AMDGPU.csdata,"",@progbits
; Kernel info:
; codeLenInByte = 1232
; NumSgprs: 26
; NumVgprs: 36
; NumAgprs: 0
; TotalNumVgprs: 36
; ScratchSize: 0
; MemoryBound: 0
; FloatMode: 240
; IeeeMode: 1
; LDSByteSize: 4096 bytes/workgroup (compile time only)
; SGPRBlocks: 3
; VGPRBlocks: 4
; NumSGPRsForWavesPerEU: 26
; NumVGPRsForWavesPerEU: 36
; AccumOffset: 36
; Occupancy: 8
; WaveLimiterHint : 1
; COMPUTE_PGM_RSRC2:SCRATCH_EN: 0
; COMPUTE_PGM_RSRC2:USER_SGPR: 8
; COMPUTE_PGM_RSRC2:TRAP_HANDLER: 0
; COMPUTE_PGM_RSRC2:TGID_X_EN: 1
; COMPUTE_PGM_RSRC2:TGID_Y_EN: 0
; COMPUTE_PGM_RSRC2:TGID_Z_EN: 0
; COMPUTE_PGM_RSRC2:TIDIG_COMP_CNT: 2
; COMPUTE_PGM_RSRC3_GFX90A:ACCUM_OFFSET: 8
; COMPUTE_PGM_RSRC3_GFX90A:TG_SPLIT: 0
	.section	.text._ZN9rocsparseL41csrmvn_lrb_medium_rows_warp_reduce_kernelILj256ELj64Ell21rocsparse_complex_numIfES1_IdES3_S3_EEvbT1_lPT2_S6_jNS_24const_host_device_scalarIT6_EEPKS4_PKS5_PKT3_PKT4_S9_PT5_21rocsparse_index_base_b,"axG",@progbits,_ZN9rocsparseL41csrmvn_lrb_medium_rows_warp_reduce_kernelILj256ELj64Ell21rocsparse_complex_numIfES1_IdES3_S3_EEvbT1_lPT2_S6_jNS_24const_host_device_scalarIT6_EEPKS4_PKS5_PKT3_PKT4_S9_PT5_21rocsparse_index_base_b,comdat
	.globl	_ZN9rocsparseL41csrmvn_lrb_medium_rows_warp_reduce_kernelILj256ELj64Ell21rocsparse_complex_numIfES1_IdES3_S3_EEvbT1_lPT2_S6_jNS_24const_host_device_scalarIT6_EEPKS4_PKS5_PKT3_PKT4_S9_PT5_21rocsparse_index_base_b ; -- Begin function _ZN9rocsparseL41csrmvn_lrb_medium_rows_warp_reduce_kernelILj256ELj64Ell21rocsparse_complex_numIfES1_IdES3_S3_EEvbT1_lPT2_S6_jNS_24const_host_device_scalarIT6_EEPKS4_PKS5_PKT3_PKT4_S9_PT5_21rocsparse_index_base_b
	.p2align	8
	.type	_ZN9rocsparseL41csrmvn_lrb_medium_rows_warp_reduce_kernelILj256ELj64Ell21rocsparse_complex_numIfES1_IdES3_S3_EEvbT1_lPT2_S6_jNS_24const_host_device_scalarIT6_EEPKS4_PKS5_PKT3_PKT4_S9_PT5_21rocsparse_index_base_b,@function
_ZN9rocsparseL41csrmvn_lrb_medium_rows_warp_reduce_kernelILj256ELj64Ell21rocsparse_complex_numIfES1_IdES3_S3_EEvbT1_lPT2_S6_jNS_24const_host_device_scalarIT6_EEPKS4_PKS5_PKT3_PKT4_S9_PT5_21rocsparse_index_base_b: ; @_ZN9rocsparseL41csrmvn_lrb_medium_rows_warp_reduce_kernelILj256ELj64Ell21rocsparse_complex_numIfES1_IdES3_S3_EEvbT1_lPT2_S6_jNS_24const_host_device_scalarIT6_EEPKS4_PKS5_PKT3_PKT4_S9_PT5_21rocsparse_index_base_b
; %bb.0:
	s_load_dwordx2 s[2:3], s[6:7], 0x78
	s_load_dwordx4 s[12:15], s[6:7], 0x30
	s_load_dwordx2 s[20:21], s[4:5], 0x4
	s_load_dwordx4 s[16:19], s[6:7], 0x60
	s_mov_b64 s[10:11], src_shared_base
	v_and_b32_e32 v10, 0x3ff, v0
	s_waitcnt lgkmcnt(0)
	s_bitcmp1_b32 s3, 0
	s_cselect_b64 s[0:1], -1, 0
	s_and_b64 vcc, s[0:1], exec
	s_cselect_b32 s3, s11, s13
	s_lshr_b32 s4, s20, 16
	s_mul_i32 s4, s4, s21
	v_mul_lo_u32 v1, s4, v10
	v_bfe_u32 v2, v0, 10, 10
	v_mad_u32_u24 v1, v2, s21, v1
	v_bfe_u32 v0, v0, 20, 10
	v_add_lshl_u32 v4, v1, v0, 3
	v_mov_b32_e32 v5, s12
	v_add_u32_e32 v6, 0x800, v4
	v_pk_mov_b32 v[0:1], s[12:13], s[12:13] op_sel:[0,1]
	v_pk_mov_b32 v[2:3], s[16:17], s[16:17] op_sel:[0,1]
	ds_write2st64_b64 v4, v[2:3], v[0:1] offset1:4
	v_cndmask_b32_e64 v0, v5, v6, s[0:1]
	v_mov_b32_e32 v1, s3
	flat_load_dwordx2 v[0:1], v[0:1]
	s_xor_b64 s[4:5], s[0:1], -1
	v_pk_mov_b32 v[2:3], s[14:15], s[14:15] op_sel:[0,1]
	s_cbranch_vccnz .LBB221_2
; %bb.1:
	v_pk_mov_b32 v[2:3], s[12:13], s[12:13] op_sel:[0,1]
	flat_load_dwordx2 v[2:3], v[2:3] offset:8
.LBB221_2:
	s_and_b64 s[12:13], s[0:1], exec
	s_cselect_b32 s3, s11, s17
	v_mov_b32_e32 v5, s16
	v_cndmask_b32_e64 v4, v5, v4, s[0:1]
	v_mov_b32_e32 v5, s3
	flat_load_dwordx2 v[4:5], v[4:5]
	s_andn2_b64 vcc, exec, s[4:5]
	v_pk_mov_b32 v[6:7], s[18:19], s[18:19] op_sel:[0,1]
	s_cbranch_vccnz .LBB221_4
; %bb.3:
	v_pk_mov_b32 v[6:7], s[16:17], s[16:17] op_sel:[0,1]
	flat_load_dwordx2 v[6:7], v[6:7] offset:8
.LBB221_4:
	s_waitcnt vmcnt(0) lgkmcnt(0)
	v_cmp_eq_f64_e32 vcc, 0, v[0:1]
	v_cmp_eq_f64_e64 s[0:1], 0, v[2:3]
	s_and_b64 s[10:11], vcc, s[0:1]
	s_mov_b64 s[0:1], -1
	s_and_saveexec_b64 s[4:5], s[10:11]
; %bb.5:
	v_cmp_neq_f64_e32 vcc, 1.0, v[4:5]
	v_cmp_neq_f64_e64 s[0:1], 0, v[6:7]
	s_or_b64 s[0:1], vcc, s[0:1]
	s_orn2_b64 s[0:1], s[0:1], exec
; %bb.6:
	s_or_b64 exec, exec, s[4:5]
	s_and_saveexec_b64 s[4:5], s[0:1]
	s_cbranch_execz .LBB221_16
; %bb.7:
	s_load_dwordx2 s[0:1], s[6:7], 0x10
	v_lshrrev_b32_e32 v8, 6, v10
	v_lshl_or_b32 v8, s8, 2, v8
	v_ashrrev_i32_e32 v9, 31, v8
	s_waitcnt lgkmcnt(0)
	v_cmp_gt_i64_e32 vcc, s[0:1], v[8:9]
	s_and_b64 exec, exec, vcc
	s_cbranch_execz .LBB221_16
; %bb.8:
	s_load_dword s0, s[6:7], 0x28
	s_load_dwordx4 s[8:11], s[6:7], 0x18
	s_mov_b32 s1, 0
	v_lshlrev_b64 v[8:9], 3, v[8:9]
	v_and_b32_e32 v22, 63, v10
	s_waitcnt lgkmcnt(0)
	s_lshl_b64 s[4:5], s[0:1], 3
	s_add_u32 s4, s10, s4
	s_addc_u32 s5, s11, s5
	s_load_dwordx2 s[4:5], s[4:5], 0x0
	s_waitcnt lgkmcnt(0)
	s_lshl_b64 s[4:5], s[4:5], 3
	s_add_u32 s0, s8, s4
	s_addc_u32 s3, s9, s5
	v_mov_b32_e32 v11, s3
	v_add_co_u32_e32 v8, vcc, s0, v8
	v_addc_co_u32_e32 v9, vcc, v11, v9, vcc
	global_load_dwordx2 v[8:9], v[8:9], off
	s_load_dwordx2 s[4:5], s[6:7], 0x40
	s_waitcnt lgkmcnt(0)
	v_mov_b32_e32 v11, s5
	s_waitcnt vmcnt(0)
	v_lshlrev_b64 v[12:13], 3, v[8:9]
	v_add_co_u32_e32 v12, vcc, s4, v12
	v_addc_co_u32_e32 v13, vcc, v11, v13, vcc
	global_load_dwordx4 v[14:17], v[12:13], off
	v_subrev_co_u32_e32 v18, vcc, s2, v22
	s_load_dwordx2 s[4:5], s[6:7], 0x70
	v_subb_co_u32_e64 v19, s[8:9], 0, 0, vcc
	v_pk_mov_b32 v[10:11], 0, 0
	s_waitcnt vmcnt(0)
	v_subrev_co_u32_e32 v12, vcc, s2, v16
	v_subbrev_co_u32_e32 v13, vcc, 0, v17, vcc
	v_add_co_u32_e32 v14, vcc, v14, v18
	v_addc_co_u32_e32 v15, vcc, v15, v19, vcc
	v_cmp_lt_i64_e32 vcc, v[14:15], v[12:13]
	v_pk_mov_b32 v[16:17], v[10:11], v[10:11] op_sel:[0,1]
	s_and_saveexec_b64 s[8:9], vcc
	s_cbranch_execz .LBB221_12
; %bb.9:
	s_mov_b32 s0, s1
	s_load_dword s1, s[6:7], 0x0
	s_load_dwordx4 s[12:15], s[6:7], 0x48
	s_load_dwordx2 s[10:11], s[6:7], 0x58
	v_lshlrev_b64 v[10:11], 3, v[14:15]
	v_mov_b32_e32 v23, s0
	s_waitcnt lgkmcnt(0)
	s_bitcmp1_b32 s1, 0
	v_mov_b32_e32 v16, s15
	v_add_co_u32_e32 v17, vcc, s14, v10
	v_addc_co_u32_e32 v16, vcc, v11, v16, vcc
	v_add_co_u32_e32 v18, vcc, 4, v17
	v_addc_co_u32_e32 v19, vcc, 0, v16, vcc
	v_mov_b32_e32 v16, s13
	v_add_co_u32_e32 v20, vcc, s12, v10
	v_addc_co_u32_e32 v21, vcc, v16, v11, vcc
	v_pk_mov_b32 v[10:11], 0, 0
	s_cselect_b64 s[6:7], -1, 0
	s_mov_b64 s[12:13], 0
	v_mov_b32_e32 v24, s11
	v_pk_mov_b32 v[16:17], v[10:11], v[10:11] op_sel:[0,1]
.LBB221_10:                             ; =>This Inner Loop Header: Depth=1
	global_load_dwordx2 v[26:27], v[20:21], off
	global_load_dwordx2 v[30:31], v[18:19], off offset:-4
	s_waitcnt vmcnt(1)
	v_subrev_co_u32_e32 v26, vcc, s2, v26
	v_subb_co_u32_e32 v27, vcc, v27, v23, vcc
	v_lshlrev_b64 v[26:27], 4, v[26:27]
	v_add_co_u32_e32 v26, vcc, s10, v26
	v_addc_co_u32_e32 v27, vcc, v24, v27, vcc
	global_load_dwordx4 v[26:29], v[26:27], off
	v_add_co_u32_e32 v14, vcc, 64, v14
	s_waitcnt vmcnt(1)
	v_cndmask_b32_e64 v25, v31, -v31, s[6:7]
	v_addc_co_u32_e32 v15, vcc, 0, v15, vcc
	v_cvt_f64_f32_e32 v[32:33], v25
	v_add_co_u32_e32 v18, vcc, 0x200, v18
	v_cvt_f64_f32_e32 v[30:31], v30
	v_mul_f64 v[34:35], -v[2:3], v[32:33]
	v_mul_f64 v[32:33], v[0:1], v[32:33]
	v_addc_co_u32_e32 v19, vcc, 0, v19, vcc
	v_fmac_f64_e32 v[34:35], v[0:1], v[30:31]
	v_fmac_f64_e32 v[32:33], v[2:3], v[30:31]
	v_add_co_u32_e32 v20, vcc, 0x200, v20
	v_cmp_ge_i64_e64 s[0:1], v[14:15], v[12:13]
	v_addc_co_u32_e32 v21, vcc, 0, v21, vcc
	s_or_b64 s[12:13], s[0:1], s[12:13]
	s_waitcnt vmcnt(0)
	v_fmac_f64_e32 v[16:17], v[34:35], v[26:27]
	v_fmac_f64_e32 v[10:11], v[32:33], v[26:27]
	v_fma_f64 v[16:17], -v[32:33], v[28:29], v[16:17]
	v_fmac_f64_e32 v[10:11], v[34:35], v[28:29]
	s_andn2_b64 exec, exec, s[12:13]
	s_cbranch_execnz .LBB221_10
; %bb.11:
	s_or_b64 exec, exec, s[12:13]
.LBB221_12:
	s_or_b64 exec, exec, s[8:9]
	v_mov_b32_dpp v0, v16 row_shr:1 row_mask:0xf bank_mask:0xf
	v_mov_b32_dpp v1, v17 row_shr:1 row_mask:0xf bank_mask:0xf
	;; [unrolled: 1-line block ×4, first 2 shown]
	v_add_f64 v[0:1], v[16:17], v[0:1]
	v_add_f64 v[10:11], v[10:11], v[12:13]
	v_cmp_eq_u32_e32 vcc, 63, v22
	v_mov_b32_dpp v2, v0 row_shr:2 row_mask:0xf bank_mask:0xf
	v_mov_b32_dpp v3, v1 row_shr:2 row_mask:0xf bank_mask:0xf
	v_mov_b32_dpp v12, v10 row_shr:2 row_mask:0xf bank_mask:0xf
	v_mov_b32_dpp v13, v11 row_shr:2 row_mask:0xf bank_mask:0xf
	v_add_f64 v[0:1], v[0:1], v[2:3]
	v_add_f64 v[10:11], v[10:11], v[12:13]
	s_nop 0
	v_mov_b32_dpp v2, v0 row_shr:4 row_mask:0xf bank_mask:0xe
	v_mov_b32_dpp v3, v1 row_shr:4 row_mask:0xf bank_mask:0xe
	v_mov_b32_dpp v12, v10 row_shr:4 row_mask:0xf bank_mask:0xe
	v_mov_b32_dpp v13, v11 row_shr:4 row_mask:0xf bank_mask:0xe
	v_add_f64 v[0:1], v[0:1], v[2:3]
	v_add_f64 v[10:11], v[10:11], v[12:13]
	s_nop 0
	;; [unrolled: 7-line block ×3, first 2 shown]
	v_mov_b32_dpp v2, v0 row_bcast:15 row_mask:0xa bank_mask:0xf
	v_mov_b32_dpp v3, v1 row_bcast:15 row_mask:0xa bank_mask:0xf
	v_mov_b32_dpp v12, v10 row_bcast:15 row_mask:0xa bank_mask:0xf
	v_mov_b32_dpp v13, v11 row_bcast:15 row_mask:0xa bank_mask:0xf
	v_add_f64 v[0:1], v[0:1], v[2:3]
	v_add_f64 v[10:11], v[10:11], v[12:13]
	s_nop 0
	v_mov_b32_dpp v2, v0 row_bcast:31 row_mask:0xc bank_mask:0xf
	v_mov_b32_dpp v3, v1 row_bcast:31 row_mask:0xc bank_mask:0xf
	;; [unrolled: 1-line block ×4, first 2 shown]
	s_and_b64 exec, exec, vcc
	s_cbranch_execz .LBB221_16
; %bb.13:
	v_cmp_neq_f64_e32 vcc, 0, v[4:5]
	v_cmp_neq_f64_e64 s[0:1], 0, v[6:7]
	v_add_f64 v[0:1], v[0:1], v[2:3]
	v_add_f64 v[2:3], v[10:11], v[12:13]
	s_or_b64 s[2:3], vcc, s[0:1]
	v_lshlrev_b64 v[8:9], 4, v[8:9]
	s_and_saveexec_b64 s[0:1], s[2:3]
	s_cbranch_execz .LBB221_15
; %bb.14:
	s_waitcnt lgkmcnt(0)
	v_mov_b32_e32 v11, s5
	v_add_co_u32_e32 v10, vcc, s4, v8
	v_addc_co_u32_e32 v11, vcc, v11, v9, vcc
	global_load_dwordx4 v[10:13], v[10:11], off
	s_waitcnt vmcnt(0)
	v_fmac_f64_e32 v[0:1], v[4:5], v[10:11]
	v_fmac_f64_e32 v[2:3], v[6:7], v[10:11]
	v_fma_f64 v[0:1], -v[6:7], v[12:13], v[0:1]
	v_fmac_f64_e32 v[2:3], v[4:5], v[12:13]
.LBB221_15:
	s_or_b64 exec, exec, s[0:1]
	s_waitcnt lgkmcnt(0)
	v_mov_b32_e32 v5, s5
	v_add_co_u32_e32 v4, vcc, s4, v8
	v_addc_co_u32_e32 v5, vcc, v5, v9, vcc
	global_store_dwordx4 v[4:5], v[0:3], off
.LBB221_16:
	s_endpgm
	.section	.rodata,"a",@progbits
	.p2align	6, 0x0
	.amdhsa_kernel _ZN9rocsparseL41csrmvn_lrb_medium_rows_warp_reduce_kernelILj256ELj64Ell21rocsparse_complex_numIfES1_IdES3_S3_EEvbT1_lPT2_S6_jNS_24const_host_device_scalarIT6_EEPKS4_PKS5_PKT3_PKT4_S9_PT5_21rocsparse_index_base_b
		.amdhsa_group_segment_fixed_size 4096
		.amdhsa_private_segment_fixed_size 0
		.amdhsa_kernarg_size 128
		.amdhsa_user_sgpr_count 8
		.amdhsa_user_sgpr_private_segment_buffer 1
		.amdhsa_user_sgpr_dispatch_ptr 1
		.amdhsa_user_sgpr_queue_ptr 0
		.amdhsa_user_sgpr_kernarg_segment_ptr 1
		.amdhsa_user_sgpr_dispatch_id 0
		.amdhsa_user_sgpr_flat_scratch_init 0
		.amdhsa_user_sgpr_kernarg_preload_length 0
		.amdhsa_user_sgpr_kernarg_preload_offset 0
		.amdhsa_user_sgpr_private_segment_size 0
		.amdhsa_uses_dynamic_stack 0
		.amdhsa_system_sgpr_private_segment_wavefront_offset 0
		.amdhsa_system_sgpr_workgroup_id_x 1
		.amdhsa_system_sgpr_workgroup_id_y 0
		.amdhsa_system_sgpr_workgroup_id_z 0
		.amdhsa_system_sgpr_workgroup_info 0
		.amdhsa_system_vgpr_workitem_id 2
		.amdhsa_next_free_vgpr 36
		.amdhsa_next_free_sgpr 22
		.amdhsa_accum_offset 36
		.amdhsa_reserve_vcc 1
		.amdhsa_reserve_flat_scratch 0
		.amdhsa_float_round_mode_32 0
		.amdhsa_float_round_mode_16_64 0
		.amdhsa_float_denorm_mode_32 3
		.amdhsa_float_denorm_mode_16_64 3
		.amdhsa_dx10_clamp 1
		.amdhsa_ieee_mode 1
		.amdhsa_fp16_overflow 0
		.amdhsa_tg_split 0
		.amdhsa_exception_fp_ieee_invalid_op 0
		.amdhsa_exception_fp_denorm_src 0
		.amdhsa_exception_fp_ieee_div_zero 0
		.amdhsa_exception_fp_ieee_overflow 0
		.amdhsa_exception_fp_ieee_underflow 0
		.amdhsa_exception_fp_ieee_inexact 0
		.amdhsa_exception_int_div_zero 0
	.end_amdhsa_kernel
	.section	.text._ZN9rocsparseL41csrmvn_lrb_medium_rows_warp_reduce_kernelILj256ELj64Ell21rocsparse_complex_numIfES1_IdES3_S3_EEvbT1_lPT2_S6_jNS_24const_host_device_scalarIT6_EEPKS4_PKS5_PKT3_PKT4_S9_PT5_21rocsparse_index_base_b,"axG",@progbits,_ZN9rocsparseL41csrmvn_lrb_medium_rows_warp_reduce_kernelILj256ELj64Ell21rocsparse_complex_numIfES1_IdES3_S3_EEvbT1_lPT2_S6_jNS_24const_host_device_scalarIT6_EEPKS4_PKS5_PKT3_PKT4_S9_PT5_21rocsparse_index_base_b,comdat
.Lfunc_end221:
	.size	_ZN9rocsparseL41csrmvn_lrb_medium_rows_warp_reduce_kernelILj256ELj64Ell21rocsparse_complex_numIfES1_IdES3_S3_EEvbT1_lPT2_S6_jNS_24const_host_device_scalarIT6_EEPKS4_PKS5_PKT3_PKT4_S9_PT5_21rocsparse_index_base_b, .Lfunc_end221-_ZN9rocsparseL41csrmvn_lrb_medium_rows_warp_reduce_kernelILj256ELj64Ell21rocsparse_complex_numIfES1_IdES3_S3_EEvbT1_lPT2_S6_jNS_24const_host_device_scalarIT6_EEPKS4_PKS5_PKT3_PKT4_S9_PT5_21rocsparse_index_base_b
                                        ; -- End function
	.section	.AMDGPU.csdata,"",@progbits
; Kernel info:
; codeLenInByte = 1284
; NumSgprs: 26
; NumVgprs: 36
; NumAgprs: 0
; TotalNumVgprs: 36
; ScratchSize: 0
; MemoryBound: 0
; FloatMode: 240
; IeeeMode: 1
; LDSByteSize: 4096 bytes/workgroup (compile time only)
; SGPRBlocks: 3
; VGPRBlocks: 4
; NumSGPRsForWavesPerEU: 26
; NumVGPRsForWavesPerEU: 36
; AccumOffset: 36
; Occupancy: 8
; WaveLimiterHint : 1
; COMPUTE_PGM_RSRC2:SCRATCH_EN: 0
; COMPUTE_PGM_RSRC2:USER_SGPR: 8
; COMPUTE_PGM_RSRC2:TRAP_HANDLER: 0
; COMPUTE_PGM_RSRC2:TGID_X_EN: 1
; COMPUTE_PGM_RSRC2:TGID_Y_EN: 0
; COMPUTE_PGM_RSRC2:TGID_Z_EN: 0
; COMPUTE_PGM_RSRC2:TIDIG_COMP_CNT: 2
; COMPUTE_PGM_RSRC3_GFX90A:ACCUM_OFFSET: 8
; COMPUTE_PGM_RSRC3_GFX90A:TG_SPLIT: 0
	.section	.text._ZN9rocsparseL29csrmvn_lrb_medium_rows_kernelILj256Ell21rocsparse_complex_numIfES1_IdES3_S3_EEvbT0_PT1_S6_jNS_24const_host_device_scalarIT5_EEPKS4_PKS5_PKT2_PKT3_S9_PT4_21rocsparse_index_base_b,"axG",@progbits,_ZN9rocsparseL29csrmvn_lrb_medium_rows_kernelILj256Ell21rocsparse_complex_numIfES1_IdES3_S3_EEvbT0_PT1_S6_jNS_24const_host_device_scalarIT5_EEPKS4_PKS5_PKT2_PKT3_S9_PT4_21rocsparse_index_base_b,comdat
	.globl	_ZN9rocsparseL29csrmvn_lrb_medium_rows_kernelILj256Ell21rocsparse_complex_numIfES1_IdES3_S3_EEvbT0_PT1_S6_jNS_24const_host_device_scalarIT5_EEPKS4_PKS5_PKT2_PKT3_S9_PT4_21rocsparse_index_base_b ; -- Begin function _ZN9rocsparseL29csrmvn_lrb_medium_rows_kernelILj256Ell21rocsparse_complex_numIfES1_IdES3_S3_EEvbT0_PT1_S6_jNS_24const_host_device_scalarIT5_EEPKS4_PKS5_PKT2_PKT3_S9_PT4_21rocsparse_index_base_b
	.p2align	8
	.type	_ZN9rocsparseL29csrmvn_lrb_medium_rows_kernelILj256Ell21rocsparse_complex_numIfES1_IdES3_S3_EEvbT0_PT1_S6_jNS_24const_host_device_scalarIT5_EEPKS4_PKS5_PKT2_PKT3_S9_PT4_21rocsparse_index_base_b,@function
_ZN9rocsparseL29csrmvn_lrb_medium_rows_kernelILj256Ell21rocsparse_complex_numIfES1_IdES3_S3_EEvbT0_PT1_S6_jNS_24const_host_device_scalarIT5_EEPKS4_PKS5_PKT2_PKT3_S9_PT4_21rocsparse_index_base_b: ; @_ZN9rocsparseL29csrmvn_lrb_medium_rows_kernelILj256Ell21rocsparse_complex_numIfES1_IdES3_S3_EEvbT0_PT1_S6_jNS_24const_host_device_scalarIT5_EEPKS4_PKS5_PKT2_PKT3_S9_PT4_21rocsparse_index_base_b
; %bb.0:
	s_load_dwordx2 s[10:11], s[6:7], 0x70
	s_load_dwordx4 s[12:15], s[6:7], 0x28
	s_load_dwordx2 s[20:21], s[4:5], 0x4
	s_load_dwordx4 s[16:19], s[6:7], 0x58
	s_mov_b64 s[2:3], src_shared_base
	v_and_b32_e32 v18, 0x3ff, v0
	s_waitcnt lgkmcnt(0)
	s_bitcmp1_b32 s11, 0
	s_cselect_b64 s[0:1], -1, 0
	s_and_b64 vcc, s[0:1], exec
	s_cselect_b32 s2, s3, s13
	s_lshr_b32 s4, s20, 16
	s_mul_i32 s4, s4, s21
	v_mul_lo_u32 v1, s4, v18
	v_bfe_u32 v2, v0, 10, 10
	v_mad_u32_u24 v1, v2, s21, v1
	v_bfe_u32 v0, v0, 20, 10
	v_add_lshl_u32 v5, v1, v0, 3
	v_mov_b32_e32 v4, s12
	v_add_u32_e32 v6, 0x1800, v5
	v_pk_mov_b32 v[0:1], s[12:13], s[12:13] op_sel:[0,1]
	v_pk_mov_b32 v[2:3], s[16:17], s[16:17] op_sel:[0,1]
	ds_write2st64_b64 v5, v[2:3], v[0:1] offset0:8 offset1:12
	v_cndmask_b32_e64 v0, v4, v6, s[0:1]
	v_mov_b32_e32 v1, s2
	flat_load_dwordx2 v[8:9], v[0:1]
	s_xor_b64 s[4:5], s[0:1], -1
	v_add_u32_e32 v0, 0x1000, v5
	v_pk_mov_b32 v[10:11], s[14:15], s[14:15] op_sel:[0,1]
	s_cbranch_vccnz .LBB222_2
; %bb.1:
	v_pk_mov_b32 v[2:3], s[12:13], s[12:13] op_sel:[0,1]
	flat_load_dwordx2 v[10:11], v[2:3] offset:8
.LBB222_2:
	s_and_b64 s[12:13], s[0:1], exec
	s_cselect_b32 s2, s3, s17
	v_mov_b32_e32 v1, s16
	v_cndmask_b32_e64 v0, v1, v0, s[0:1]
	v_mov_b32_e32 v1, s2
	flat_load_dwordx2 v[4:5], v[0:1]
	s_andn2_b64 vcc, exec, s[4:5]
	v_pk_mov_b32 v[6:7], s[18:19], s[18:19] op_sel:[0,1]
	s_cbranch_vccnz .LBB222_4
; %bb.3:
	v_pk_mov_b32 v[0:1], s[16:17], s[16:17] op_sel:[0,1]
	flat_load_dwordx2 v[6:7], v[0:1] offset:8
.LBB222_4:
	s_waitcnt vmcnt(0) lgkmcnt(0)
	v_cmp_eq_f64_e32 vcc, 0, v[8:9]
	v_cmp_eq_f64_e64 s[0:1], 0, v[10:11]
	s_and_b64 s[4:5], vcc, s[0:1]
	s_mov_b64 s[0:1], -1
	s_and_saveexec_b64 s[2:3], s[4:5]
; %bb.5:
	v_cmp_neq_f64_e32 vcc, 1.0, v[4:5]
	v_cmp_neq_f64_e64 s[0:1], 0, v[6:7]
	s_or_b64 s[0:1], vcc, s[0:1]
	s_orn2_b64 s[0:1], s[0:1], exec
; %bb.6:
	s_or_b64 exec, exec, s[2:3]
	s_and_saveexec_b64 s[2:3], s[0:1]
	s_cbranch_execz .LBB222_31
; %bb.7:
	s_load_dword s16, s[6:7], 0x20
	s_load_dwordx4 s[0:3], s[6:7], 0x10
	s_mov_b32 s17, 0
	v_subrev_co_u32_e32 v0, vcc, s10, v18
	s_waitcnt lgkmcnt(0)
	s_lshl_b64 s[4:5], s[16:17], 3
	s_add_u32 s2, s2, s4
	s_addc_u32 s3, s3, s5
	s_load_dwordx2 s[2:3], s[2:3], 0x0
	s_ashr_i32 s9, s8, 31
	s_waitcnt lgkmcnt(0)
	s_lshl_b64 s[2:3], s[2:3], 3
	s_add_u32 s2, s0, s2
	s_addc_u32 s3, s1, s3
	s_lshl_b64 s[0:1], s[8:9], 3
	s_add_u32 s0, s2, s0
	s_addc_u32 s1, s3, s1
	s_load_dwordx2 s[4:5], s[0:1], 0x0
	s_load_dwordx2 s[8:9], s[6:7], 0x38
	;; [unrolled: 1-line block ×3, first 2 shown]
	s_waitcnt lgkmcnt(0)
	s_lshl_b64 s[0:1], s[4:5], 3
	s_add_u32 s0, s8, s0
	s_addc_u32 s1, s9, s1
	s_load_dwordx4 s[12:15], s[0:1], 0x0
	v_subb_co_u32_e64 v1, s[0:1], 0, 0, vcc
	s_waitcnt lgkmcnt(0)
	s_sub_u32 s8, s14, s10
	v_mov_b32_e32 v2, s13
	v_add_co_u32_e32 v12, vcc, s12, v0
	s_subb_u32 s9, s15, 0
	v_addc_co_u32_e32 v13, vcc, v2, v1, vcc
	v_pk_mov_b32 v[2:3], 0, 0
	v_cmp_gt_i64_e32 vcc, s[8:9], v[12:13]
	v_pk_mov_b32 v[0:1], v[2:3], v[2:3] op_sel:[0,1]
	s_and_saveexec_b64 s[12:13], vcc
	s_cbranch_execz .LBB222_11
; %bb.8:
	s_mov_b32 s0, s17
	s_load_dword s1, s[6:7], 0x0
	s_load_dwordx4 s[16:19], s[6:7], 0x40
	s_load_dwordx2 s[14:15], s[6:7], 0x50
	v_lshlrev_b64 v[0:1], 3, v[12:13]
	v_mov_b32_e32 v19, s0
	s_waitcnt lgkmcnt(0)
	s_bitcmp1_b32 s1, 0
	v_mov_b32_e32 v2, s19
	v_add_co_u32_e32 v3, vcc, s18, v0
	v_addc_co_u32_e32 v2, vcc, v1, v2, vcc
	v_add_co_u32_e32 v14, vcc, 4, v3
	v_addc_co_u32_e32 v15, vcc, 0, v2, vcc
	v_mov_b32_e32 v2, s17
	v_add_co_u32_e32 v16, vcc, s16, v0
	v_addc_co_u32_e32 v17, vcc, v2, v1, vcc
	v_pk_mov_b32 v[2:3], 0, 0
	s_cselect_b64 s[6:7], -1, 0
	s_mov_b64 s[16:17], 0
	v_mov_b32_e32 v20, s15
	s_movk_i32 s11, 0x100
	v_pk_mov_b32 v[0:1], v[2:3], v[2:3] op_sel:[0,1]
.LBB222_9:                              ; =>This Inner Loop Header: Depth=1
	global_load_dwordx2 v[22:23], v[16:17], off
	global_load_dwordx2 v[26:27], v[14:15], off offset:-4
	s_waitcnt vmcnt(1)
	v_subrev_co_u32_e32 v22, vcc, s10, v22
	v_subb_co_u32_e32 v23, vcc, v23, v19, vcc
	v_lshlrev_b64 v[22:23], 4, v[22:23]
	v_add_co_u32_e32 v22, vcc, s14, v22
	v_addc_co_u32_e32 v23, vcc, v20, v23, vcc
	global_load_dwordx4 v[22:25], v[22:23], off
	v_add_co_u32_e32 v12, vcc, s11, v12
	s_waitcnt vmcnt(1)
	v_cndmask_b32_e64 v21, v27, -v27, s[6:7]
	v_addc_co_u32_e32 v13, vcc, 0, v13, vcc
	v_cvt_f64_f32_e32 v[28:29], v21
	v_add_co_u32_e32 v14, vcc, 0x800, v14
	v_cvt_f64_f32_e32 v[26:27], v26
	v_mul_f64 v[30:31], -v[10:11], v[28:29]
	v_mul_f64 v[28:29], v[8:9], v[28:29]
	v_addc_co_u32_e32 v15, vcc, 0, v15, vcc
	v_fmac_f64_e32 v[30:31], v[8:9], v[26:27]
	v_fmac_f64_e32 v[28:29], v[10:11], v[26:27]
	v_add_co_u32_e32 v16, vcc, 0x800, v16
	v_cmp_le_i64_e64 s[0:1], s[8:9], v[12:13]
	v_addc_co_u32_e32 v17, vcc, 0, v17, vcc
	s_or_b64 s[16:17], s[0:1], s[16:17]
	s_waitcnt vmcnt(0)
	v_fmac_f64_e32 v[0:1], v[30:31], v[22:23]
	v_fmac_f64_e32 v[2:3], v[28:29], v[22:23]
	v_fma_f64 v[0:1], -v[28:29], v[24:25], v[0:1]
	v_fmac_f64_e32 v[2:3], v[30:31], v[24:25]
	s_andn2_b64 exec, exec, s[16:17]
	s_cbranch_execnz .LBB222_9
; %bb.10:
	s_or_b64 exec, exec, s[16:17]
.LBB222_11:
	s_or_b64 exec, exec, s[12:13]
	s_movk_i32 s0, 0x80
	v_lshlrev_b32_e32 v8, 4, v18
	v_cmp_gt_u32_e32 vcc, s0, v18
	ds_write_b128 v8, v[0:3]
	s_waitcnt lgkmcnt(0)
	s_barrier
	s_and_saveexec_b64 s[0:1], vcc
	s_cbranch_execz .LBB222_13
; %bb.12:
	ds_read_b128 v[0:3], v8 offset:2048
	ds_read_b128 v[10:13], v8
	s_waitcnt lgkmcnt(0)
	v_add_f64 v[0:1], v[0:1], v[10:11]
	v_add_f64 v[2:3], v[2:3], v[12:13]
	ds_write_b128 v8, v[0:3]
.LBB222_13:
	s_or_b64 exec, exec, s[0:1]
	v_cmp_gt_u32_e32 vcc, 64, v18
	s_waitcnt lgkmcnt(0)
	s_barrier
	s_and_saveexec_b64 s[0:1], vcc
	s_cbranch_execz .LBB222_15
; %bb.14:
	ds_read_b128 v[0:3], v8 offset:1024
	ds_read_b128 v[10:13], v8
	s_waitcnt lgkmcnt(0)
	v_add_f64 v[0:1], v[0:1], v[10:11]
	v_add_f64 v[2:3], v[2:3], v[12:13]
	ds_write_b128 v8, v[0:3]
.LBB222_15:
	s_or_b64 exec, exec, s[0:1]
	v_cmp_gt_u32_e32 vcc, 32, v18
	;; [unrolled: 14-line block ×6, first 2 shown]
	s_waitcnt lgkmcnt(0)
	s_barrier
	s_and_saveexec_b64 s[0:1], vcc
	s_cbranch_execz .LBB222_25
; %bb.24:
	ds_read_b128 v[0:3], v8
	ds_read_b128 v[10:13], v8 offset:32
	s_waitcnt lgkmcnt(0)
	v_add_f64 v[0:1], v[10:11], v[0:1]
	v_add_f64 v[2:3], v[12:13], v[2:3]
	ds_write_b128 v8, v[0:3]
.LBB222_25:
	s_or_b64 exec, exec, s[0:1]
	v_cmp_eq_u32_e32 vcc, 0, v18
	s_waitcnt lgkmcnt(0)
	s_barrier
	s_and_saveexec_b64 s[0:1], vcc
	s_cbranch_execz .LBB222_27
; %bb.26:
	v_mov_b32_e32 v12, 0
	ds_read_b128 v[0:3], v12
	ds_read_b128 v[8:11], v12 offset:16
	s_waitcnt lgkmcnt(0)
	v_add_f64 v[0:1], v[8:9], v[0:1]
	v_add_f64 v[2:3], v[10:11], v[2:3]
	ds_write_b128 v12, v[0:3]
.LBB222_27:
	s_or_b64 exec, exec, s[0:1]
	s_waitcnt lgkmcnt(0)
	s_barrier
	s_and_b64 exec, exec, vcc
	s_cbranch_execz .LBB222_31
; %bb.28:
	v_mov_b32_e32 v8, 0
	ds_read_b128 v[0:3], v8
	v_cmp_neq_f64_e32 vcc, 0, v[4:5]
	v_cmp_neq_f64_e64 s[0:1], 0, v[6:7]
	s_or_b64 s[6:7], vcc, s[0:1]
	s_and_saveexec_b64 s[0:1], s[6:7]
	s_cbranch_execz .LBB222_30
; %bb.29:
	s_lshl_b64 s[6:7], s[4:5], 4
	s_add_u32 s6, s2, s6
	s_addc_u32 s7, s3, s7
	s_load_dwordx4 s[8:11], s[6:7], 0x0
	s_waitcnt lgkmcnt(0)
	v_fmac_f64_e32 v[0:1], s[8:9], v[4:5]
	v_fmac_f64_e32 v[2:3], s[8:9], v[6:7]
	v_fma_f64 v[0:1], -v[6:7], s[10:11], v[0:1]
	v_fmac_f64_e32 v[2:3], s[10:11], v[4:5]
.LBB222_30:
	s_or_b64 exec, exec, s[0:1]
	s_lshl_b64 s[0:1], s[4:5], 4
	s_add_u32 s0, s2, s0
	s_addc_u32 s1, s3, s1
	s_waitcnt lgkmcnt(0)
	global_store_dwordx4 v8, v[0:3], s[0:1]
.LBB222_31:
	s_endpgm
	.section	.rodata,"a",@progbits
	.p2align	6, 0x0
	.amdhsa_kernel _ZN9rocsparseL29csrmvn_lrb_medium_rows_kernelILj256Ell21rocsparse_complex_numIfES1_IdES3_S3_EEvbT0_PT1_S6_jNS_24const_host_device_scalarIT5_EEPKS4_PKS5_PKT2_PKT3_S9_PT4_21rocsparse_index_base_b
		.amdhsa_group_segment_fixed_size 8192
		.amdhsa_private_segment_fixed_size 0
		.amdhsa_kernarg_size 120
		.amdhsa_user_sgpr_count 8
		.amdhsa_user_sgpr_private_segment_buffer 1
		.amdhsa_user_sgpr_dispatch_ptr 1
		.amdhsa_user_sgpr_queue_ptr 0
		.amdhsa_user_sgpr_kernarg_segment_ptr 1
		.amdhsa_user_sgpr_dispatch_id 0
		.amdhsa_user_sgpr_flat_scratch_init 0
		.amdhsa_user_sgpr_kernarg_preload_length 0
		.amdhsa_user_sgpr_kernarg_preload_offset 0
		.amdhsa_user_sgpr_private_segment_size 0
		.amdhsa_uses_dynamic_stack 0
		.amdhsa_system_sgpr_private_segment_wavefront_offset 0
		.amdhsa_system_sgpr_workgroup_id_x 1
		.amdhsa_system_sgpr_workgroup_id_y 0
		.amdhsa_system_sgpr_workgroup_id_z 0
		.amdhsa_system_sgpr_workgroup_info 0
		.amdhsa_system_vgpr_workitem_id 2
		.amdhsa_next_free_vgpr 32
		.amdhsa_next_free_sgpr 22
		.amdhsa_accum_offset 32
		.amdhsa_reserve_vcc 1
		.amdhsa_reserve_flat_scratch 0
		.amdhsa_float_round_mode_32 0
		.amdhsa_float_round_mode_16_64 0
		.amdhsa_float_denorm_mode_32 3
		.amdhsa_float_denorm_mode_16_64 3
		.amdhsa_dx10_clamp 1
		.amdhsa_ieee_mode 1
		.amdhsa_fp16_overflow 0
		.amdhsa_tg_split 0
		.amdhsa_exception_fp_ieee_invalid_op 0
		.amdhsa_exception_fp_denorm_src 0
		.amdhsa_exception_fp_ieee_div_zero 0
		.amdhsa_exception_fp_ieee_overflow 0
		.amdhsa_exception_fp_ieee_underflow 0
		.amdhsa_exception_fp_ieee_inexact 0
		.amdhsa_exception_int_div_zero 0
	.end_amdhsa_kernel
	.section	.text._ZN9rocsparseL29csrmvn_lrb_medium_rows_kernelILj256Ell21rocsparse_complex_numIfES1_IdES3_S3_EEvbT0_PT1_S6_jNS_24const_host_device_scalarIT5_EEPKS4_PKS5_PKT2_PKT3_S9_PT4_21rocsparse_index_base_b,"axG",@progbits,_ZN9rocsparseL29csrmvn_lrb_medium_rows_kernelILj256Ell21rocsparse_complex_numIfES1_IdES3_S3_EEvbT0_PT1_S6_jNS_24const_host_device_scalarIT5_EEPKS4_PKS5_PKT2_PKT3_S9_PT4_21rocsparse_index_base_b,comdat
.Lfunc_end222:
	.size	_ZN9rocsparseL29csrmvn_lrb_medium_rows_kernelILj256Ell21rocsparse_complex_numIfES1_IdES3_S3_EEvbT0_PT1_S6_jNS_24const_host_device_scalarIT5_EEPKS4_PKS5_PKT2_PKT3_S9_PT4_21rocsparse_index_base_b, .Lfunc_end222-_ZN9rocsparseL29csrmvn_lrb_medium_rows_kernelILj256Ell21rocsparse_complex_numIfES1_IdES3_S3_EEvbT0_PT1_S6_jNS_24const_host_device_scalarIT5_EEPKS4_PKS5_PKT2_PKT3_S9_PT4_21rocsparse_index_base_b
                                        ; -- End function
	.section	.AMDGPU.csdata,"",@progbits
; Kernel info:
; codeLenInByte = 1504
; NumSgprs: 26
; NumVgprs: 32
; NumAgprs: 0
; TotalNumVgprs: 32
; ScratchSize: 0
; MemoryBound: 0
; FloatMode: 240
; IeeeMode: 1
; LDSByteSize: 8192 bytes/workgroup (compile time only)
; SGPRBlocks: 3
; VGPRBlocks: 3
; NumSGPRsForWavesPerEU: 26
; NumVGPRsForWavesPerEU: 32
; AccumOffset: 32
; Occupancy: 8
; WaveLimiterHint : 1
; COMPUTE_PGM_RSRC2:SCRATCH_EN: 0
; COMPUTE_PGM_RSRC2:USER_SGPR: 8
; COMPUTE_PGM_RSRC2:TRAP_HANDLER: 0
; COMPUTE_PGM_RSRC2:TGID_X_EN: 1
; COMPUTE_PGM_RSRC2:TGID_Y_EN: 0
; COMPUTE_PGM_RSRC2:TGID_Z_EN: 0
; COMPUTE_PGM_RSRC2:TIDIG_COMP_CNT: 2
; COMPUTE_PGM_RSRC3_GFX90A:ACCUM_OFFSET: 7
; COMPUTE_PGM_RSRC3_GFX90A:TG_SPLIT: 0
	.section	.text._ZN9rocsparseL27csrmvn_lrb_long_rows_kernelIll21rocsparse_complex_numIfES1_IdES3_S3_EEvbT_PjPT0_S7_jNS_24const_host_device_scalarIT4_EEPKS4_PKS6_PKT1_PKT2_SA_PT3_21rocsparse_index_base_b,"axG",@progbits,_ZN9rocsparseL27csrmvn_lrb_long_rows_kernelIll21rocsparse_complex_numIfES1_IdES3_S3_EEvbT_PjPT0_S7_jNS_24const_host_device_scalarIT4_EEPKS4_PKS6_PKT1_PKT2_SA_PT3_21rocsparse_index_base_b,comdat
	.globl	_ZN9rocsparseL27csrmvn_lrb_long_rows_kernelIll21rocsparse_complex_numIfES1_IdES3_S3_EEvbT_PjPT0_S7_jNS_24const_host_device_scalarIT4_EEPKS4_PKS6_PKT1_PKT2_SA_PT3_21rocsparse_index_base_b ; -- Begin function _ZN9rocsparseL27csrmvn_lrb_long_rows_kernelIll21rocsparse_complex_numIfES1_IdES3_S3_EEvbT_PjPT0_S7_jNS_24const_host_device_scalarIT4_EEPKS4_PKS6_PKT1_PKT2_SA_PT3_21rocsparse_index_base_b
	.p2align	8
	.type	_ZN9rocsparseL27csrmvn_lrb_long_rows_kernelIll21rocsparse_complex_numIfES1_IdES3_S3_EEvbT_PjPT0_S7_jNS_24const_host_device_scalarIT4_EEPKS4_PKS6_PKT1_PKT2_SA_PT3_21rocsparse_index_base_b,@function
_ZN9rocsparseL27csrmvn_lrb_long_rows_kernelIll21rocsparse_complex_numIfES1_IdES3_S3_EEvbT_PjPT0_S7_jNS_24const_host_device_scalarIT4_EEPKS4_PKS6_PKT1_PKT2_SA_PT3_21rocsparse_index_base_b: ; @_ZN9rocsparseL27csrmvn_lrb_long_rows_kernelIll21rocsparse_complex_numIfES1_IdES3_S3_EEvbT_PjPT0_S7_jNS_24const_host_device_scalarIT4_EEPKS4_PKS6_PKT1_PKT2_SA_PT3_21rocsparse_index_base_b
; %bb.0:
	s_load_dwordx2 s[20:21], s[6:7], 0x78
	s_load_dwordx4 s[12:15], s[6:7], 0x30
	s_load_dwordx2 s[10:11], s[4:5], 0x4
	s_load_dwordx4 s[16:19], s[6:7], 0x60
	s_mov_b64 s[2:3], src_shared_base
	v_and_b32_e32 v14, 0x3ff, v0
	s_waitcnt lgkmcnt(0)
	s_bitcmp1_b32 s21, 0
	s_cselect_b64 s[0:1], -1, 0
	s_and_b64 vcc, s[0:1], exec
	s_cselect_b32 s2, s3, s13
	s_lshr_b32 s4, s10, 16
	s_mul_i32 s4, s4, s11
	v_mul_lo_u32 v1, s4, v14
	v_bfe_u32 v2, v0, 10, 10
	v_mad_u32_u24 v1, v2, s11, v1
	v_bfe_u32 v0, v0, 20, 10
	v_add_lshl_u32 v6, v1, v0, 3
	v_mov_b32_e32 v4, s12
	v_add_u32_e32 v5, 0x1800, v6
	v_pk_mov_b32 v[0:1], s[12:13], s[12:13] op_sel:[0,1]
	v_pk_mov_b32 v[2:3], s[16:17], s[16:17] op_sel:[0,1]
	ds_write2st64_b64 v6, v[2:3], v[0:1] offset0:8 offset1:12
	v_cndmask_b32_e64 v0, v4, v5, s[0:1]
	v_mov_b32_e32 v1, s2
	flat_load_dwordx2 v[4:5], v[0:1]
	s_xor_b64 s[4:5], s[0:1], -1
	v_add_u32_e32 v0, 0x1000, v6
	v_pk_mov_b32 v[6:7], s[14:15], s[14:15] op_sel:[0,1]
	s_cbranch_vccnz .LBB223_2
; %bb.1:
	v_pk_mov_b32 v[2:3], s[12:13], s[12:13] op_sel:[0,1]
	flat_load_dwordx2 v[6:7], v[2:3] offset:8
.LBB223_2:
	s_and_b64 s[10:11], s[0:1], exec
	s_cselect_b32 s2, s3, s17
	v_mov_b32_e32 v1, s16
	v_cndmask_b32_e64 v0, v1, v0, s[0:1]
	v_mov_b32_e32 v1, s2
	flat_load_dwordx2 v[10:11], v[0:1]
	s_andn2_b64 vcc, exec, s[4:5]
	v_pk_mov_b32 v[8:9], s[18:19], s[18:19] op_sel:[0,1]
	s_cbranch_vccnz .LBB223_4
; %bb.3:
	v_pk_mov_b32 v[0:1], s[16:17], s[16:17] op_sel:[0,1]
	flat_load_dwordx2 v[8:9], v[0:1] offset:8
.LBB223_4:
	s_waitcnt vmcnt(0) lgkmcnt(0)
	v_cmp_eq_f64_e32 vcc, 0, v[4:5]
	v_cmp_eq_f64_e64 s[0:1], 0, v[6:7]
	s_and_b64 s[4:5], vcc, s[0:1]
	s_mov_b64 s[0:1], -1
	s_and_saveexec_b64 s[2:3], s[4:5]
; %bb.5:
	v_cmp_neq_f64_e32 vcc, 1.0, v[10:11]
	v_cmp_neq_f64_e64 s[0:1], 0, v[8:9]
	s_or_b64 s[0:1], vcc, s[0:1]
	s_orn2_b64 s[0:1], s[0:1], exec
; %bb.6:
	s_or_b64 exec, exec, s[2:3]
	s_and_saveexec_b64 s[2:3], s[0:1]
	s_cbranch_execz .LBB223_44
; %bb.7:
	s_load_dword s0, s[6:7], 0x28
	s_load_dwordx2 s[2:3], s[6:7], 0x20
	s_mov_b32 s27, 0
	s_mov_b32 s1, s27
	s_load_dwordx4 s[12:15], s[6:7], 0x10
	s_waitcnt lgkmcnt(0)
	s_lshl_b64 s[4:5], s[0:1], 3
	s_add_u32 s2, s2, s4
	s_addc_u32 s3, s3, s5
	s_lshl_b32 s0, -1, s0
	s_not_b32 s0, s0
	s_mul_hi_u32 s0, s0, 0x2aaaaaab
	s_lshr_b32 s0, s0, 7
	s_add_i32 s4, s0, 1
	v_cvt_f32_u32_e32 v0, s4
	s_not_b32 s0, s0
	s_load_dwordx2 s[2:3], s[2:3], 0x0
	v_rcp_iflag_f32_e32 v0, v0
	v_mul_f32_e32 v0, 0x4f7ffffe, v0
	v_cvt_u32_f32_e32 v0, v0
	v_readfirstlane_b32 s5, v0
	s_mul_i32 s0, s0, s5
	s_mul_hi_u32 s0, s5, s0
	s_add_i32 s5, s5, s0
	s_mul_hi_u32 s0, s8, s5
	s_mul_i32 s5, s0, s4
	s_sub_i32 s5, s8, s5
	s_add_i32 s9, s0, 1
	s_sub_i32 s10, s5, s4
	s_cmp_ge_u32 s5, s4
	s_cselect_b32 s0, s9, s0
	s_cselect_b32 s5, s10, s5
	s_add_i32 s9, s0, 1
	s_cmp_ge_u32 s5, s4
	s_cselect_b32 s0, s9, s0
	s_mul_i32 s4, s0, s4
	s_waitcnt lgkmcnt(0)
	s_lshl_b64 s[2:3], s[2:3], 3
	s_sub_i32 s21, s8, s4
	s_add_u32 s2, s14, s2
	s_addc_u32 s3, s15, s3
	s_lshl_b64 s[0:1], s[0:1], 3
	s_add_u32 s0, s2, s0
	s_addc_u32 s1, s3, s1
	s_load_dwordx2 s[14:15], s[0:1], 0x0
	s_load_dwordx2 s[2:3], s[6:7], 0x40
	;; [unrolled: 1-line block ×3, first 2 shown]
	v_or_b32_e32 v0, s21, v14
	v_cmp_eq_u32_e32 vcc, 0, v0
	s_waitcnt lgkmcnt(0)
	s_lshl_b64 s[0:1], s[14:15], 3
	s_add_u32 s0, s2, s0
	s_addc_u32 s1, s3, s1
	s_ashr_i32 s9, s8, 31
	s_sub_u32 s18, s8, s21
	s_subb_u32 s19, s9, 0
	s_lshl_b64 s[8:9], s[8:9], 2
	s_add_u32 s16, s12, s8
	s_addc_u32 s17, s13, s9
	s_load_dwordx4 s[0:3], s[0:1], 0x0
	v_pk_mov_b32 v[0:1], 0, 0
	s_load_dword s26, s[16:17], 0x0
	v_pk_mov_b32 v[2:3], v[0:1], v[0:1] op_sel:[0,1]
	s_and_saveexec_b64 s[22:23], vcc
	s_cbranch_execz .LBB223_11
; %bb.8:
	s_lshl_b64 s[8:9], s[14:15], 4
	s_add_u32 s8, s4, s8
	s_addc_u32 s9, s5, s9
	s_load_dwordx4 s[8:11], s[8:9], 0x0
	s_mov_b64 s[24:25], exec
	v_mbcnt_lo_u32_b32 v12, s24, 0
	v_add_f64 v[10:11], v[10:11], -1.0
	v_mbcnt_hi_u32_b32 v12, s25, v12
	s_waitcnt lgkmcnt(0)
	v_mul_f64 v[0:1], s[10:11], -v[8:9]
	v_mul_f64 v[2:3], v[10:11], s[10:11]
	v_cmp_eq_u32_e32 vcc, 0, v12
	s_waitcnt vmcnt(0) expcnt(0) lgkmcnt(0)
	s_and_saveexec_b64 s[10:11], vcc
	s_cbranch_execz .LBB223_10
; %bb.9:
	s_lshl_b64 s[28:29], s[18:19], 2
	s_add_u32 s28, s12, s28
	s_addc_u32 s29, s13, s29
	s_bcnt1_i32_b64 s24, s[24:25]
	s_and_b32 s24, s24, 1
	v_mov_b32_e32 v12, 0
	v_mov_b32_e32 v13, s24
	global_atomic_xor v12, v13, s[28:29]
.LBB223_10:
	s_or_b64 exec, exec, s[10:11]
	v_fmac_f64_e32 v[0:1], s[8:9], v[10:11]
	v_fmac_f64_e32 v[2:3], s[8:9], v[8:9]
.LBB223_11:
	s_or_b64 exec, exec, s[22:23]
	s_waitcnt lgkmcnt(0)
	s_sub_u32 s0, s0, s20
	s_mul_i32 s9, s21, 0x300
	s_subb_u32 s1, s1, 0
	s_mul_hi_u32 s8, s21, 0x300
	s_add_u32 s10, s0, s9
	s_addc_u32 s11, s1, s8
	s_sub_u32 s0, s2, s20
	s_subb_u32 s1, s3, 0
	s_add_u32 s2, s10, 0x300
	s_addc_u32 s3, s11, 0
	v_pk_mov_b32 v[8:9], s[0:1], s[0:1] op_sel:[0,1]
	v_cmp_lt_i64_e32 vcc, s[2:3], v[8:9]
	s_and_b64 s[8:9], vcc, exec
	v_mov_b32_e32 v9, s11
	v_add_co_u32_e32 v8, vcc, s10, v14
	s_cselect_b32 s3, s3, s1
	s_cselect_b32 s2, s2, s0
	v_addc_co_u32_e32 v9, vcc, 0, v9, vcc
	v_cmp_gt_i64_e32 vcc, s[2:3], v[8:9]
	s_and_saveexec_b64 s[8:9], vcc
	s_cbranch_execz .LBB223_15
; %bb.12:
	s_load_dword s0, s[6:7], 0x0
	s_load_dwordx4 s[28:31], s[6:7], 0x48
	s_load_dwordx2 s[10:11], s[6:7], 0x58
	v_lshlrev_b64 v[12:13], 3, v[8:9]
	s_mov_b64 s[22:23], 0
	s_waitcnt lgkmcnt(0)
	s_bitcmp1_b32 s0, 0
	v_mov_b32_e32 v10, s31
	v_add_co_u32_e32 v11, vcc, s30, v12
	v_addc_co_u32_e32 v15, vcc, v13, v10, vcc
	v_add_co_u32_e32 v10, vcc, 4, v11
	v_addc_co_u32_e32 v11, vcc, 0, v15, vcc
	v_mov_b32_e32 v15, s29
	v_add_co_u32_e32 v12, vcc, s28, v12
	s_cselect_b64 s[6:7], -1, 0
	v_addc_co_u32_e32 v13, vcc, v15, v13, vcc
	v_mov_b32_e32 v15, s27
	v_mov_b32_e32 v16, s11
	s_movk_i32 s11, 0x100
.LBB223_13:                             ; =>This Inner Loop Header: Depth=1
	global_load_dwordx2 v[18:19], v[12:13], off
	global_load_dwordx2 v[22:23], v[10:11], off offset:-4
	s_waitcnt vmcnt(1)
	v_subrev_co_u32_e32 v18, vcc, s20, v18
	v_subb_co_u32_e32 v19, vcc, v19, v15, vcc
	v_lshlrev_b64 v[18:19], 4, v[18:19]
	v_add_co_u32_e32 v18, vcc, s10, v18
	v_addc_co_u32_e32 v19, vcc, v16, v19, vcc
	global_load_dwordx4 v[18:21], v[18:19], off
	v_add_co_u32_e32 v8, vcc, s11, v8
	s_waitcnt vmcnt(1)
	v_cndmask_b32_e64 v17, v23, -v23, s[6:7]
	v_addc_co_u32_e32 v9, vcc, 0, v9, vcc
	v_cvt_f64_f32_e32 v[24:25], v17
	v_add_co_u32_e32 v10, vcc, 0x800, v10
	v_cvt_f64_f32_e32 v[22:23], v22
	v_mul_f64 v[26:27], -v[6:7], v[24:25]
	v_mul_f64 v[24:25], v[4:5], v[24:25]
	v_addc_co_u32_e32 v11, vcc, 0, v11, vcc
	v_fmac_f64_e32 v[26:27], v[4:5], v[22:23]
	v_fmac_f64_e32 v[24:25], v[6:7], v[22:23]
	v_add_co_u32_e32 v12, vcc, 0x800, v12
	v_cmp_le_i64_e64 s[0:1], s[2:3], v[8:9]
	v_addc_co_u32_e32 v13, vcc, 0, v13, vcc
	s_or_b64 s[22:23], s[0:1], s[22:23]
	s_waitcnt vmcnt(0)
	v_fmac_f64_e32 v[0:1], v[26:27], v[18:19]
	v_fmac_f64_e32 v[2:3], v[24:25], v[18:19]
	v_fma_f64 v[0:1], -v[24:25], v[20:21], v[0:1]
	v_fmac_f64_e32 v[2:3], v[26:27], v[20:21]
	s_andn2_b64 exec, exec, s[22:23]
	s_cbranch_execnz .LBB223_13
; %bb.14:
	s_or_b64 exec, exec, s[22:23]
.LBB223_15:
	s_or_b64 exec, exec, s[8:9]
	s_movk_i32 s0, 0x80
	v_lshlrev_b32_e32 v4, 4, v14
	v_cmp_gt_u32_e32 vcc, s0, v14
	ds_write_b128 v4, v[0:3]
	s_waitcnt lgkmcnt(0)
	s_barrier
	s_and_saveexec_b64 s[0:1], vcc
	s_cbranch_execz .LBB223_17
; %bb.16:
	ds_read_b128 v[0:3], v4 offset:2048
	ds_read_b128 v[6:9], v4
	s_waitcnt lgkmcnt(0)
	v_add_f64 v[0:1], v[0:1], v[6:7]
	v_add_f64 v[2:3], v[2:3], v[8:9]
	ds_write_b128 v4, v[0:3]
.LBB223_17:
	s_or_b64 exec, exec, s[0:1]
	v_cmp_gt_u32_e32 vcc, 64, v14
	s_waitcnt lgkmcnt(0)
	s_barrier
	s_and_saveexec_b64 s[0:1], vcc
	s_cbranch_execz .LBB223_19
; %bb.18:
	ds_read_b128 v[0:3], v4 offset:1024
	ds_read_b128 v[6:9], v4
	s_waitcnt lgkmcnt(0)
	v_add_f64 v[0:1], v[0:1], v[6:7]
	v_add_f64 v[2:3], v[2:3], v[8:9]
	ds_write_b128 v4, v[0:3]
.LBB223_19:
	s_or_b64 exec, exec, s[0:1]
	v_cmp_gt_u32_e32 vcc, 32, v14
	;; [unrolled: 14-line block ×6, first 2 shown]
	s_waitcnt lgkmcnt(0)
	s_barrier
	s_and_saveexec_b64 s[0:1], vcc
	s_cbranch_execz .LBB223_29
; %bb.28:
	ds_read_b128 v[0:3], v4
	ds_read_b128 v[6:9], v4 offset:32
	s_waitcnt lgkmcnt(0)
	v_add_f64 v[0:1], v[6:7], v[0:1]
	v_add_f64 v[2:3], v[8:9], v[2:3]
	ds_write_b128 v4, v[0:3]
.LBB223_29:
	s_or_b64 exec, exec, s[0:1]
	v_cmp_eq_u32_e32 vcc, 0, v14
	s_waitcnt lgkmcnt(0)
	s_barrier
	s_and_saveexec_b64 s[0:1], vcc
	s_cbranch_execz .LBB223_31
; %bb.30:
	v_mov_b32_e32 v8, 0
	ds_read_b128 v[0:3], v8
	ds_read_b128 v[4:7], v8 offset:16
	s_waitcnt lgkmcnt(0)
	v_add_f64 v[0:1], v[4:5], v[0:1]
	v_add_f64 v[2:3], v[6:7], v[2:3]
	ds_write_b128 v8, v[0:3]
.LBB223_31:
	s_or_b64 exec, exec, s[0:1]
	s_waitcnt lgkmcnt(0)
	s_barrier
	s_and_b64 exec, exec, vcc
	s_cbranch_execz .LBB223_44
; %bb.32:
	s_cmp_eq_u32 s21, 0
	s_cbranch_scc1 .LBB223_38
; %bb.33:
	s_lshl_b64 s[0:1], s[18:19], 2
	s_add_u32 s0, s12, s0
	s_addc_u32 s1, s13, s1
	v_mov_b32_e32 v0, 0
	s_branch .LBB223_35
.LBB223_34:                             ;   in Loop: Header=BB223_35 Depth=1
	s_or_b64 exec, exec, s[2:3]
	s_waitcnt vmcnt(0)
	v_readfirstlane_b32 s2, v1
	s_cmp_eq_u32 s2, s26
	s_cbranch_scc0 .LBB223_37
.LBB223_35:                             ; =>This Inner Loop Header: Depth=1
	v_mbcnt_lo_u32_b32 v1, exec_lo, 0
	v_mbcnt_hi_u32_b32 v1, exec_hi, v1
	v_cmp_eq_u32_e32 vcc, 0, v1
                                        ; implicit-def: $vgpr1
	s_and_saveexec_b64 s[2:3], vcc
	s_cbranch_execz .LBB223_34
; %bb.36:                               ;   in Loop: Header=BB223_35 Depth=1
	global_load_dword v1, v0, s[0:1] glc
	s_branch .LBB223_34
.LBB223_37:
	v_mov_b32_e32 v0, 0
	global_load_dword v1, v0, s[16:17]
	s_waitcnt vmcnt(0)
	v_xor_b32_e32 v1, 1, v1
	global_store_dword v0, v1, s[16:17]
.LBB223_38:
	v_mov_b32_e32 v8, 0
	ds_read_b128 v[0:3], v8
	s_mov_b64 s[6:7], exec
	s_lshl_b64 s[0:1], s[14:15], 4
	v_mbcnt_lo_u32_b32 v4, s6, 0
	s_add_u32 s0, s4, s0
	v_mbcnt_hi_u32_b32 v4, s7, v4
	s_addc_u32 s1, s5, s1
	v_cmp_eq_u32_e32 vcc, 0, v4
	s_and_saveexec_b64 s[2:3], vcc
	s_cbranch_execz .LBB223_41
; %bb.39:
	global_load_dwordx2 v[6:7], v8, s[0:1]
	s_bcnt1_i32_b64 s4, s[6:7]
	v_cvt_f64_u32_e32 v[4:5], s4
	s_waitcnt lgkmcnt(0)
	v_mul_f64 v[0:1], v[0:1], v[4:5]
	s_mov_b64 s[4:5], 0
.LBB223_40:                             ; =>This Inner Loop Header: Depth=1
	s_waitcnt vmcnt(0)
	v_add_f64 v[4:5], v[6:7], v[0:1]
	global_atomic_cmpswap_x2 v[4:5], v8, v[4:7], s[0:1] glc
	s_waitcnt vmcnt(0)
	v_cmp_eq_u64_e32 vcc, v[4:5], v[6:7]
	s_or_b64 s[4:5], vcc, s[4:5]
	v_pk_mov_b32 v[6:7], v[4:5], v[4:5] op_sel:[0,1]
	s_andn2_b64 exec, exec, s[4:5]
	s_cbranch_execnz .LBB223_40
.LBB223_41:
	s_or_b64 exec, exec, s[2:3]
	s_mov_b64 s[2:3], exec
	s_waitcnt lgkmcnt(0)
	v_mbcnt_lo_u32_b32 v0, s2, 0
	v_mbcnt_hi_u32_b32 v0, s3, v0
	v_cmp_eq_u32_e32 vcc, 0, v0
	s_and_b64 s[4:5], exec, vcc
	s_mov_b64 exec, s[4:5]
	s_cbranch_execz .LBB223_44
; %bb.42:
	v_mov_b32_e32 v6, 0
	global_load_dwordx2 v[4:5], v6, s[0:1] offset:8
	s_bcnt1_i32_b64 s2, s[2:3]
	v_cvt_f64_u32_e32 v[0:1], s2
	v_mul_f64 v[0:1], v[2:3], v[0:1]
	s_mov_b64 s[2:3], 0
.LBB223_43:                             ; =>This Inner Loop Header: Depth=1
	s_waitcnt vmcnt(0)
	v_add_f64 v[2:3], v[4:5], v[0:1]
	global_atomic_cmpswap_x2 v[2:3], v6, v[2:5], s[0:1] offset:8 glc
	s_waitcnt vmcnt(0)
	v_cmp_eq_u64_e32 vcc, v[2:3], v[4:5]
	s_or_b64 s[2:3], vcc, s[2:3]
	v_pk_mov_b32 v[4:5], v[2:3], v[2:3] op_sel:[0,1]
	s_andn2_b64 exec, exec, s[2:3]
	s_cbranch_execnz .LBB223_43
.LBB223_44:
	s_endpgm
	.section	.rodata,"a",@progbits
	.p2align	6, 0x0
	.amdhsa_kernel _ZN9rocsparseL27csrmvn_lrb_long_rows_kernelIll21rocsparse_complex_numIfES1_IdES3_S3_EEvbT_PjPT0_S7_jNS_24const_host_device_scalarIT4_EEPKS4_PKS6_PKT1_PKT2_SA_PT3_21rocsparse_index_base_b
		.amdhsa_group_segment_fixed_size 8192
		.amdhsa_private_segment_fixed_size 0
		.amdhsa_kernarg_size 128
		.amdhsa_user_sgpr_count 8
		.amdhsa_user_sgpr_private_segment_buffer 1
		.amdhsa_user_sgpr_dispatch_ptr 1
		.amdhsa_user_sgpr_queue_ptr 0
		.amdhsa_user_sgpr_kernarg_segment_ptr 1
		.amdhsa_user_sgpr_dispatch_id 0
		.amdhsa_user_sgpr_flat_scratch_init 0
		.amdhsa_user_sgpr_kernarg_preload_length 0
		.amdhsa_user_sgpr_kernarg_preload_offset 0
		.amdhsa_user_sgpr_private_segment_size 0
		.amdhsa_uses_dynamic_stack 0
		.amdhsa_system_sgpr_private_segment_wavefront_offset 0
		.amdhsa_system_sgpr_workgroup_id_x 1
		.amdhsa_system_sgpr_workgroup_id_y 0
		.amdhsa_system_sgpr_workgroup_id_z 0
		.amdhsa_system_sgpr_workgroup_info 0
		.amdhsa_system_vgpr_workitem_id 2
		.amdhsa_next_free_vgpr 28
		.amdhsa_next_free_sgpr 32
		.amdhsa_accum_offset 28
		.amdhsa_reserve_vcc 1
		.amdhsa_reserve_flat_scratch 0
		.amdhsa_float_round_mode_32 0
		.amdhsa_float_round_mode_16_64 0
		.amdhsa_float_denorm_mode_32 3
		.amdhsa_float_denorm_mode_16_64 3
		.amdhsa_dx10_clamp 1
		.amdhsa_ieee_mode 1
		.amdhsa_fp16_overflow 0
		.amdhsa_tg_split 0
		.amdhsa_exception_fp_ieee_invalid_op 0
		.amdhsa_exception_fp_denorm_src 0
		.amdhsa_exception_fp_ieee_div_zero 0
		.amdhsa_exception_fp_ieee_overflow 0
		.amdhsa_exception_fp_ieee_underflow 0
		.amdhsa_exception_fp_ieee_inexact 0
		.amdhsa_exception_int_div_zero 0
	.end_amdhsa_kernel
	.section	.text._ZN9rocsparseL27csrmvn_lrb_long_rows_kernelIll21rocsparse_complex_numIfES1_IdES3_S3_EEvbT_PjPT0_S7_jNS_24const_host_device_scalarIT4_EEPKS4_PKS6_PKT1_PKT2_SA_PT3_21rocsparse_index_base_b,"axG",@progbits,_ZN9rocsparseL27csrmvn_lrb_long_rows_kernelIll21rocsparse_complex_numIfES1_IdES3_S3_EEvbT_PjPT0_S7_jNS_24const_host_device_scalarIT4_EEPKS4_PKS6_PKT1_PKT2_SA_PT3_21rocsparse_index_base_b,comdat
.Lfunc_end223:
	.size	_ZN9rocsparseL27csrmvn_lrb_long_rows_kernelIll21rocsparse_complex_numIfES1_IdES3_S3_EEvbT_PjPT0_S7_jNS_24const_host_device_scalarIT4_EEPKS4_PKS6_PKT1_PKT2_SA_PT3_21rocsparse_index_base_b, .Lfunc_end223-_ZN9rocsparseL27csrmvn_lrb_long_rows_kernelIll21rocsparse_complex_numIfES1_IdES3_S3_EEvbT_PjPT0_S7_jNS_24const_host_device_scalarIT4_EEPKS4_PKS6_PKT1_PKT2_SA_PT3_21rocsparse_index_base_b
                                        ; -- End function
	.section	.AMDGPU.csdata,"",@progbits
; Kernel info:
; codeLenInByte = 2116
; NumSgprs: 36
; NumVgprs: 28
; NumAgprs: 0
; TotalNumVgprs: 28
; ScratchSize: 0
; MemoryBound: 0
; FloatMode: 240
; IeeeMode: 1
; LDSByteSize: 8192 bytes/workgroup (compile time only)
; SGPRBlocks: 4
; VGPRBlocks: 3
; NumSGPRsForWavesPerEU: 36
; NumVGPRsForWavesPerEU: 28
; AccumOffset: 28
; Occupancy: 8
; WaveLimiterHint : 1
; COMPUTE_PGM_RSRC2:SCRATCH_EN: 0
; COMPUTE_PGM_RSRC2:USER_SGPR: 8
; COMPUTE_PGM_RSRC2:TRAP_HANDLER: 0
; COMPUTE_PGM_RSRC2:TGID_X_EN: 1
; COMPUTE_PGM_RSRC2:TGID_Y_EN: 0
; COMPUTE_PGM_RSRC2:TGID_Z_EN: 0
; COMPUTE_PGM_RSRC2:TIDIG_COMP_CNT: 2
; COMPUTE_PGM_RSRC3_GFX90A:ACCUM_OFFSET: 6
; COMPUTE_PGM_RSRC3_GFX90A:TG_SPLIT: 0
	.text
	.p2alignl 6, 3212836864
	.fill 256, 4, 3212836864
	.type	__hip_cuid_df96e8ed7fbd9309,@object ; @__hip_cuid_df96e8ed7fbd9309
	.section	.bss,"aw",@nobits
	.globl	__hip_cuid_df96e8ed7fbd9309
__hip_cuid_df96e8ed7fbd9309:
	.byte	0                               ; 0x0
	.size	__hip_cuid_df96e8ed7fbd9309, 1

	.ident	"AMD clang version 19.0.0git (https://github.com/RadeonOpenCompute/llvm-project roc-6.4.0 25133 c7fe45cf4b819c5991fe208aaa96edf142730f1d)"
	.section	".note.GNU-stack","",@progbits
	.addrsig
	.addrsig_sym __hip_cuid_df96e8ed7fbd9309
	.amdgpu_metadata
---
amdhsa.kernels:
  - .agpr_count:     0
    .args:
      - .offset:         0
        .size:           4
        .value_kind:     by_value
      - .address_space:  global
        .offset:         8
        .size:           8
        .value_kind:     global_buffer
      - .address_space:  global
        .offset:         16
        .size:           8
        .value_kind:     global_buffer
      - .address_space:  global
        .offset:         24
        .size:           8
        .value_kind:     global_buffer
      - .offset:         32
        .size:           4
        .value_kind:     hidden_block_count_x
      - .offset:         36
        .size:           4
        .value_kind:     hidden_block_count_y
      - .offset:         40
        .size:           4
        .value_kind:     hidden_block_count_z
      - .offset:         44
        .size:           2
        .value_kind:     hidden_group_size_x
      - .offset:         46
        .size:           2
        .value_kind:     hidden_group_size_y
      - .offset:         48
        .size:           2
        .value_kind:     hidden_group_size_z
      - .offset:         50
        .size:           2
        .value_kind:     hidden_remainder_x
      - .offset:         52
        .size:           2
        .value_kind:     hidden_remainder_y
      - .offset:         54
        .size:           2
        .value_kind:     hidden_remainder_z
      - .offset:         72
        .size:           8
        .value_kind:     hidden_global_offset_x
      - .offset:         80
        .size:           8
        .value_kind:     hidden_global_offset_y
      - .offset:         88
        .size:           8
        .value_kind:     hidden_global_offset_z
      - .offset:         96
        .size:           2
        .value_kind:     hidden_grid_dims
    .group_segment_fixed_size: 0
    .kernarg_segment_align: 8
    .kernarg_segment_size: 288
    .language:       OpenCL C
    .language_version:
      - 2
      - 0
    .max_flat_workgroup_size: 256
    .name:           _ZN9rocsparseL46csrmvn_preprocess_device_32_bins_3phase_phase1ILj256EiiEEvT1_PKT0_PS1_S5_
    .private_segment_fixed_size: 0
    .sgpr_count:     14
    .sgpr_spill_count: 0
    .symbol:         _ZN9rocsparseL46csrmvn_preprocess_device_32_bins_3phase_phase1ILj256EiiEEvT1_PKT0_PS1_S5_.kd
    .uniform_work_group_size: 1
    .uses_dynamic_stack: false
    .vgpr_count:     14
    .vgpr_spill_count: 0
    .wavefront_size: 64
  - .agpr_count:     0
    .args:
      - .address_space:  global
        .offset:         0
        .size:           8
        .value_kind:     global_buffer
    .group_segment_fixed_size: 0
    .kernarg_segment_align: 8
    .kernarg_segment_size: 8
    .language:       OpenCL C
    .language_version:
      - 2
      - 0
    .max_flat_workgroup_size: 1
    .name:           _ZN9rocsparseL46csrmvn_preprocess_device_32_bins_3phase_phase2IiEEvPT_
    .private_segment_fixed_size: 0
    .sgpr_count:     22
    .sgpr_spill_count: 0
    .symbol:         _ZN9rocsparseL46csrmvn_preprocess_device_32_bins_3phase_phase2IiEEvPT_.kd
    .uniform_work_group_size: 1
    .uses_dynamic_stack: false
    .vgpr_count:     6
    .vgpr_spill_count: 0
    .wavefront_size: 64
  - .agpr_count:     0
    .args:
      - .offset:         0
        .size:           4
        .value_kind:     by_value
      - .address_space:  global
        .offset:         8
        .size:           8
        .value_kind:     global_buffer
      - .address_space:  global
        .offset:         16
        .size:           8
        .value_kind:     global_buffer
      - .address_space:  global
        .offset:         24
        .size:           8
        .value_kind:     global_buffer
      - .address_space:  global
        .offset:         32
        .size:           8
        .value_kind:     global_buffer
      - .offset:         40
        .size:           4
        .value_kind:     hidden_block_count_x
      - .offset:         44
        .size:           4
        .value_kind:     hidden_block_count_y
      - .offset:         48
        .size:           4
        .value_kind:     hidden_block_count_z
      - .offset:         52
        .size:           2
        .value_kind:     hidden_group_size_x
      - .offset:         54
        .size:           2
        .value_kind:     hidden_group_size_y
      - .offset:         56
        .size:           2
        .value_kind:     hidden_group_size_z
      - .offset:         58
        .size:           2
        .value_kind:     hidden_remainder_x
      - .offset:         60
        .size:           2
        .value_kind:     hidden_remainder_y
      - .offset:         62
        .size:           2
        .value_kind:     hidden_remainder_z
      - .offset:         80
        .size:           8
        .value_kind:     hidden_global_offset_x
      - .offset:         88
        .size:           8
        .value_kind:     hidden_global_offset_y
      - .offset:         96
        .size:           8
        .value_kind:     hidden_global_offset_z
      - .offset:         104
        .size:           2
        .value_kind:     hidden_grid_dims
    .group_segment_fixed_size: 0
    .kernarg_segment_align: 8
    .kernarg_segment_size: 296
    .language:       OpenCL C
    .language_version:
      - 2
      - 0
    .max_flat_workgroup_size: 256
    .name:           _ZN9rocsparseL46csrmvn_preprocess_device_32_bins_3phase_phase3ILj256EiiEEvT1_PKT0_PKS1_S6_PS1_
    .private_segment_fixed_size: 0
    .sgpr_count:     20
    .sgpr_spill_count: 0
    .symbol:         _ZN9rocsparseL46csrmvn_preprocess_device_32_bins_3phase_phase3ILj256EiiEEvT1_PKT0_PKS1_S6_PS1_.kd
    .uniform_work_group_size: 1
    .uses_dynamic_stack: false
    .vgpr_count:     15
    .vgpr_spill_count: 0
    .wavefront_size: 64
  - .agpr_count:     0
    .args:
      - .offset:         0
        .size:           4
        .value_kind:     by_value
      - .address_space:  global
        .offset:         8
        .size:           8
        .value_kind:     global_buffer
      - .address_space:  global
        .offset:         16
        .size:           8
        .value_kind:     global_buffer
      - .address_space:  global
        .offset:         24
        .size:           8
        .value_kind:     global_buffer
      - .offset:         32
        .size:           4
        .value_kind:     hidden_block_count_x
      - .offset:         36
        .size:           4
        .value_kind:     hidden_block_count_y
      - .offset:         40
        .size:           4
        .value_kind:     hidden_block_count_z
      - .offset:         44
        .size:           2
        .value_kind:     hidden_group_size_x
      - .offset:         46
        .size:           2
        .value_kind:     hidden_group_size_y
      - .offset:         48
        .size:           2
        .value_kind:     hidden_group_size_z
      - .offset:         50
        .size:           2
        .value_kind:     hidden_remainder_x
      - .offset:         52
        .size:           2
        .value_kind:     hidden_remainder_y
      - .offset:         54
        .size:           2
        .value_kind:     hidden_remainder_z
      - .offset:         72
        .size:           8
        .value_kind:     hidden_global_offset_x
      - .offset:         80
        .size:           8
        .value_kind:     hidden_global_offset_y
      - .offset:         88
        .size:           8
        .value_kind:     hidden_global_offset_z
      - .offset:         96
        .size:           2
        .value_kind:     hidden_grid_dims
    .group_segment_fixed_size: 0
    .kernarg_segment_align: 8
    .kernarg_segment_size: 288
    .language:       OpenCL C
    .language_version:
      - 2
      - 0
    .max_flat_workgroup_size: 256
    .name:           _ZN9rocsparseL46csrmvn_preprocess_device_32_bins_3phase_phase1ILj256EliEEvT1_PKT0_PS1_S5_
    .private_segment_fixed_size: 0
    .sgpr_count:     24
    .sgpr_spill_count: 0
    .symbol:         _ZN9rocsparseL46csrmvn_preprocess_device_32_bins_3phase_phase1ILj256EliEEvT1_PKT0_PS1_S5_.kd
    .uniform_work_group_size: 1
    .uses_dynamic_stack: false
    .vgpr_count:     36
    .vgpr_spill_count: 0
    .wavefront_size: 64
  - .agpr_count:     0
    .args:
      - .offset:         0
        .size:           4
        .value_kind:     by_value
      - .address_space:  global
        .offset:         8
        .size:           8
        .value_kind:     global_buffer
      - .address_space:  global
        .offset:         16
        .size:           8
        .value_kind:     global_buffer
      - .address_space:  global
        .offset:         24
        .size:           8
        .value_kind:     global_buffer
      - .address_space:  global
        .offset:         32
        .size:           8
        .value_kind:     global_buffer
      - .offset:         40
        .size:           4
        .value_kind:     hidden_block_count_x
      - .offset:         44
        .size:           4
        .value_kind:     hidden_block_count_y
      - .offset:         48
        .size:           4
        .value_kind:     hidden_block_count_z
      - .offset:         52
        .size:           2
        .value_kind:     hidden_group_size_x
      - .offset:         54
        .size:           2
        .value_kind:     hidden_group_size_y
      - .offset:         56
        .size:           2
        .value_kind:     hidden_group_size_z
      - .offset:         58
        .size:           2
        .value_kind:     hidden_remainder_x
      - .offset:         60
        .size:           2
        .value_kind:     hidden_remainder_y
      - .offset:         62
        .size:           2
        .value_kind:     hidden_remainder_z
      - .offset:         80
        .size:           8
        .value_kind:     hidden_global_offset_x
      - .offset:         88
        .size:           8
        .value_kind:     hidden_global_offset_y
      - .offset:         96
        .size:           8
        .value_kind:     hidden_global_offset_z
      - .offset:         104
        .size:           2
        .value_kind:     hidden_grid_dims
    .group_segment_fixed_size: 0
    .kernarg_segment_align: 8
    .kernarg_segment_size: 296
    .language:       OpenCL C
    .language_version:
      - 2
      - 0
    .max_flat_workgroup_size: 256
    .name:           _ZN9rocsparseL46csrmvn_preprocess_device_32_bins_3phase_phase3ILj256EliEEvT1_PKT0_PKS1_S6_PS1_
    .private_segment_fixed_size: 0
    .sgpr_count:     26
    .sgpr_spill_count: 0
    .symbol:         _ZN9rocsparseL46csrmvn_preprocess_device_32_bins_3phase_phase3ILj256EliEEvT1_PKT0_PKS1_S6_PS1_.kd
    .uniform_work_group_size: 1
    .uses_dynamic_stack: false
    .vgpr_count:     36
    .vgpr_spill_count: 0
    .wavefront_size: 64
  - .agpr_count:     0
    .args:
      - .offset:         0
        .size:           8
        .value_kind:     by_value
      - .address_space:  global
        .offset:         8
        .size:           8
        .value_kind:     global_buffer
      - .address_space:  global
        .offset:         16
        .size:           8
        .value_kind:     global_buffer
      - .address_space:  global
        .offset:         24
        .size:           8
        .value_kind:     global_buffer
      - .offset:         32
        .size:           4
        .value_kind:     hidden_block_count_x
      - .offset:         36
        .size:           4
        .value_kind:     hidden_block_count_y
      - .offset:         40
        .size:           4
        .value_kind:     hidden_block_count_z
      - .offset:         44
        .size:           2
        .value_kind:     hidden_group_size_x
      - .offset:         46
        .size:           2
        .value_kind:     hidden_group_size_y
      - .offset:         48
        .size:           2
        .value_kind:     hidden_group_size_z
      - .offset:         50
        .size:           2
        .value_kind:     hidden_remainder_x
      - .offset:         52
        .size:           2
        .value_kind:     hidden_remainder_y
      - .offset:         54
        .size:           2
        .value_kind:     hidden_remainder_z
      - .offset:         72
        .size:           8
        .value_kind:     hidden_global_offset_x
      - .offset:         80
        .size:           8
        .value_kind:     hidden_global_offset_y
      - .offset:         88
        .size:           8
        .value_kind:     hidden_global_offset_z
      - .offset:         96
        .size:           2
        .value_kind:     hidden_grid_dims
    .group_segment_fixed_size: 0
    .kernarg_segment_align: 8
    .kernarg_segment_size: 288
    .language:       OpenCL C
    .language_version:
      - 2
      - 0
    .max_flat_workgroup_size: 256
    .name:           _ZN9rocsparseL46csrmvn_preprocess_device_32_bins_3phase_phase1ILj256EllEEvT1_PKT0_PS1_S5_
    .private_segment_fixed_size: 0
    .sgpr_count:     28
    .sgpr_spill_count: 0
    .symbol:         _ZN9rocsparseL46csrmvn_preprocess_device_32_bins_3phase_phase1ILj256EllEEvT1_PKT0_PS1_S5_.kd
    .uniform_work_group_size: 1
    .uses_dynamic_stack: false
    .vgpr_count:     38
    .vgpr_spill_count: 0
    .wavefront_size: 64
  - .agpr_count:     0
    .args:
      - .address_space:  global
        .offset:         0
        .size:           8
        .value_kind:     global_buffer
    .group_segment_fixed_size: 0
    .kernarg_segment_align: 8
    .kernarg_segment_size: 8
    .language:       OpenCL C
    .language_version:
      - 2
      - 0
    .max_flat_workgroup_size: 1
    .name:           _ZN9rocsparseL46csrmvn_preprocess_device_32_bins_3phase_phase2IlEEvPT_
    .private_segment_fixed_size: 0
    .sgpr_count:     40
    .sgpr_spill_count: 0
    .symbol:         _ZN9rocsparseL46csrmvn_preprocess_device_32_bins_3phase_phase2IlEEvPT_.kd
    .uniform_work_group_size: 1
    .uses_dynamic_stack: false
    .vgpr_count:     6
    .vgpr_spill_count: 0
    .wavefront_size: 64
  - .agpr_count:     0
    .args:
      - .offset:         0
        .size:           8
        .value_kind:     by_value
      - .address_space:  global
        .offset:         8
        .size:           8
        .value_kind:     global_buffer
      - .address_space:  global
        .offset:         16
        .size:           8
        .value_kind:     global_buffer
      - .address_space:  global
        .offset:         24
        .size:           8
        .value_kind:     global_buffer
      - .address_space:  global
        .offset:         32
        .size:           8
        .value_kind:     global_buffer
      - .offset:         40
        .size:           4
        .value_kind:     hidden_block_count_x
      - .offset:         44
        .size:           4
        .value_kind:     hidden_block_count_y
      - .offset:         48
        .size:           4
        .value_kind:     hidden_block_count_z
      - .offset:         52
        .size:           2
        .value_kind:     hidden_group_size_x
      - .offset:         54
        .size:           2
        .value_kind:     hidden_group_size_y
      - .offset:         56
        .size:           2
        .value_kind:     hidden_group_size_z
      - .offset:         58
        .size:           2
        .value_kind:     hidden_remainder_x
      - .offset:         60
        .size:           2
        .value_kind:     hidden_remainder_y
      - .offset:         62
        .size:           2
        .value_kind:     hidden_remainder_z
      - .offset:         80
        .size:           8
        .value_kind:     hidden_global_offset_x
      - .offset:         88
        .size:           8
        .value_kind:     hidden_global_offset_y
      - .offset:         96
        .size:           8
        .value_kind:     hidden_global_offset_z
      - .offset:         104
        .size:           2
        .value_kind:     hidden_grid_dims
    .group_segment_fixed_size: 0
    .kernarg_segment_align: 8
    .kernarg_segment_size: 296
    .language:       OpenCL C
    .language_version:
      - 2
      - 0
    .max_flat_workgroup_size: 256
    .name:           _ZN9rocsparseL46csrmvn_preprocess_device_32_bins_3phase_phase3ILj256EllEEvT1_PKT0_PKS1_S6_PS1_
    .private_segment_fixed_size: 0
    .sgpr_count:     30
    .sgpr_spill_count: 0
    .symbol:         _ZN9rocsparseL46csrmvn_preprocess_device_32_bins_3phase_phase3ILj256EllEEvT1_PKT0_PKS1_S6_PS1_.kd
    .uniform_work_group_size: 1
    .uses_dynamic_stack: false
    .vgpr_count:     38
    .vgpr_spill_count: 0
    .wavefront_size: 64
  - .agpr_count:     0
    .args:
      - .offset:         0
        .size:           1
        .value_kind:     by_value
      - .offset:         4
        .size:           4
        .value_kind:     by_value
      - .actual_access:  read_only
        .address_space:  global
        .offset:         8
        .size:           8
        .value_kind:     global_buffer
      - .actual_access:  read_only
        .address_space:  global
        .offset:         16
        .size:           8
        .value_kind:     global_buffer
      - .offset:         24
        .size:           4
        .value_kind:     by_value
      - .offset:         32
        .size:           8
        .value_kind:     by_value
      - .actual_access:  read_only
        .address_space:  global
        .offset:         40
        .size:           8
        .value_kind:     global_buffer
      - .actual_access:  read_only
        .address_space:  global
        .offset:         48
        .size:           8
        .value_kind:     global_buffer
      - .actual_access:  read_only
        .address_space:  global
        .offset:         56
        .size:           8
        .value_kind:     global_buffer
      - .actual_access:  read_only
        .address_space:  global
        .offset:         64
        .size:           8
        .value_kind:     global_buffer
      - .offset:         72
        .size:           8
        .value_kind:     by_value
      - .address_space:  global
        .offset:         80
        .size:           8
        .value_kind:     global_buffer
      - .offset:         88
        .size:           4
        .value_kind:     by_value
      - .offset:         92
        .size:           1
        .value_kind:     by_value
    .group_segment_fixed_size: 0
    .kernarg_segment_align: 8
    .kernarg_segment_size: 96
    .language:       OpenCL C
    .language_version:
      - 2
      - 0
    .max_flat_workgroup_size: 256
    .name:           _ZN9rocsparseL28csrmvn_lrb_short_rows_kernelIiiffffEEvbT_PT0_S3_jNS_24const_host_device_scalarIT4_EEPKS1_PKS2_PKT1_PKT2_S6_PT3_21rocsparse_index_base_b
    .private_segment_fixed_size: 0
    .sgpr_count:     29
    .sgpr_spill_count: 0
    .symbol:         _ZN9rocsparseL28csrmvn_lrb_short_rows_kernelIiiffffEEvbT_PT0_S3_jNS_24const_host_device_scalarIT4_EEPKS1_PKS2_PKT1_PKT2_S6_PT3_21rocsparse_index_base_b.kd
    .uniform_work_group_size: 1
    .uses_dynamic_stack: false
    .vgpr_count:     10
    .vgpr_spill_count: 0
    .wavefront_size: 64
  - .agpr_count:     0
    .args:
      - .offset:         0
        .size:           1
        .value_kind:     by_value
      - .offset:         4
        .size:           4
        .value_kind:     by_value
      - .actual_access:  read_only
        .address_space:  global
        .offset:         8
        .size:           8
        .value_kind:     global_buffer
      - .actual_access:  read_only
        .address_space:  global
        .offset:         16
        .size:           8
        .value_kind:     global_buffer
      - .offset:         24
        .size:           4
        .value_kind:     by_value
      - .offset:         32
        .size:           8
        .value_kind:     by_value
      - .actual_access:  read_only
        .address_space:  global
        .offset:         40
        .size:           8
        .value_kind:     global_buffer
      - .actual_access:  read_only
        .address_space:  global
        .offset:         48
        .size:           8
        .value_kind:     global_buffer
      - .actual_access:  read_only
        .address_space:  global
        .offset:         56
        .size:           8
        .value_kind:     global_buffer
      - .actual_access:  read_only
        .address_space:  global
        .offset:         64
        .size:           8
        .value_kind:     global_buffer
      - .offset:         72
        .size:           8
        .value_kind:     by_value
      - .address_space:  global
        .offset:         80
        .size:           8
        .value_kind:     global_buffer
      - .offset:         88
        .size:           4
        .value_kind:     by_value
      - .offset:         92
        .size:           1
        .value_kind:     by_value
    .group_segment_fixed_size: 4096
    .kernarg_segment_align: 8
    .kernarg_segment_size: 96
    .language:       OpenCL C
    .language_version:
      - 2
      - 0
    .max_flat_workgroup_size: 256
    .name:           _ZN9rocsparseL30csrmvn_lrb_short_rows_2_kernelIiiffffEEvbT_PT0_S3_jNS_24const_host_device_scalarIT4_EEPKS1_PKS2_PKT1_PKT2_S6_PT3_21rocsparse_index_base_b
    .private_segment_fixed_size: 0
    .sgpr_count:     32
    .sgpr_spill_count: 0
    .symbol:         _ZN9rocsparseL30csrmvn_lrb_short_rows_2_kernelIiiffffEEvbT_PT0_S3_jNS_24const_host_device_scalarIT4_EEPKS1_PKS2_PKT1_PKT2_S6_PT3_21rocsparse_index_base_b.kd
    .uniform_work_group_size: 1
    .uses_dynamic_stack: false
    .vgpr_count:     8
    .vgpr_spill_count: 0
    .wavefront_size: 64
  - .agpr_count:     0
    .args:
      - .offset:         0
        .size:           1
        .value_kind:     by_value
      - .offset:         4
        .size:           4
        .value_kind:     by_value
      - .offset:         8
        .size:           8
        .value_kind:     by_value
      - .actual_access:  read_only
        .address_space:  global
        .offset:         16
        .size:           8
        .value_kind:     global_buffer
      - .actual_access:  read_only
        .address_space:  global
        .offset:         24
        .size:           8
        .value_kind:     global_buffer
      - .offset:         32
        .size:           4
        .value_kind:     by_value
      - .offset:         40
        .size:           8
        .value_kind:     by_value
      - .actual_access:  read_only
        .address_space:  global
        .offset:         48
        .size:           8
        .value_kind:     global_buffer
      - .actual_access:  read_only
        .address_space:  global
        .offset:         56
        .size:           8
        .value_kind:     global_buffer
      - .actual_access:  read_only
        .address_space:  global
        .offset:         64
        .size:           8
        .value_kind:     global_buffer
      - .actual_access:  read_only
        .address_space:  global
        .offset:         72
        .size:           8
        .value_kind:     global_buffer
      - .offset:         80
        .size:           8
        .value_kind:     by_value
      - .address_space:  global
        .offset:         88
        .size:           8
        .value_kind:     global_buffer
      - .offset:         96
        .size:           4
        .value_kind:     by_value
      - .offset:         100
        .size:           1
        .value_kind:     by_value
    .group_segment_fixed_size: 0
    .kernarg_segment_align: 8
    .kernarg_segment_size: 104
    .language:       OpenCL C
    .language_version:
      - 2
      - 0
    .max_flat_workgroup_size: 256
    .name:           _ZN9rocsparseL41csrmvn_lrb_medium_rows_warp_reduce_kernelILj256ELj32EiiffffEEvbT1_lPT2_S3_jNS_24const_host_device_scalarIT6_EEPKS1_PKS2_PKT3_PKT4_S6_PT5_21rocsparse_index_base_b
    .private_segment_fixed_size: 0
    .sgpr_count:     22
    .sgpr_spill_count: 0
    .symbol:         _ZN9rocsparseL41csrmvn_lrb_medium_rows_warp_reduce_kernelILj256ELj32EiiffffEEvbT1_lPT2_S3_jNS_24const_host_device_scalarIT6_EEPKS1_PKS2_PKT3_PKT4_S6_PT5_21rocsparse_index_base_b.kd
    .uniform_work_group_size: 1
    .uses_dynamic_stack: false
    .vgpr_count:     14
    .vgpr_spill_count: 0
    .wavefront_size: 64
  - .agpr_count:     0
    .args:
      - .offset:         0
        .size:           1
        .value_kind:     by_value
      - .offset:         4
        .size:           4
        .value_kind:     by_value
      - .offset:         8
        .size:           8
        .value_kind:     by_value
      - .actual_access:  read_only
        .address_space:  global
        .offset:         16
        .size:           8
        .value_kind:     global_buffer
      - .actual_access:  read_only
        .address_space:  global
        .offset:         24
        .size:           8
        .value_kind:     global_buffer
      - .offset:         32
        .size:           4
        .value_kind:     by_value
      - .offset:         40
        .size:           8
        .value_kind:     by_value
      - .actual_access:  read_only
        .address_space:  global
        .offset:         48
        .size:           8
        .value_kind:     global_buffer
      - .actual_access:  read_only
        .address_space:  global
        .offset:         56
        .size:           8
        .value_kind:     global_buffer
      - .actual_access:  read_only
        .address_space:  global
        .offset:         64
        .size:           8
        .value_kind:     global_buffer
      - .actual_access:  read_only
        .address_space:  global
        .offset:         72
        .size:           8
        .value_kind:     global_buffer
      - .offset:         80
        .size:           8
        .value_kind:     by_value
      - .address_space:  global
        .offset:         88
        .size:           8
        .value_kind:     global_buffer
      - .offset:         96
        .size:           4
        .value_kind:     by_value
      - .offset:         100
        .size:           1
        .value_kind:     by_value
    .group_segment_fixed_size: 0
    .kernarg_segment_align: 8
    .kernarg_segment_size: 104
    .language:       OpenCL C
    .language_version:
      - 2
      - 0
    .max_flat_workgroup_size: 256
    .name:           _ZN9rocsparseL41csrmvn_lrb_medium_rows_warp_reduce_kernelILj256ELj64EiiffffEEvbT1_lPT2_S3_jNS_24const_host_device_scalarIT6_EEPKS1_PKS2_PKT3_PKT4_S6_PT5_21rocsparse_index_base_b
    .private_segment_fixed_size: 0
    .sgpr_count:     22
    .sgpr_spill_count: 0
    .symbol:         _ZN9rocsparseL41csrmvn_lrb_medium_rows_warp_reduce_kernelILj256ELj64EiiffffEEvbT1_lPT2_S3_jNS_24const_host_device_scalarIT6_EEPKS1_PKS2_PKT3_PKT4_S6_PT5_21rocsparse_index_base_b.kd
    .uniform_work_group_size: 1
    .uses_dynamic_stack: false
    .vgpr_count:     14
    .vgpr_spill_count: 0
    .wavefront_size: 64
  - .agpr_count:     0
    .args:
      - .offset:         0
        .size:           1
        .value_kind:     by_value
      - .offset:         4
        .size:           4
        .value_kind:     by_value
      - .actual_access:  read_only
        .address_space:  global
        .offset:         8
        .size:           8
        .value_kind:     global_buffer
      - .actual_access:  read_only
        .address_space:  global
        .offset:         16
        .size:           8
        .value_kind:     global_buffer
      - .offset:         24
        .size:           4
        .value_kind:     by_value
      - .offset:         32
        .size:           8
        .value_kind:     by_value
      - .actual_access:  read_only
        .address_space:  global
        .offset:         40
        .size:           8
        .value_kind:     global_buffer
      - .actual_access:  read_only
        .address_space:  global
        .offset:         48
        .size:           8
        .value_kind:     global_buffer
      - .actual_access:  read_only
        .address_space:  global
        .offset:         56
        .size:           8
        .value_kind:     global_buffer
      - .actual_access:  read_only
        .address_space:  global
        .offset:         64
        .size:           8
        .value_kind:     global_buffer
      - .offset:         72
        .size:           8
        .value_kind:     by_value
      - .address_space:  global
        .offset:         80
        .size:           8
        .value_kind:     global_buffer
      - .offset:         88
        .size:           4
        .value_kind:     by_value
      - .offset:         92
        .size:           1
        .value_kind:     by_value
    .group_segment_fixed_size: 1024
    .kernarg_segment_align: 8
    .kernarg_segment_size: 96
    .language:       OpenCL C
    .language_version:
      - 2
      - 0
    .max_flat_workgroup_size: 256
    .name:           _ZN9rocsparseL29csrmvn_lrb_medium_rows_kernelILj256EiiffffEEvbT0_PT1_S3_jNS_24const_host_device_scalarIT5_EEPKS1_PKS2_PKT2_PKT3_S6_PT4_21rocsparse_index_base_b
    .private_segment_fixed_size: 0
    .sgpr_count:     24
    .sgpr_spill_count: 0
    .symbol:         _ZN9rocsparseL29csrmvn_lrb_medium_rows_kernelILj256EiiffffEEvbT0_PT1_S3_jNS_24const_host_device_scalarIT5_EEPKS1_PKS2_PKT2_PKT3_S6_PT4_21rocsparse_index_base_b.kd
    .uniform_work_group_size: 1
    .uses_dynamic_stack: false
    .vgpr_count:     12
    .vgpr_spill_count: 0
    .wavefront_size: 64
  - .agpr_count:     0
    .args:
      - .offset:         0
        .size:           1
        .value_kind:     by_value
      - .offset:         4
        .size:           4
        .value_kind:     by_value
      - .address_space:  global
        .offset:         8
        .size:           8
        .value_kind:     global_buffer
      - .actual_access:  read_only
        .address_space:  global
        .offset:         16
        .size:           8
        .value_kind:     global_buffer
      - .actual_access:  read_only
        .address_space:  global
        .offset:         24
        .size:           8
        .value_kind:     global_buffer
      - .offset:         32
        .size:           4
        .value_kind:     by_value
      - .offset:         40
        .size:           8
        .value_kind:     by_value
      - .actual_access:  read_only
        .address_space:  global
        .offset:         48
        .size:           8
        .value_kind:     global_buffer
      - .actual_access:  read_only
        .address_space:  global
        .offset:         56
        .size:           8
        .value_kind:     global_buffer
      - .actual_access:  read_only
        .address_space:  global
        .offset:         64
        .size:           8
        .value_kind:     global_buffer
      - .actual_access:  read_only
        .address_space:  global
        .offset:         72
        .size:           8
        .value_kind:     global_buffer
      - .offset:         80
        .size:           8
        .value_kind:     by_value
      - .address_space:  global
        .offset:         88
        .size:           8
        .value_kind:     global_buffer
      - .offset:         96
        .size:           4
        .value_kind:     by_value
      - .offset:         100
        .size:           1
        .value_kind:     by_value
    .group_segment_fixed_size: 1024
    .kernarg_segment_align: 8
    .kernarg_segment_size: 104
    .language:       OpenCL C
    .language_version:
      - 2
      - 0
    .max_flat_workgroup_size: 256
    .name:           _ZN9rocsparseL27csrmvn_lrb_long_rows_kernelIiiffffEEvbT_PjPT0_S4_jNS_24const_host_device_scalarIT4_EEPKS1_PKS3_PKT1_PKT2_S7_PT3_21rocsparse_index_base_b
    .private_segment_fixed_size: 0
    .sgpr_count:     32
    .sgpr_spill_count: 0
    .symbol:         _ZN9rocsparseL27csrmvn_lrb_long_rows_kernelIiiffffEEvbT_PjPT0_S4_jNS_24const_host_device_scalarIT4_EEPKS1_PKS3_PKT1_PKT2_S7_PT3_21rocsparse_index_base_b.kd
    .uniform_work_group_size: 1
    .uses_dynamic_stack: false
    .vgpr_count:     12
    .vgpr_spill_count: 0
    .wavefront_size: 64
  - .agpr_count:     0
    .args:
      - .offset:         0
        .size:           1
        .value_kind:     by_value
      - .offset:         8
        .size:           8
        .value_kind:     by_value
      - .actual_access:  read_only
        .address_space:  global
        .offset:         16
        .size:           8
        .value_kind:     global_buffer
      - .actual_access:  read_only
        .address_space:  global
        .offset:         24
        .size:           8
        .value_kind:     global_buffer
      - .offset:         32
        .size:           4
        .value_kind:     by_value
      - .offset:         40
        .size:           8
        .value_kind:     by_value
      - .actual_access:  read_only
        .address_space:  global
        .offset:         48
        .size:           8
        .value_kind:     global_buffer
      - .actual_access:  read_only
        .address_space:  global
        .offset:         56
        .size:           8
        .value_kind:     global_buffer
      - .actual_access:  read_only
        .address_space:  global
        .offset:         64
        .size:           8
        .value_kind:     global_buffer
      - .actual_access:  read_only
        .address_space:  global
        .offset:         72
        .size:           8
        .value_kind:     global_buffer
      - .offset:         80
        .size:           8
        .value_kind:     by_value
      - .address_space:  global
        .offset:         88
        .size:           8
        .value_kind:     global_buffer
      - .offset:         96
        .size:           4
        .value_kind:     by_value
      - .offset:         100
        .size:           1
        .value_kind:     by_value
    .group_segment_fixed_size: 0
    .kernarg_segment_align: 8
    .kernarg_segment_size: 104
    .language:       OpenCL C
    .language_version:
      - 2
      - 0
    .max_flat_workgroup_size: 256
    .name:           _ZN9rocsparseL28csrmvn_lrb_short_rows_kernelIliffffEEvbT_PT0_S3_jNS_24const_host_device_scalarIT4_EEPKS1_PKS2_PKT1_PKT2_S6_PT3_21rocsparse_index_base_b
    .private_segment_fixed_size: 0
    .sgpr_count:     30
    .sgpr_spill_count: 0
    .symbol:         _ZN9rocsparseL28csrmvn_lrb_short_rows_kernelIliffffEEvbT_PT0_S3_jNS_24const_host_device_scalarIT4_EEPKS1_PKS2_PKT1_PKT2_S6_PT3_21rocsparse_index_base_b.kd
    .uniform_work_group_size: 1
    .uses_dynamic_stack: false
    .vgpr_count:     10
    .vgpr_spill_count: 0
    .wavefront_size: 64
  - .agpr_count:     0
    .args:
      - .offset:         0
        .size:           1
        .value_kind:     by_value
      - .offset:         8
        .size:           8
        .value_kind:     by_value
      - .actual_access:  read_only
        .address_space:  global
        .offset:         16
        .size:           8
        .value_kind:     global_buffer
      - .actual_access:  read_only
        .address_space:  global
        .offset:         24
        .size:           8
        .value_kind:     global_buffer
      - .offset:         32
        .size:           4
        .value_kind:     by_value
      - .offset:         40
        .size:           8
        .value_kind:     by_value
      - .actual_access:  read_only
        .address_space:  global
        .offset:         48
        .size:           8
        .value_kind:     global_buffer
      - .actual_access:  read_only
        .address_space:  global
        .offset:         56
        .size:           8
        .value_kind:     global_buffer
      - .actual_access:  read_only
        .address_space:  global
        .offset:         64
        .size:           8
        .value_kind:     global_buffer
      - .actual_access:  read_only
        .address_space:  global
        .offset:         72
        .size:           8
        .value_kind:     global_buffer
      - .offset:         80
        .size:           8
        .value_kind:     by_value
      - .address_space:  global
        .offset:         88
        .size:           8
        .value_kind:     global_buffer
      - .offset:         96
        .size:           4
        .value_kind:     by_value
      - .offset:         100
        .size:           1
        .value_kind:     by_value
    .group_segment_fixed_size: 4096
    .kernarg_segment_align: 8
    .kernarg_segment_size: 104
    .language:       OpenCL C
    .language_version:
      - 2
      - 0
    .max_flat_workgroup_size: 256
    .name:           _ZN9rocsparseL30csrmvn_lrb_short_rows_2_kernelIliffffEEvbT_PT0_S3_jNS_24const_host_device_scalarIT4_EEPKS1_PKS2_PKT1_PKT2_S6_PT3_21rocsparse_index_base_b
    .private_segment_fixed_size: 0
    .sgpr_count:     32
    .sgpr_spill_count: 0
    .symbol:         _ZN9rocsparseL30csrmvn_lrb_short_rows_2_kernelIliffffEEvbT_PT0_S3_jNS_24const_host_device_scalarIT4_EEPKS1_PKS2_PKT1_PKT2_S6_PT3_21rocsparse_index_base_b.kd
    .uniform_work_group_size: 1
    .uses_dynamic_stack: false
    .vgpr_count:     10
    .vgpr_spill_count: 0
    .wavefront_size: 64
  - .agpr_count:     0
    .args:
      - .offset:         0
        .size:           1
        .value_kind:     by_value
      - .offset:         8
        .size:           8
        .value_kind:     by_value
      - .offset:         16
        .size:           8
        .value_kind:     by_value
      - .actual_access:  read_only
        .address_space:  global
        .offset:         24
        .size:           8
        .value_kind:     global_buffer
      - .actual_access:  read_only
        .address_space:  global
        .offset:         32
        .size:           8
        .value_kind:     global_buffer
      - .offset:         40
        .size:           4
        .value_kind:     by_value
      - .offset:         48
        .size:           8
        .value_kind:     by_value
      - .actual_access:  read_only
        .address_space:  global
        .offset:         56
        .size:           8
        .value_kind:     global_buffer
      - .actual_access:  read_only
        .address_space:  global
        .offset:         64
        .size:           8
        .value_kind:     global_buffer
      - .actual_access:  read_only
        .address_space:  global
        .offset:         72
        .size:           8
        .value_kind:     global_buffer
      - .actual_access:  read_only
        .address_space:  global
        .offset:         80
        .size:           8
        .value_kind:     global_buffer
      - .offset:         88
        .size:           8
        .value_kind:     by_value
      - .address_space:  global
        .offset:         96
        .size:           8
        .value_kind:     global_buffer
      - .offset:         104
        .size:           4
        .value_kind:     by_value
      - .offset:         108
        .size:           1
        .value_kind:     by_value
    .group_segment_fixed_size: 0
    .kernarg_segment_align: 8
    .kernarg_segment_size: 112
    .language:       OpenCL C
    .language_version:
      - 2
      - 0
    .max_flat_workgroup_size: 256
    .name:           _ZN9rocsparseL41csrmvn_lrb_medium_rows_warp_reduce_kernelILj256ELj32EliffffEEvbT1_lPT2_S3_jNS_24const_host_device_scalarIT6_EEPKS1_PKS2_PKT3_PKT4_S6_PT5_21rocsparse_index_base_b
    .private_segment_fixed_size: 0
    .sgpr_count:     24
    .sgpr_spill_count: 0
    .symbol:         _ZN9rocsparseL41csrmvn_lrb_medium_rows_warp_reduce_kernelILj256ELj32EliffffEEvbT1_lPT2_S3_jNS_24const_host_device_scalarIT6_EEPKS1_PKS2_PKT3_PKT4_S6_PT5_21rocsparse_index_base_b.kd
    .uniform_work_group_size: 1
    .uses_dynamic_stack: false
    .vgpr_count:     17
    .vgpr_spill_count: 0
    .wavefront_size: 64
  - .agpr_count:     0
    .args:
      - .offset:         0
        .size:           1
        .value_kind:     by_value
      - .offset:         8
        .size:           8
        .value_kind:     by_value
      - .offset:         16
        .size:           8
        .value_kind:     by_value
      - .actual_access:  read_only
        .address_space:  global
        .offset:         24
        .size:           8
        .value_kind:     global_buffer
      - .actual_access:  read_only
        .address_space:  global
        .offset:         32
        .size:           8
        .value_kind:     global_buffer
      - .offset:         40
        .size:           4
        .value_kind:     by_value
      - .offset:         48
        .size:           8
        .value_kind:     by_value
      - .actual_access:  read_only
        .address_space:  global
        .offset:         56
        .size:           8
        .value_kind:     global_buffer
      - .actual_access:  read_only
        .address_space:  global
        .offset:         64
        .size:           8
        .value_kind:     global_buffer
      - .actual_access:  read_only
        .address_space:  global
        .offset:         72
        .size:           8
        .value_kind:     global_buffer
      - .actual_access:  read_only
        .address_space:  global
        .offset:         80
        .size:           8
        .value_kind:     global_buffer
      - .offset:         88
        .size:           8
        .value_kind:     by_value
      - .address_space:  global
        .offset:         96
        .size:           8
        .value_kind:     global_buffer
      - .offset:         104
        .size:           4
        .value_kind:     by_value
      - .offset:         108
        .size:           1
        .value_kind:     by_value
    .group_segment_fixed_size: 0
    .kernarg_segment_align: 8
    .kernarg_segment_size: 112
    .language:       OpenCL C
    .language_version:
      - 2
      - 0
    .max_flat_workgroup_size: 256
    .name:           _ZN9rocsparseL41csrmvn_lrb_medium_rows_warp_reduce_kernelILj256ELj64EliffffEEvbT1_lPT2_S3_jNS_24const_host_device_scalarIT6_EEPKS1_PKS2_PKT3_PKT4_S6_PT5_21rocsparse_index_base_b
    .private_segment_fixed_size: 0
    .sgpr_count:     24
    .sgpr_spill_count: 0
    .symbol:         _ZN9rocsparseL41csrmvn_lrb_medium_rows_warp_reduce_kernelILj256ELj64EliffffEEvbT1_lPT2_S3_jNS_24const_host_device_scalarIT6_EEPKS1_PKS2_PKT3_PKT4_S6_PT5_21rocsparse_index_base_b.kd
    .uniform_work_group_size: 1
    .uses_dynamic_stack: false
    .vgpr_count:     17
    .vgpr_spill_count: 0
    .wavefront_size: 64
  - .agpr_count:     0
    .args:
      - .offset:         0
        .size:           1
        .value_kind:     by_value
      - .offset:         8
        .size:           8
        .value_kind:     by_value
      - .actual_access:  read_only
        .address_space:  global
        .offset:         16
        .size:           8
        .value_kind:     global_buffer
      - .actual_access:  read_only
        .address_space:  global
        .offset:         24
        .size:           8
        .value_kind:     global_buffer
      - .offset:         32
        .size:           4
        .value_kind:     by_value
      - .offset:         40
        .size:           8
        .value_kind:     by_value
      - .actual_access:  read_only
        .address_space:  global
        .offset:         48
        .size:           8
        .value_kind:     global_buffer
      - .actual_access:  read_only
        .address_space:  global
        .offset:         56
        .size:           8
        .value_kind:     global_buffer
      - .actual_access:  read_only
        .address_space:  global
        .offset:         64
        .size:           8
        .value_kind:     global_buffer
      - .actual_access:  read_only
        .address_space:  global
        .offset:         72
        .size:           8
        .value_kind:     global_buffer
      - .offset:         80
        .size:           8
        .value_kind:     by_value
      - .address_space:  global
        .offset:         88
        .size:           8
        .value_kind:     global_buffer
      - .offset:         96
        .size:           4
        .value_kind:     by_value
      - .offset:         100
        .size:           1
        .value_kind:     by_value
    .group_segment_fixed_size: 1024
    .kernarg_segment_align: 8
    .kernarg_segment_size: 104
    .language:       OpenCL C
    .language_version:
      - 2
      - 0
    .max_flat_workgroup_size: 256
    .name:           _ZN9rocsparseL29csrmvn_lrb_medium_rows_kernelILj256EliffffEEvbT0_PT1_S3_jNS_24const_host_device_scalarIT5_EEPKS1_PKS2_PKT2_PKT3_S6_PT4_21rocsparse_index_base_b
    .private_segment_fixed_size: 0
    .sgpr_count:     28
    .sgpr_spill_count: 0
    .symbol:         _ZN9rocsparseL29csrmvn_lrb_medium_rows_kernelILj256EliffffEEvbT0_PT1_S3_jNS_24const_host_device_scalarIT5_EEPKS1_PKS2_PKT2_PKT3_S6_PT4_21rocsparse_index_base_b.kd
    .uniform_work_group_size: 1
    .uses_dynamic_stack: false
    .vgpr_count:     13
    .vgpr_spill_count: 0
    .wavefront_size: 64
  - .agpr_count:     0
    .args:
      - .offset:         0
        .size:           1
        .value_kind:     by_value
      - .offset:         8
        .size:           8
        .value_kind:     by_value
      - .address_space:  global
        .offset:         16
        .size:           8
        .value_kind:     global_buffer
      - .actual_access:  read_only
        .address_space:  global
        .offset:         24
        .size:           8
        .value_kind:     global_buffer
      - .actual_access:  read_only
        .address_space:  global
        .offset:         32
        .size:           8
        .value_kind:     global_buffer
      - .offset:         40
        .size:           4
        .value_kind:     by_value
      - .offset:         48
        .size:           8
        .value_kind:     by_value
      - .actual_access:  read_only
        .address_space:  global
        .offset:         56
        .size:           8
        .value_kind:     global_buffer
      - .actual_access:  read_only
        .address_space:  global
        .offset:         64
        .size:           8
        .value_kind:     global_buffer
      - .actual_access:  read_only
        .address_space:  global
        .offset:         72
        .size:           8
        .value_kind:     global_buffer
      - .actual_access:  read_only
        .address_space:  global
        .offset:         80
        .size:           8
        .value_kind:     global_buffer
      - .offset:         88
        .size:           8
        .value_kind:     by_value
      - .address_space:  global
        .offset:         96
        .size:           8
        .value_kind:     global_buffer
      - .offset:         104
        .size:           4
        .value_kind:     by_value
      - .offset:         108
        .size:           1
        .value_kind:     by_value
    .group_segment_fixed_size: 1024
    .kernarg_segment_align: 8
    .kernarg_segment_size: 112
    .language:       OpenCL C
    .language_version:
      - 2
      - 0
    .max_flat_workgroup_size: 256
    .name:           _ZN9rocsparseL27csrmvn_lrb_long_rows_kernelIliffffEEvbT_PjPT0_S4_jNS_24const_host_device_scalarIT4_EEPKS1_PKS3_PKT1_PKT2_S7_PT3_21rocsparse_index_base_b
    .private_segment_fixed_size: 0
    .sgpr_count:     34
    .sgpr_spill_count: 0
    .symbol:         _ZN9rocsparseL27csrmvn_lrb_long_rows_kernelIliffffEEvbT_PjPT0_S4_jNS_24const_host_device_scalarIT4_EEPKS1_PKS3_PKT1_PKT2_S7_PT3_21rocsparse_index_base_b.kd
    .uniform_work_group_size: 1
    .uses_dynamic_stack: false
    .vgpr_count:     13
    .vgpr_spill_count: 0
    .wavefront_size: 64
  - .agpr_count:     0
    .args:
      - .offset:         0
        .size:           1
        .value_kind:     by_value
      - .offset:         8
        .size:           8
        .value_kind:     by_value
      - .actual_access:  read_only
        .address_space:  global
        .offset:         16
        .size:           8
        .value_kind:     global_buffer
      - .actual_access:  read_only
        .address_space:  global
        .offset:         24
        .size:           8
        .value_kind:     global_buffer
      - .offset:         32
        .size:           4
        .value_kind:     by_value
      - .offset:         40
        .size:           8
        .value_kind:     by_value
      - .actual_access:  read_only
        .address_space:  global
        .offset:         48
        .size:           8
        .value_kind:     global_buffer
      - .actual_access:  read_only
        .address_space:  global
        .offset:         56
        .size:           8
        .value_kind:     global_buffer
      - .actual_access:  read_only
        .address_space:  global
        .offset:         64
        .size:           8
        .value_kind:     global_buffer
      - .actual_access:  read_only
        .address_space:  global
        .offset:         72
        .size:           8
        .value_kind:     global_buffer
      - .offset:         80
        .size:           8
        .value_kind:     by_value
      - .address_space:  global
        .offset:         88
        .size:           8
        .value_kind:     global_buffer
      - .offset:         96
        .size:           4
        .value_kind:     by_value
      - .offset:         100
        .size:           1
        .value_kind:     by_value
    .group_segment_fixed_size: 0
    .kernarg_segment_align: 8
    .kernarg_segment_size: 104
    .language:       OpenCL C
    .language_version:
      - 2
      - 0
    .max_flat_workgroup_size: 256
    .name:           _ZN9rocsparseL28csrmvn_lrb_short_rows_kernelIllffffEEvbT_PT0_S3_jNS_24const_host_device_scalarIT4_EEPKS1_PKS2_PKT1_PKT2_S6_PT3_21rocsparse_index_base_b
    .private_segment_fixed_size: 0
    .sgpr_count:     33
    .sgpr_spill_count: 0
    .symbol:         _ZN9rocsparseL28csrmvn_lrb_short_rows_kernelIllffffEEvbT_PT0_S3_jNS_24const_host_device_scalarIT4_EEPKS1_PKS2_PKT1_PKT2_S6_PT3_21rocsparse_index_base_b.kd
    .uniform_work_group_size: 1
    .uses_dynamic_stack: false
    .vgpr_count:     12
    .vgpr_spill_count: 0
    .wavefront_size: 64
  - .agpr_count:     0
    .args:
      - .offset:         0
        .size:           1
        .value_kind:     by_value
      - .offset:         8
        .size:           8
        .value_kind:     by_value
      - .actual_access:  read_only
        .address_space:  global
        .offset:         16
        .size:           8
        .value_kind:     global_buffer
      - .actual_access:  read_only
        .address_space:  global
        .offset:         24
        .size:           8
        .value_kind:     global_buffer
      - .offset:         32
        .size:           4
        .value_kind:     by_value
      - .offset:         40
        .size:           8
        .value_kind:     by_value
      - .actual_access:  read_only
        .address_space:  global
        .offset:         48
        .size:           8
        .value_kind:     global_buffer
      - .actual_access:  read_only
        .address_space:  global
        .offset:         56
        .size:           8
        .value_kind:     global_buffer
      - .actual_access:  read_only
        .address_space:  global
        .offset:         64
        .size:           8
        .value_kind:     global_buffer
      - .actual_access:  read_only
        .address_space:  global
        .offset:         72
        .size:           8
        .value_kind:     global_buffer
      - .offset:         80
        .size:           8
        .value_kind:     by_value
      - .address_space:  global
        .offset:         88
        .size:           8
        .value_kind:     global_buffer
      - .offset:         96
        .size:           4
        .value_kind:     by_value
      - .offset:         100
        .size:           1
        .value_kind:     by_value
    .group_segment_fixed_size: 4096
    .kernarg_segment_align: 8
    .kernarg_segment_size: 104
    .language:       OpenCL C
    .language_version:
      - 2
      - 0
    .max_flat_workgroup_size: 256
    .name:           _ZN9rocsparseL30csrmvn_lrb_short_rows_2_kernelIllffffEEvbT_PT0_S3_jNS_24const_host_device_scalarIT4_EEPKS1_PKS2_PKT1_PKT2_S6_PT3_21rocsparse_index_base_b
    .private_segment_fixed_size: 0
    .sgpr_count:     34
    .sgpr_spill_count: 0
    .symbol:         _ZN9rocsparseL30csrmvn_lrb_short_rows_2_kernelIllffffEEvbT_PT0_S3_jNS_24const_host_device_scalarIT4_EEPKS1_PKS2_PKT1_PKT2_S6_PT3_21rocsparse_index_base_b.kd
    .uniform_work_group_size: 1
    .uses_dynamic_stack: false
    .vgpr_count:     10
    .vgpr_spill_count: 0
    .wavefront_size: 64
  - .agpr_count:     0
    .args:
      - .offset:         0
        .size:           1
        .value_kind:     by_value
      - .offset:         8
        .size:           8
        .value_kind:     by_value
      - .offset:         16
        .size:           8
        .value_kind:     by_value
      - .actual_access:  read_only
        .address_space:  global
        .offset:         24
        .size:           8
        .value_kind:     global_buffer
      - .actual_access:  read_only
        .address_space:  global
        .offset:         32
        .size:           8
        .value_kind:     global_buffer
      - .offset:         40
        .size:           4
        .value_kind:     by_value
      - .offset:         48
        .size:           8
        .value_kind:     by_value
      - .actual_access:  read_only
        .address_space:  global
        .offset:         56
        .size:           8
        .value_kind:     global_buffer
      - .actual_access:  read_only
        .address_space:  global
        .offset:         64
        .size:           8
        .value_kind:     global_buffer
      - .actual_access:  read_only
        .address_space:  global
        .offset:         72
        .size:           8
        .value_kind:     global_buffer
      - .actual_access:  read_only
        .address_space:  global
        .offset:         80
        .size:           8
        .value_kind:     global_buffer
      - .offset:         88
        .size:           8
        .value_kind:     by_value
      - .address_space:  global
        .offset:         96
        .size:           8
        .value_kind:     global_buffer
      - .offset:         104
        .size:           4
        .value_kind:     by_value
      - .offset:         108
        .size:           1
        .value_kind:     by_value
    .group_segment_fixed_size: 0
    .kernarg_segment_align: 8
    .kernarg_segment_size: 112
    .language:       OpenCL C
    .language_version:
      - 2
      - 0
    .max_flat_workgroup_size: 256
    .name:           _ZN9rocsparseL41csrmvn_lrb_medium_rows_warp_reduce_kernelILj256ELj32EllffffEEvbT1_lPT2_S3_jNS_24const_host_device_scalarIT6_EEPKS1_PKS2_PKT3_PKT4_S6_PT5_21rocsparse_index_base_b
    .private_segment_fixed_size: 0
    .sgpr_count:     24
    .sgpr_spill_count: 0
    .symbol:         _ZN9rocsparseL41csrmvn_lrb_medium_rows_warp_reduce_kernelILj256ELj32EllffffEEvbT1_lPT2_S3_jNS_24const_host_device_scalarIT6_EEPKS1_PKS2_PKT3_PKT4_S6_PT5_21rocsparse_index_base_b.kd
    .uniform_work_group_size: 1
    .uses_dynamic_stack: false
    .vgpr_count:     17
    .vgpr_spill_count: 0
    .wavefront_size: 64
  - .agpr_count:     0
    .args:
      - .offset:         0
        .size:           1
        .value_kind:     by_value
      - .offset:         8
        .size:           8
        .value_kind:     by_value
      - .offset:         16
        .size:           8
        .value_kind:     by_value
      - .actual_access:  read_only
        .address_space:  global
        .offset:         24
        .size:           8
        .value_kind:     global_buffer
      - .actual_access:  read_only
        .address_space:  global
        .offset:         32
        .size:           8
        .value_kind:     global_buffer
      - .offset:         40
        .size:           4
        .value_kind:     by_value
      - .offset:         48
        .size:           8
        .value_kind:     by_value
      - .actual_access:  read_only
        .address_space:  global
        .offset:         56
        .size:           8
        .value_kind:     global_buffer
      - .actual_access:  read_only
        .address_space:  global
        .offset:         64
        .size:           8
        .value_kind:     global_buffer
      - .actual_access:  read_only
        .address_space:  global
        .offset:         72
        .size:           8
        .value_kind:     global_buffer
      - .actual_access:  read_only
        .address_space:  global
        .offset:         80
        .size:           8
        .value_kind:     global_buffer
      - .offset:         88
        .size:           8
        .value_kind:     by_value
      - .address_space:  global
        .offset:         96
        .size:           8
        .value_kind:     global_buffer
      - .offset:         104
        .size:           4
        .value_kind:     by_value
      - .offset:         108
        .size:           1
        .value_kind:     by_value
    .group_segment_fixed_size: 0
    .kernarg_segment_align: 8
    .kernarg_segment_size: 112
    .language:       OpenCL C
    .language_version:
      - 2
      - 0
    .max_flat_workgroup_size: 256
    .name:           _ZN9rocsparseL41csrmvn_lrb_medium_rows_warp_reduce_kernelILj256ELj64EllffffEEvbT1_lPT2_S3_jNS_24const_host_device_scalarIT6_EEPKS1_PKS2_PKT3_PKT4_S6_PT5_21rocsparse_index_base_b
    .private_segment_fixed_size: 0
    .sgpr_count:     24
    .sgpr_spill_count: 0
    .symbol:         _ZN9rocsparseL41csrmvn_lrb_medium_rows_warp_reduce_kernelILj256ELj64EllffffEEvbT1_lPT2_S3_jNS_24const_host_device_scalarIT6_EEPKS1_PKS2_PKT3_PKT4_S6_PT5_21rocsparse_index_base_b.kd
    .uniform_work_group_size: 1
    .uses_dynamic_stack: false
    .vgpr_count:     17
    .vgpr_spill_count: 0
    .wavefront_size: 64
  - .agpr_count:     0
    .args:
      - .offset:         0
        .size:           1
        .value_kind:     by_value
      - .offset:         8
        .size:           8
        .value_kind:     by_value
      - .actual_access:  read_only
        .address_space:  global
        .offset:         16
        .size:           8
        .value_kind:     global_buffer
      - .actual_access:  read_only
        .address_space:  global
        .offset:         24
        .size:           8
        .value_kind:     global_buffer
      - .offset:         32
        .size:           4
        .value_kind:     by_value
      - .offset:         40
        .size:           8
        .value_kind:     by_value
      - .actual_access:  read_only
        .address_space:  global
        .offset:         48
        .size:           8
        .value_kind:     global_buffer
      - .actual_access:  read_only
        .address_space:  global
        .offset:         56
        .size:           8
        .value_kind:     global_buffer
      - .actual_access:  read_only
        .address_space:  global
        .offset:         64
        .size:           8
        .value_kind:     global_buffer
      - .actual_access:  read_only
        .address_space:  global
        .offset:         72
        .size:           8
        .value_kind:     global_buffer
      - .offset:         80
        .size:           8
        .value_kind:     by_value
      - .address_space:  global
        .offset:         88
        .size:           8
        .value_kind:     global_buffer
      - .offset:         96
        .size:           4
        .value_kind:     by_value
      - .offset:         100
        .size:           1
        .value_kind:     by_value
    .group_segment_fixed_size: 1024
    .kernarg_segment_align: 8
    .kernarg_segment_size: 104
    .language:       OpenCL C
    .language_version:
      - 2
      - 0
    .max_flat_workgroup_size: 256
    .name:           _ZN9rocsparseL29csrmvn_lrb_medium_rows_kernelILj256EllffffEEvbT0_PT1_S3_jNS_24const_host_device_scalarIT5_EEPKS1_PKS2_PKT2_PKT3_S6_PT4_21rocsparse_index_base_b
    .private_segment_fixed_size: 0
    .sgpr_count:     28
    .sgpr_spill_count: 0
    .symbol:         _ZN9rocsparseL29csrmvn_lrb_medium_rows_kernelILj256EllffffEEvbT0_PT1_S3_jNS_24const_host_device_scalarIT5_EEPKS1_PKS2_PKT2_PKT3_S6_PT4_21rocsparse_index_base_b.kd
    .uniform_work_group_size: 1
    .uses_dynamic_stack: false
    .vgpr_count:     13
    .vgpr_spill_count: 0
    .wavefront_size: 64
  - .agpr_count:     0
    .args:
      - .offset:         0
        .size:           1
        .value_kind:     by_value
      - .offset:         8
        .size:           8
        .value_kind:     by_value
      - .address_space:  global
        .offset:         16
        .size:           8
        .value_kind:     global_buffer
      - .actual_access:  read_only
        .address_space:  global
        .offset:         24
        .size:           8
        .value_kind:     global_buffer
      - .actual_access:  read_only
        .address_space:  global
        .offset:         32
        .size:           8
        .value_kind:     global_buffer
      - .offset:         40
        .size:           4
        .value_kind:     by_value
      - .offset:         48
        .size:           8
        .value_kind:     by_value
      - .actual_access:  read_only
        .address_space:  global
        .offset:         56
        .size:           8
        .value_kind:     global_buffer
      - .actual_access:  read_only
        .address_space:  global
        .offset:         64
        .size:           8
        .value_kind:     global_buffer
      - .actual_access:  read_only
        .address_space:  global
        .offset:         72
        .size:           8
        .value_kind:     global_buffer
      - .actual_access:  read_only
        .address_space:  global
        .offset:         80
        .size:           8
        .value_kind:     global_buffer
      - .offset:         88
        .size:           8
        .value_kind:     by_value
      - .address_space:  global
        .offset:         96
        .size:           8
        .value_kind:     global_buffer
      - .offset:         104
        .size:           4
        .value_kind:     by_value
      - .offset:         108
        .size:           1
        .value_kind:     by_value
    .group_segment_fixed_size: 1024
    .kernarg_segment_align: 8
    .kernarg_segment_size: 112
    .language:       OpenCL C
    .language_version:
      - 2
      - 0
    .max_flat_workgroup_size: 256
    .name:           _ZN9rocsparseL27csrmvn_lrb_long_rows_kernelIllffffEEvbT_PjPT0_S4_jNS_24const_host_device_scalarIT4_EEPKS1_PKS3_PKT1_PKT2_S7_PT3_21rocsparse_index_base_b
    .private_segment_fixed_size: 0
    .sgpr_count:     36
    .sgpr_spill_count: 0
    .symbol:         _ZN9rocsparseL27csrmvn_lrb_long_rows_kernelIllffffEEvbT_PjPT0_S4_jNS_24const_host_device_scalarIT4_EEPKS1_PKS3_PKT1_PKT2_S7_PT3_21rocsparse_index_base_b.kd
    .uniform_work_group_size: 1
    .uses_dynamic_stack: false
    .vgpr_count:     13
    .vgpr_spill_count: 0
    .wavefront_size: 64
  - .agpr_count:     0
    .args:
      - .offset:         0
        .size:           1
        .value_kind:     by_value
      - .offset:         4
        .size:           4
        .value_kind:     by_value
      - .actual_access:  read_only
        .address_space:  global
        .offset:         8
        .size:           8
        .value_kind:     global_buffer
      - .actual_access:  read_only
        .address_space:  global
        .offset:         16
        .size:           8
        .value_kind:     global_buffer
      - .offset:         24
        .size:           4
        .value_kind:     by_value
      - .offset:         32
        .size:           8
        .value_kind:     by_value
      - .actual_access:  read_only
        .address_space:  global
        .offset:         40
        .size:           8
        .value_kind:     global_buffer
      - .actual_access:  read_only
        .address_space:  global
        .offset:         48
        .size:           8
        .value_kind:     global_buffer
      - .actual_access:  read_only
        .address_space:  global
        .offset:         56
        .size:           8
        .value_kind:     global_buffer
      - .actual_access:  read_only
        .address_space:  global
        .offset:         64
        .size:           8
        .value_kind:     global_buffer
      - .offset:         72
        .size:           8
        .value_kind:     by_value
      - .address_space:  global
        .offset:         80
        .size:           8
        .value_kind:     global_buffer
      - .offset:         88
        .size:           4
        .value_kind:     by_value
      - .offset:         92
        .size:           1
        .value_kind:     by_value
    .group_segment_fixed_size: 0
    .kernarg_segment_align: 8
    .kernarg_segment_size: 96
    .language:       OpenCL C
    .language_version:
      - 2
      - 0
    .max_flat_workgroup_size: 256
    .name:           _ZN9rocsparseL28csrmvn_lrb_short_rows_kernelIiiddddEEvbT_PT0_S3_jNS_24const_host_device_scalarIT4_EEPKS1_PKS2_PKT1_PKT2_S6_PT3_21rocsparse_index_base_b
    .private_segment_fixed_size: 0
    .sgpr_count:     27
    .sgpr_spill_count: 0
    .symbol:         _ZN9rocsparseL28csrmvn_lrb_short_rows_kernelIiiddddEEvbT_PT0_S3_jNS_24const_host_device_scalarIT4_EEPKS1_PKS2_PKT1_PKT2_S6_PT3_21rocsparse_index_base_b.kd
    .uniform_work_group_size: 1
    .uses_dynamic_stack: false
    .vgpr_count:     15
    .vgpr_spill_count: 0
    .wavefront_size: 64
  - .agpr_count:     0
    .args:
      - .offset:         0
        .size:           1
        .value_kind:     by_value
      - .offset:         4
        .size:           4
        .value_kind:     by_value
      - .actual_access:  read_only
        .address_space:  global
        .offset:         8
        .size:           8
        .value_kind:     global_buffer
      - .actual_access:  read_only
        .address_space:  global
        .offset:         16
        .size:           8
        .value_kind:     global_buffer
      - .offset:         24
        .size:           4
        .value_kind:     by_value
      - .offset:         32
        .size:           8
        .value_kind:     by_value
      - .actual_access:  read_only
        .address_space:  global
        .offset:         40
        .size:           8
        .value_kind:     global_buffer
      - .actual_access:  read_only
        .address_space:  global
        .offset:         48
        .size:           8
        .value_kind:     global_buffer
      - .actual_access:  read_only
        .address_space:  global
        .offset:         56
        .size:           8
        .value_kind:     global_buffer
      - .actual_access:  read_only
        .address_space:  global
        .offset:         64
        .size:           8
        .value_kind:     global_buffer
      - .offset:         72
        .size:           8
        .value_kind:     by_value
      - .address_space:  global
        .offset:         80
        .size:           8
        .value_kind:     global_buffer
      - .offset:         88
        .size:           4
        .value_kind:     by_value
      - .offset:         92
        .size:           1
        .value_kind:     by_value
    .group_segment_fixed_size: 8192
    .kernarg_segment_align: 8
    .kernarg_segment_size: 96
    .language:       OpenCL C
    .language_version:
      - 2
      - 0
    .max_flat_workgroup_size: 256
    .name:           _ZN9rocsparseL30csrmvn_lrb_short_rows_2_kernelIiiddddEEvbT_PT0_S3_jNS_24const_host_device_scalarIT4_EEPKS1_PKS2_PKT1_PKT2_S6_PT3_21rocsparse_index_base_b
    .private_segment_fixed_size: 0
    .sgpr_count:     28
    .sgpr_spill_count: 0
    .symbol:         _ZN9rocsparseL30csrmvn_lrb_short_rows_2_kernelIiiddddEEvbT_PT0_S3_jNS_24const_host_device_scalarIT4_EEPKS1_PKS2_PKT1_PKT2_S6_PT3_21rocsparse_index_base_b.kd
    .uniform_work_group_size: 1
    .uses_dynamic_stack: false
    .vgpr_count:     13
    .vgpr_spill_count: 0
    .wavefront_size: 64
  - .agpr_count:     0
    .args:
      - .offset:         0
        .size:           1
        .value_kind:     by_value
      - .offset:         4
        .size:           4
        .value_kind:     by_value
      - .offset:         8
        .size:           8
        .value_kind:     by_value
      - .actual_access:  read_only
        .address_space:  global
        .offset:         16
        .size:           8
        .value_kind:     global_buffer
      - .actual_access:  read_only
        .address_space:  global
        .offset:         24
        .size:           8
        .value_kind:     global_buffer
      - .offset:         32
        .size:           4
        .value_kind:     by_value
      - .offset:         40
        .size:           8
        .value_kind:     by_value
      - .actual_access:  read_only
        .address_space:  global
        .offset:         48
        .size:           8
        .value_kind:     global_buffer
      - .actual_access:  read_only
        .address_space:  global
        .offset:         56
        .size:           8
        .value_kind:     global_buffer
      - .actual_access:  read_only
        .address_space:  global
        .offset:         64
        .size:           8
        .value_kind:     global_buffer
      - .actual_access:  read_only
        .address_space:  global
        .offset:         72
        .size:           8
        .value_kind:     global_buffer
      - .offset:         80
        .size:           8
        .value_kind:     by_value
      - .address_space:  global
        .offset:         88
        .size:           8
        .value_kind:     global_buffer
      - .offset:         96
        .size:           4
        .value_kind:     by_value
      - .offset:         100
        .size:           1
        .value_kind:     by_value
    .group_segment_fixed_size: 0
    .kernarg_segment_align: 8
    .kernarg_segment_size: 104
    .language:       OpenCL C
    .language_version:
      - 2
      - 0
    .max_flat_workgroup_size: 256
    .name:           _ZN9rocsparseL41csrmvn_lrb_medium_rows_warp_reduce_kernelILj256ELj32EiiddddEEvbT1_lPT2_S3_jNS_24const_host_device_scalarIT6_EEPKS1_PKS2_PKT3_PKT4_S6_PT5_21rocsparse_index_base_b
    .private_segment_fixed_size: 0
    .sgpr_count:     18
    .sgpr_spill_count: 0
    .symbol:         _ZN9rocsparseL41csrmvn_lrb_medium_rows_warp_reduce_kernelILj256ELj32EiiddddEEvbT1_lPT2_S3_jNS_24const_host_device_scalarIT6_EEPKS1_PKS2_PKT3_PKT4_S6_PT5_21rocsparse_index_base_b.kd
    .uniform_work_group_size: 1
    .uses_dynamic_stack: false
    .vgpr_count:     20
    .vgpr_spill_count: 0
    .wavefront_size: 64
  - .agpr_count:     0
    .args:
      - .offset:         0
        .size:           1
        .value_kind:     by_value
      - .offset:         4
        .size:           4
        .value_kind:     by_value
      - .offset:         8
        .size:           8
        .value_kind:     by_value
      - .actual_access:  read_only
        .address_space:  global
        .offset:         16
        .size:           8
        .value_kind:     global_buffer
      - .actual_access:  read_only
        .address_space:  global
        .offset:         24
        .size:           8
        .value_kind:     global_buffer
      - .offset:         32
        .size:           4
        .value_kind:     by_value
      - .offset:         40
        .size:           8
        .value_kind:     by_value
      - .actual_access:  read_only
        .address_space:  global
        .offset:         48
        .size:           8
        .value_kind:     global_buffer
      - .actual_access:  read_only
        .address_space:  global
        .offset:         56
        .size:           8
        .value_kind:     global_buffer
      - .actual_access:  read_only
        .address_space:  global
        .offset:         64
        .size:           8
        .value_kind:     global_buffer
      - .actual_access:  read_only
        .address_space:  global
        .offset:         72
        .size:           8
        .value_kind:     global_buffer
      - .offset:         80
        .size:           8
        .value_kind:     by_value
      - .address_space:  global
        .offset:         88
        .size:           8
        .value_kind:     global_buffer
      - .offset:         96
        .size:           4
        .value_kind:     by_value
      - .offset:         100
        .size:           1
        .value_kind:     by_value
    .group_segment_fixed_size: 0
    .kernarg_segment_align: 8
    .kernarg_segment_size: 104
    .language:       OpenCL C
    .language_version:
      - 2
      - 0
    .max_flat_workgroup_size: 256
    .name:           _ZN9rocsparseL41csrmvn_lrb_medium_rows_warp_reduce_kernelILj256ELj64EiiddddEEvbT1_lPT2_S3_jNS_24const_host_device_scalarIT6_EEPKS1_PKS2_PKT3_PKT4_S6_PT5_21rocsparse_index_base_b
    .private_segment_fixed_size: 0
    .sgpr_count:     18
    .sgpr_spill_count: 0
    .symbol:         _ZN9rocsparseL41csrmvn_lrb_medium_rows_warp_reduce_kernelILj256ELj64EiiddddEEvbT1_lPT2_S3_jNS_24const_host_device_scalarIT6_EEPKS1_PKS2_PKT3_PKT4_S6_PT5_21rocsparse_index_base_b.kd
    .uniform_work_group_size: 1
    .uses_dynamic_stack: false
    .vgpr_count:     20
    .vgpr_spill_count: 0
    .wavefront_size: 64
  - .agpr_count:     0
    .args:
      - .offset:         0
        .size:           1
        .value_kind:     by_value
      - .offset:         4
        .size:           4
        .value_kind:     by_value
      - .actual_access:  read_only
        .address_space:  global
        .offset:         8
        .size:           8
        .value_kind:     global_buffer
      - .actual_access:  read_only
        .address_space:  global
        .offset:         16
        .size:           8
        .value_kind:     global_buffer
      - .offset:         24
        .size:           4
        .value_kind:     by_value
      - .offset:         32
        .size:           8
        .value_kind:     by_value
      - .actual_access:  read_only
        .address_space:  global
        .offset:         40
        .size:           8
        .value_kind:     global_buffer
      - .actual_access:  read_only
        .address_space:  global
        .offset:         48
        .size:           8
        .value_kind:     global_buffer
      - .actual_access:  read_only
        .address_space:  global
        .offset:         56
        .size:           8
        .value_kind:     global_buffer
      - .actual_access:  read_only
        .address_space:  global
        .offset:         64
        .size:           8
        .value_kind:     global_buffer
      - .offset:         72
        .size:           8
        .value_kind:     by_value
      - .address_space:  global
        .offset:         80
        .size:           8
        .value_kind:     global_buffer
      - .offset:         88
        .size:           4
        .value_kind:     by_value
      - .offset:         92
        .size:           1
        .value_kind:     by_value
    .group_segment_fixed_size: 2048
    .kernarg_segment_align: 8
    .kernarg_segment_size: 96
    .language:       OpenCL C
    .language_version:
      - 2
      - 0
    .max_flat_workgroup_size: 256
    .name:           _ZN9rocsparseL29csrmvn_lrb_medium_rows_kernelILj256EiiddddEEvbT0_PT1_S3_jNS_24const_host_device_scalarIT5_EEPKS1_PKS2_PKT2_PKT3_S6_PT4_21rocsparse_index_base_b
    .private_segment_fixed_size: 0
    .sgpr_count:     20
    .sgpr_spill_count: 0
    .symbol:         _ZN9rocsparseL29csrmvn_lrb_medium_rows_kernelILj256EiiddddEEvbT0_PT1_S3_jNS_24const_host_device_scalarIT5_EEPKS1_PKS2_PKT2_PKT3_S6_PT4_21rocsparse_index_base_b.kd
    .uniform_work_group_size: 1
    .uses_dynamic_stack: false
    .vgpr_count:     16
    .vgpr_spill_count: 0
    .wavefront_size: 64
  - .agpr_count:     0
    .args:
      - .offset:         0
        .size:           1
        .value_kind:     by_value
      - .offset:         4
        .size:           4
        .value_kind:     by_value
      - .address_space:  global
        .offset:         8
        .size:           8
        .value_kind:     global_buffer
      - .actual_access:  read_only
        .address_space:  global
        .offset:         16
        .size:           8
        .value_kind:     global_buffer
      - .actual_access:  read_only
        .address_space:  global
        .offset:         24
        .size:           8
        .value_kind:     global_buffer
      - .offset:         32
        .size:           4
        .value_kind:     by_value
      - .offset:         40
        .size:           8
        .value_kind:     by_value
      - .actual_access:  read_only
        .address_space:  global
        .offset:         48
        .size:           8
        .value_kind:     global_buffer
      - .actual_access:  read_only
        .address_space:  global
        .offset:         56
        .size:           8
        .value_kind:     global_buffer
      - .actual_access:  read_only
        .address_space:  global
        .offset:         64
        .size:           8
        .value_kind:     global_buffer
      - .actual_access:  read_only
        .address_space:  global
        .offset:         72
        .size:           8
        .value_kind:     global_buffer
      - .offset:         80
        .size:           8
        .value_kind:     by_value
      - .address_space:  global
        .offset:         88
        .size:           8
        .value_kind:     global_buffer
      - .offset:         96
        .size:           4
        .value_kind:     by_value
      - .offset:         100
        .size:           1
        .value_kind:     by_value
    .group_segment_fixed_size: 2048
    .kernarg_segment_align: 8
    .kernarg_segment_size: 104
    .language:       OpenCL C
    .language_version:
      - 2
      - 0
    .max_flat_workgroup_size: 256
    .name:           _ZN9rocsparseL27csrmvn_lrb_long_rows_kernelIiiddddEEvbT_PjPT0_S4_jNS_24const_host_device_scalarIT4_EEPKS1_PKS3_PKT1_PKT2_S7_PT3_21rocsparse_index_base_b
    .private_segment_fixed_size: 0
    .sgpr_count:     32
    .sgpr_spill_count: 0
    .symbol:         _ZN9rocsparseL27csrmvn_lrb_long_rows_kernelIiiddddEEvbT_PjPT0_S4_jNS_24const_host_device_scalarIT4_EEPKS1_PKS3_PKT1_PKT2_S7_PT3_21rocsparse_index_base_b.kd
    .uniform_work_group_size: 1
    .uses_dynamic_stack: false
    .vgpr_count:     14
    .vgpr_spill_count: 0
    .wavefront_size: 64
  - .agpr_count:     0
    .args:
      - .offset:         0
        .size:           1
        .value_kind:     by_value
      - .offset:         8
        .size:           8
        .value_kind:     by_value
      - .actual_access:  read_only
        .address_space:  global
        .offset:         16
        .size:           8
        .value_kind:     global_buffer
      - .actual_access:  read_only
        .address_space:  global
        .offset:         24
        .size:           8
        .value_kind:     global_buffer
      - .offset:         32
        .size:           4
        .value_kind:     by_value
      - .offset:         40
        .size:           8
        .value_kind:     by_value
      - .actual_access:  read_only
        .address_space:  global
        .offset:         48
        .size:           8
        .value_kind:     global_buffer
      - .actual_access:  read_only
        .address_space:  global
        .offset:         56
        .size:           8
        .value_kind:     global_buffer
      - .actual_access:  read_only
        .address_space:  global
        .offset:         64
        .size:           8
        .value_kind:     global_buffer
      - .actual_access:  read_only
        .address_space:  global
        .offset:         72
        .size:           8
        .value_kind:     global_buffer
      - .offset:         80
        .size:           8
        .value_kind:     by_value
      - .address_space:  global
        .offset:         88
        .size:           8
        .value_kind:     global_buffer
      - .offset:         96
        .size:           4
        .value_kind:     by_value
      - .offset:         100
        .size:           1
        .value_kind:     by_value
    .group_segment_fixed_size: 0
    .kernarg_segment_align: 8
    .kernarg_segment_size: 104
    .language:       OpenCL C
    .language_version:
      - 2
      - 0
    .max_flat_workgroup_size: 256
    .name:           _ZN9rocsparseL28csrmvn_lrb_short_rows_kernelIliddddEEvbT_PT0_S3_jNS_24const_host_device_scalarIT4_EEPKS1_PKS2_PKT1_PKT2_S6_PT3_21rocsparse_index_base_b
    .private_segment_fixed_size: 0
    .sgpr_count:     28
    .sgpr_spill_count: 0
    .symbol:         _ZN9rocsparseL28csrmvn_lrb_short_rows_kernelIliddddEEvbT_PT0_S3_jNS_24const_host_device_scalarIT4_EEPKS1_PKS2_PKT1_PKT2_S6_PT3_21rocsparse_index_base_b.kd
    .uniform_work_group_size: 1
    .uses_dynamic_stack: false
    .vgpr_count:     14
    .vgpr_spill_count: 0
    .wavefront_size: 64
  - .agpr_count:     0
    .args:
      - .offset:         0
        .size:           1
        .value_kind:     by_value
      - .offset:         8
        .size:           8
        .value_kind:     by_value
      - .actual_access:  read_only
        .address_space:  global
        .offset:         16
        .size:           8
        .value_kind:     global_buffer
      - .actual_access:  read_only
        .address_space:  global
        .offset:         24
        .size:           8
        .value_kind:     global_buffer
      - .offset:         32
        .size:           4
        .value_kind:     by_value
      - .offset:         40
        .size:           8
        .value_kind:     by_value
      - .actual_access:  read_only
        .address_space:  global
        .offset:         48
        .size:           8
        .value_kind:     global_buffer
      - .actual_access:  read_only
        .address_space:  global
        .offset:         56
        .size:           8
        .value_kind:     global_buffer
      - .actual_access:  read_only
        .address_space:  global
        .offset:         64
        .size:           8
        .value_kind:     global_buffer
      - .actual_access:  read_only
        .address_space:  global
        .offset:         72
        .size:           8
        .value_kind:     global_buffer
      - .offset:         80
        .size:           8
        .value_kind:     by_value
      - .address_space:  global
        .offset:         88
        .size:           8
        .value_kind:     global_buffer
      - .offset:         96
        .size:           4
        .value_kind:     by_value
      - .offset:         100
        .size:           1
        .value_kind:     by_value
    .group_segment_fixed_size: 8192
    .kernarg_segment_align: 8
    .kernarg_segment_size: 104
    .language:       OpenCL C
    .language_version:
      - 2
      - 0
    .max_flat_workgroup_size: 256
    .name:           _ZN9rocsparseL30csrmvn_lrb_short_rows_2_kernelIliddddEEvbT_PT0_S3_jNS_24const_host_device_scalarIT4_EEPKS1_PKS2_PKT1_PKT2_S6_PT3_21rocsparse_index_base_b
    .private_segment_fixed_size: 0
    .sgpr_count:     28
    .sgpr_spill_count: 0
    .symbol:         _ZN9rocsparseL30csrmvn_lrb_short_rows_2_kernelIliddddEEvbT_PT0_S3_jNS_24const_host_device_scalarIT4_EEPKS1_PKS2_PKT1_PKT2_S6_PT3_21rocsparse_index_base_b.kd
    .uniform_work_group_size: 1
    .uses_dynamic_stack: false
    .vgpr_count:     13
    .vgpr_spill_count: 0
    .wavefront_size: 64
  - .agpr_count:     0
    .args:
      - .offset:         0
        .size:           1
        .value_kind:     by_value
      - .offset:         8
        .size:           8
        .value_kind:     by_value
      - .offset:         16
        .size:           8
        .value_kind:     by_value
      - .actual_access:  read_only
        .address_space:  global
        .offset:         24
        .size:           8
        .value_kind:     global_buffer
      - .actual_access:  read_only
        .address_space:  global
        .offset:         32
        .size:           8
        .value_kind:     global_buffer
      - .offset:         40
        .size:           4
        .value_kind:     by_value
      - .offset:         48
        .size:           8
        .value_kind:     by_value
      - .actual_access:  read_only
        .address_space:  global
        .offset:         56
        .size:           8
        .value_kind:     global_buffer
      - .actual_access:  read_only
        .address_space:  global
        .offset:         64
        .size:           8
        .value_kind:     global_buffer
      - .actual_access:  read_only
        .address_space:  global
        .offset:         72
        .size:           8
        .value_kind:     global_buffer
      - .actual_access:  read_only
        .address_space:  global
        .offset:         80
        .size:           8
        .value_kind:     global_buffer
      - .offset:         88
        .size:           8
        .value_kind:     by_value
      - .address_space:  global
        .offset:         96
        .size:           8
        .value_kind:     global_buffer
      - .offset:         104
        .size:           4
        .value_kind:     by_value
      - .offset:         108
        .size:           1
        .value_kind:     by_value
    .group_segment_fixed_size: 0
    .kernarg_segment_align: 8
    .kernarg_segment_size: 112
    .language:       OpenCL C
    .language_version:
      - 2
      - 0
    .max_flat_workgroup_size: 256
    .name:           _ZN9rocsparseL41csrmvn_lrb_medium_rows_warp_reduce_kernelILj256ELj32EliddddEEvbT1_lPT2_S3_jNS_24const_host_device_scalarIT6_EEPKS1_PKS2_PKT3_PKT4_S6_PT5_21rocsparse_index_base_b
    .private_segment_fixed_size: 0
    .sgpr_count:     20
    .sgpr_spill_count: 0
    .symbol:         _ZN9rocsparseL41csrmvn_lrb_medium_rows_warp_reduce_kernelILj256ELj32EliddddEEvbT1_lPT2_S3_jNS_24const_host_device_scalarIT6_EEPKS1_PKS2_PKT3_PKT4_S6_PT5_21rocsparse_index_base_b.kd
    .uniform_work_group_size: 1
    .uses_dynamic_stack: false
    .vgpr_count:     22
    .vgpr_spill_count: 0
    .wavefront_size: 64
  - .agpr_count:     0
    .args:
      - .offset:         0
        .size:           1
        .value_kind:     by_value
      - .offset:         8
        .size:           8
        .value_kind:     by_value
      - .offset:         16
        .size:           8
        .value_kind:     by_value
      - .actual_access:  read_only
        .address_space:  global
        .offset:         24
        .size:           8
        .value_kind:     global_buffer
      - .actual_access:  read_only
        .address_space:  global
        .offset:         32
        .size:           8
        .value_kind:     global_buffer
      - .offset:         40
        .size:           4
        .value_kind:     by_value
      - .offset:         48
        .size:           8
        .value_kind:     by_value
      - .actual_access:  read_only
        .address_space:  global
        .offset:         56
        .size:           8
        .value_kind:     global_buffer
      - .actual_access:  read_only
        .address_space:  global
        .offset:         64
        .size:           8
        .value_kind:     global_buffer
      - .actual_access:  read_only
        .address_space:  global
        .offset:         72
        .size:           8
        .value_kind:     global_buffer
      - .actual_access:  read_only
        .address_space:  global
        .offset:         80
        .size:           8
        .value_kind:     global_buffer
      - .offset:         88
        .size:           8
        .value_kind:     by_value
      - .address_space:  global
        .offset:         96
        .size:           8
        .value_kind:     global_buffer
      - .offset:         104
        .size:           4
        .value_kind:     by_value
      - .offset:         108
        .size:           1
        .value_kind:     by_value
    .group_segment_fixed_size: 0
    .kernarg_segment_align: 8
    .kernarg_segment_size: 112
    .language:       OpenCL C
    .language_version:
      - 2
      - 0
    .max_flat_workgroup_size: 256
    .name:           _ZN9rocsparseL41csrmvn_lrb_medium_rows_warp_reduce_kernelILj256ELj64EliddddEEvbT1_lPT2_S3_jNS_24const_host_device_scalarIT6_EEPKS1_PKS2_PKT3_PKT4_S6_PT5_21rocsparse_index_base_b
    .private_segment_fixed_size: 0
    .sgpr_count:     20
    .sgpr_spill_count: 0
    .symbol:         _ZN9rocsparseL41csrmvn_lrb_medium_rows_warp_reduce_kernelILj256ELj64EliddddEEvbT1_lPT2_S3_jNS_24const_host_device_scalarIT6_EEPKS1_PKS2_PKT3_PKT4_S6_PT5_21rocsparse_index_base_b.kd
    .uniform_work_group_size: 1
    .uses_dynamic_stack: false
    .vgpr_count:     22
    .vgpr_spill_count: 0
    .wavefront_size: 64
  - .agpr_count:     0
    .args:
      - .offset:         0
        .size:           1
        .value_kind:     by_value
      - .offset:         8
        .size:           8
        .value_kind:     by_value
      - .actual_access:  read_only
        .address_space:  global
        .offset:         16
        .size:           8
        .value_kind:     global_buffer
      - .actual_access:  read_only
        .address_space:  global
        .offset:         24
        .size:           8
        .value_kind:     global_buffer
      - .offset:         32
        .size:           4
        .value_kind:     by_value
      - .offset:         40
        .size:           8
        .value_kind:     by_value
      - .actual_access:  read_only
        .address_space:  global
        .offset:         48
        .size:           8
        .value_kind:     global_buffer
      - .actual_access:  read_only
        .address_space:  global
        .offset:         56
        .size:           8
        .value_kind:     global_buffer
      - .actual_access:  read_only
        .address_space:  global
        .offset:         64
        .size:           8
        .value_kind:     global_buffer
      - .actual_access:  read_only
        .address_space:  global
        .offset:         72
        .size:           8
        .value_kind:     global_buffer
      - .offset:         80
        .size:           8
        .value_kind:     by_value
      - .address_space:  global
        .offset:         88
        .size:           8
        .value_kind:     global_buffer
      - .offset:         96
        .size:           4
        .value_kind:     by_value
      - .offset:         100
        .size:           1
        .value_kind:     by_value
    .group_segment_fixed_size: 2048
    .kernarg_segment_align: 8
    .kernarg_segment_size: 104
    .language:       OpenCL C
    .language_version:
      - 2
      - 0
    .max_flat_workgroup_size: 256
    .name:           _ZN9rocsparseL29csrmvn_lrb_medium_rows_kernelILj256EliddddEEvbT0_PT1_S3_jNS_24const_host_device_scalarIT5_EEPKS1_PKS2_PKT2_PKT3_S6_PT4_21rocsparse_index_base_b
    .private_segment_fixed_size: 0
    .sgpr_count:     24
    .sgpr_spill_count: 0
    .symbol:         _ZN9rocsparseL29csrmvn_lrb_medium_rows_kernelILj256EliddddEEvbT0_PT1_S3_jNS_24const_host_device_scalarIT5_EEPKS1_PKS2_PKT2_PKT3_S6_PT4_21rocsparse_index_base_b.kd
    .uniform_work_group_size: 1
    .uses_dynamic_stack: false
    .vgpr_count:     18
    .vgpr_spill_count: 0
    .wavefront_size: 64
  - .agpr_count:     0
    .args:
      - .offset:         0
        .size:           1
        .value_kind:     by_value
      - .offset:         8
        .size:           8
        .value_kind:     by_value
      - .address_space:  global
        .offset:         16
        .size:           8
        .value_kind:     global_buffer
      - .actual_access:  read_only
        .address_space:  global
        .offset:         24
        .size:           8
        .value_kind:     global_buffer
      - .actual_access:  read_only
        .address_space:  global
        .offset:         32
        .size:           8
        .value_kind:     global_buffer
      - .offset:         40
        .size:           4
        .value_kind:     by_value
      - .offset:         48
        .size:           8
        .value_kind:     by_value
      - .actual_access:  read_only
        .address_space:  global
        .offset:         56
        .size:           8
        .value_kind:     global_buffer
      - .actual_access:  read_only
        .address_space:  global
        .offset:         64
        .size:           8
        .value_kind:     global_buffer
      - .actual_access:  read_only
        .address_space:  global
        .offset:         72
        .size:           8
        .value_kind:     global_buffer
      - .actual_access:  read_only
        .address_space:  global
        .offset:         80
        .size:           8
        .value_kind:     global_buffer
      - .offset:         88
        .size:           8
        .value_kind:     by_value
      - .address_space:  global
        .offset:         96
        .size:           8
        .value_kind:     global_buffer
      - .offset:         104
        .size:           4
        .value_kind:     by_value
      - .offset:         108
        .size:           1
        .value_kind:     by_value
    .group_segment_fixed_size: 2048
    .kernarg_segment_align: 8
    .kernarg_segment_size: 112
    .language:       OpenCL C
    .language_version:
      - 2
      - 0
    .max_flat_workgroup_size: 256
    .name:           _ZN9rocsparseL27csrmvn_lrb_long_rows_kernelIliddddEEvbT_PjPT0_S4_jNS_24const_host_device_scalarIT4_EEPKS1_PKS3_PKT1_PKT2_S7_PT3_21rocsparse_index_base_b
    .private_segment_fixed_size: 0
    .sgpr_count:     36
    .sgpr_spill_count: 0
    .symbol:         _ZN9rocsparseL27csrmvn_lrb_long_rows_kernelIliddddEEvbT_PjPT0_S4_jNS_24const_host_device_scalarIT4_EEPKS1_PKS3_PKT1_PKT2_S7_PT3_21rocsparse_index_base_b.kd
    .uniform_work_group_size: 1
    .uses_dynamic_stack: false
    .vgpr_count:     16
    .vgpr_spill_count: 0
    .wavefront_size: 64
  - .agpr_count:     0
    .args:
      - .offset:         0
        .size:           1
        .value_kind:     by_value
      - .offset:         8
        .size:           8
        .value_kind:     by_value
      - .actual_access:  read_only
        .address_space:  global
        .offset:         16
        .size:           8
        .value_kind:     global_buffer
      - .actual_access:  read_only
        .address_space:  global
        .offset:         24
        .size:           8
        .value_kind:     global_buffer
      - .offset:         32
        .size:           4
        .value_kind:     by_value
      - .offset:         40
        .size:           8
        .value_kind:     by_value
      - .actual_access:  read_only
        .address_space:  global
        .offset:         48
        .size:           8
        .value_kind:     global_buffer
      - .actual_access:  read_only
        .address_space:  global
        .offset:         56
        .size:           8
        .value_kind:     global_buffer
      - .actual_access:  read_only
        .address_space:  global
        .offset:         64
        .size:           8
        .value_kind:     global_buffer
      - .actual_access:  read_only
        .address_space:  global
        .offset:         72
        .size:           8
        .value_kind:     global_buffer
      - .offset:         80
        .size:           8
        .value_kind:     by_value
      - .address_space:  global
        .offset:         88
        .size:           8
        .value_kind:     global_buffer
      - .offset:         96
        .size:           4
        .value_kind:     by_value
      - .offset:         100
        .size:           1
        .value_kind:     by_value
    .group_segment_fixed_size: 0
    .kernarg_segment_align: 8
    .kernarg_segment_size: 104
    .language:       OpenCL C
    .language_version:
      - 2
      - 0
    .max_flat_workgroup_size: 256
    .name:           _ZN9rocsparseL28csrmvn_lrb_short_rows_kernelIllddddEEvbT_PT0_S3_jNS_24const_host_device_scalarIT4_EEPKS1_PKS2_PKT1_PKT2_S6_PT3_21rocsparse_index_base_b
    .private_segment_fixed_size: 0
    .sgpr_count:     31
    .sgpr_spill_count: 0
    .symbol:         _ZN9rocsparseL28csrmvn_lrb_short_rows_kernelIllddddEEvbT_PT0_S3_jNS_24const_host_device_scalarIT4_EEPKS1_PKS2_PKT1_PKT2_S6_PT3_21rocsparse_index_base_b.kd
    .uniform_work_group_size: 1
    .uses_dynamic_stack: false
    .vgpr_count:     16
    .vgpr_spill_count: 0
    .wavefront_size: 64
  - .agpr_count:     0
    .args:
      - .offset:         0
        .size:           1
        .value_kind:     by_value
      - .offset:         8
        .size:           8
        .value_kind:     by_value
      - .actual_access:  read_only
        .address_space:  global
        .offset:         16
        .size:           8
        .value_kind:     global_buffer
      - .actual_access:  read_only
        .address_space:  global
        .offset:         24
        .size:           8
        .value_kind:     global_buffer
      - .offset:         32
        .size:           4
        .value_kind:     by_value
      - .offset:         40
        .size:           8
        .value_kind:     by_value
      - .actual_access:  read_only
        .address_space:  global
        .offset:         48
        .size:           8
        .value_kind:     global_buffer
      - .actual_access:  read_only
        .address_space:  global
        .offset:         56
        .size:           8
        .value_kind:     global_buffer
      - .actual_access:  read_only
        .address_space:  global
        .offset:         64
        .size:           8
        .value_kind:     global_buffer
      - .actual_access:  read_only
        .address_space:  global
        .offset:         72
        .size:           8
        .value_kind:     global_buffer
      - .offset:         80
        .size:           8
        .value_kind:     by_value
      - .address_space:  global
        .offset:         88
        .size:           8
        .value_kind:     global_buffer
      - .offset:         96
        .size:           4
        .value_kind:     by_value
      - .offset:         100
        .size:           1
        .value_kind:     by_value
    .group_segment_fixed_size: 8192
    .kernarg_segment_align: 8
    .kernarg_segment_size: 104
    .language:       OpenCL C
    .language_version:
      - 2
      - 0
    .max_flat_workgroup_size: 256
    .name:           _ZN9rocsparseL30csrmvn_lrb_short_rows_2_kernelIllddddEEvbT_PT0_S3_jNS_24const_host_device_scalarIT4_EEPKS1_PKS2_PKT1_PKT2_S6_PT3_21rocsparse_index_base_b
    .private_segment_fixed_size: 0
    .sgpr_count:     30
    .sgpr_spill_count: 0
    .symbol:         _ZN9rocsparseL30csrmvn_lrb_short_rows_2_kernelIllddddEEvbT_PT0_S3_jNS_24const_host_device_scalarIT4_EEPKS1_PKS2_PKT1_PKT2_S6_PT3_21rocsparse_index_base_b.kd
    .uniform_work_group_size: 1
    .uses_dynamic_stack: false
    .vgpr_count:     13
    .vgpr_spill_count: 0
    .wavefront_size: 64
  - .agpr_count:     0
    .args:
      - .offset:         0
        .size:           1
        .value_kind:     by_value
      - .offset:         8
        .size:           8
        .value_kind:     by_value
      - .offset:         16
        .size:           8
        .value_kind:     by_value
      - .actual_access:  read_only
        .address_space:  global
        .offset:         24
        .size:           8
        .value_kind:     global_buffer
      - .actual_access:  read_only
        .address_space:  global
        .offset:         32
        .size:           8
        .value_kind:     global_buffer
      - .offset:         40
        .size:           4
        .value_kind:     by_value
      - .offset:         48
        .size:           8
        .value_kind:     by_value
      - .actual_access:  read_only
        .address_space:  global
        .offset:         56
        .size:           8
        .value_kind:     global_buffer
      - .actual_access:  read_only
        .address_space:  global
        .offset:         64
        .size:           8
        .value_kind:     global_buffer
      - .actual_access:  read_only
        .address_space:  global
        .offset:         72
        .size:           8
        .value_kind:     global_buffer
      - .actual_access:  read_only
        .address_space:  global
        .offset:         80
        .size:           8
        .value_kind:     global_buffer
      - .offset:         88
        .size:           8
        .value_kind:     by_value
      - .address_space:  global
        .offset:         96
        .size:           8
        .value_kind:     global_buffer
      - .offset:         104
        .size:           4
        .value_kind:     by_value
      - .offset:         108
        .size:           1
        .value_kind:     by_value
    .group_segment_fixed_size: 0
    .kernarg_segment_align: 8
    .kernarg_segment_size: 112
    .language:       OpenCL C
    .language_version:
      - 2
      - 0
    .max_flat_workgroup_size: 256
    .name:           _ZN9rocsparseL41csrmvn_lrb_medium_rows_warp_reduce_kernelILj256ELj32EllddddEEvbT1_lPT2_S3_jNS_24const_host_device_scalarIT6_EEPKS1_PKS2_PKT3_PKT4_S6_PT5_21rocsparse_index_base_b
    .private_segment_fixed_size: 0
    .sgpr_count:     20
    .sgpr_spill_count: 0
    .symbol:         _ZN9rocsparseL41csrmvn_lrb_medium_rows_warp_reduce_kernelILj256ELj32EllddddEEvbT1_lPT2_S3_jNS_24const_host_device_scalarIT6_EEPKS1_PKS2_PKT3_PKT4_S6_PT5_21rocsparse_index_base_b.kd
    .uniform_work_group_size: 1
    .uses_dynamic_stack: false
    .vgpr_count:     24
    .vgpr_spill_count: 0
    .wavefront_size: 64
  - .agpr_count:     0
    .args:
      - .offset:         0
        .size:           1
        .value_kind:     by_value
      - .offset:         8
        .size:           8
        .value_kind:     by_value
      - .offset:         16
        .size:           8
        .value_kind:     by_value
      - .actual_access:  read_only
        .address_space:  global
        .offset:         24
        .size:           8
        .value_kind:     global_buffer
      - .actual_access:  read_only
        .address_space:  global
        .offset:         32
        .size:           8
        .value_kind:     global_buffer
      - .offset:         40
        .size:           4
        .value_kind:     by_value
      - .offset:         48
        .size:           8
        .value_kind:     by_value
      - .actual_access:  read_only
        .address_space:  global
        .offset:         56
        .size:           8
        .value_kind:     global_buffer
      - .actual_access:  read_only
        .address_space:  global
        .offset:         64
        .size:           8
        .value_kind:     global_buffer
      - .actual_access:  read_only
        .address_space:  global
        .offset:         72
        .size:           8
        .value_kind:     global_buffer
      - .actual_access:  read_only
        .address_space:  global
        .offset:         80
        .size:           8
        .value_kind:     global_buffer
      - .offset:         88
        .size:           8
        .value_kind:     by_value
      - .address_space:  global
        .offset:         96
        .size:           8
        .value_kind:     global_buffer
      - .offset:         104
        .size:           4
        .value_kind:     by_value
      - .offset:         108
        .size:           1
        .value_kind:     by_value
    .group_segment_fixed_size: 0
    .kernarg_segment_align: 8
    .kernarg_segment_size: 112
    .language:       OpenCL C
    .language_version:
      - 2
      - 0
    .max_flat_workgroup_size: 256
    .name:           _ZN9rocsparseL41csrmvn_lrb_medium_rows_warp_reduce_kernelILj256ELj64EllddddEEvbT1_lPT2_S3_jNS_24const_host_device_scalarIT6_EEPKS1_PKS2_PKT3_PKT4_S6_PT5_21rocsparse_index_base_b
    .private_segment_fixed_size: 0
    .sgpr_count:     20
    .sgpr_spill_count: 0
    .symbol:         _ZN9rocsparseL41csrmvn_lrb_medium_rows_warp_reduce_kernelILj256ELj64EllddddEEvbT1_lPT2_S3_jNS_24const_host_device_scalarIT6_EEPKS1_PKS2_PKT3_PKT4_S6_PT5_21rocsparse_index_base_b.kd
    .uniform_work_group_size: 1
    .uses_dynamic_stack: false
    .vgpr_count:     24
    .vgpr_spill_count: 0
    .wavefront_size: 64
  - .agpr_count:     0
    .args:
      - .offset:         0
        .size:           1
        .value_kind:     by_value
      - .offset:         8
        .size:           8
        .value_kind:     by_value
      - .actual_access:  read_only
        .address_space:  global
        .offset:         16
        .size:           8
        .value_kind:     global_buffer
      - .actual_access:  read_only
        .address_space:  global
        .offset:         24
        .size:           8
        .value_kind:     global_buffer
      - .offset:         32
        .size:           4
        .value_kind:     by_value
      - .offset:         40
        .size:           8
        .value_kind:     by_value
      - .actual_access:  read_only
        .address_space:  global
        .offset:         48
        .size:           8
        .value_kind:     global_buffer
      - .actual_access:  read_only
        .address_space:  global
        .offset:         56
        .size:           8
        .value_kind:     global_buffer
      - .actual_access:  read_only
        .address_space:  global
        .offset:         64
        .size:           8
        .value_kind:     global_buffer
      - .actual_access:  read_only
        .address_space:  global
        .offset:         72
        .size:           8
        .value_kind:     global_buffer
      - .offset:         80
        .size:           8
        .value_kind:     by_value
      - .address_space:  global
        .offset:         88
        .size:           8
        .value_kind:     global_buffer
      - .offset:         96
        .size:           4
        .value_kind:     by_value
      - .offset:         100
        .size:           1
        .value_kind:     by_value
    .group_segment_fixed_size: 2048
    .kernarg_segment_align: 8
    .kernarg_segment_size: 104
    .language:       OpenCL C
    .language_version:
      - 2
      - 0
    .max_flat_workgroup_size: 256
    .name:           _ZN9rocsparseL29csrmvn_lrb_medium_rows_kernelILj256EllddddEEvbT0_PT1_S3_jNS_24const_host_device_scalarIT5_EEPKS1_PKS2_PKT2_PKT3_S6_PT4_21rocsparse_index_base_b
    .private_segment_fixed_size: 0
    .sgpr_count:     24
    .sgpr_spill_count: 0
    .symbol:         _ZN9rocsparseL29csrmvn_lrb_medium_rows_kernelILj256EllddddEEvbT0_PT1_S3_jNS_24const_host_device_scalarIT5_EEPKS1_PKS2_PKT2_PKT3_S6_PT4_21rocsparse_index_base_b.kd
    .uniform_work_group_size: 1
    .uses_dynamic_stack: false
    .vgpr_count:     20
    .vgpr_spill_count: 0
    .wavefront_size: 64
  - .agpr_count:     0
    .args:
      - .offset:         0
        .size:           1
        .value_kind:     by_value
      - .offset:         8
        .size:           8
        .value_kind:     by_value
      - .address_space:  global
        .offset:         16
        .size:           8
        .value_kind:     global_buffer
      - .actual_access:  read_only
        .address_space:  global
        .offset:         24
        .size:           8
        .value_kind:     global_buffer
      - .actual_access:  read_only
        .address_space:  global
        .offset:         32
        .size:           8
        .value_kind:     global_buffer
      - .offset:         40
        .size:           4
        .value_kind:     by_value
      - .offset:         48
        .size:           8
        .value_kind:     by_value
      - .actual_access:  read_only
        .address_space:  global
        .offset:         56
        .size:           8
        .value_kind:     global_buffer
      - .actual_access:  read_only
        .address_space:  global
        .offset:         64
        .size:           8
        .value_kind:     global_buffer
      - .actual_access:  read_only
        .address_space:  global
        .offset:         72
        .size:           8
        .value_kind:     global_buffer
      - .actual_access:  read_only
        .address_space:  global
        .offset:         80
        .size:           8
        .value_kind:     global_buffer
      - .offset:         88
        .size:           8
        .value_kind:     by_value
      - .address_space:  global
        .offset:         96
        .size:           8
        .value_kind:     global_buffer
      - .offset:         104
        .size:           4
        .value_kind:     by_value
      - .offset:         108
        .size:           1
        .value_kind:     by_value
    .group_segment_fixed_size: 2048
    .kernarg_segment_align: 8
    .kernarg_segment_size: 112
    .language:       OpenCL C
    .language_version:
      - 2
      - 0
    .max_flat_workgroup_size: 256
    .name:           _ZN9rocsparseL27csrmvn_lrb_long_rows_kernelIllddddEEvbT_PjPT0_S4_jNS_24const_host_device_scalarIT4_EEPKS1_PKS3_PKT1_PKT2_S7_PT3_21rocsparse_index_base_b
    .private_segment_fixed_size: 0
    .sgpr_count:     36
    .sgpr_spill_count: 0
    .symbol:         _ZN9rocsparseL27csrmvn_lrb_long_rows_kernelIllddddEEvbT_PjPT0_S4_jNS_24const_host_device_scalarIT4_EEPKS1_PKS3_PKT1_PKT2_S7_PT3_21rocsparse_index_base_b.kd
    .uniform_work_group_size: 1
    .uses_dynamic_stack: false
    .vgpr_count:     18
    .vgpr_spill_count: 0
    .wavefront_size: 64
  - .agpr_count:     0
    .args:
      - .offset:         0
        .size:           1
        .value_kind:     by_value
      - .offset:         4
        .size:           4
        .value_kind:     by_value
      - .actual_access:  read_only
        .address_space:  global
        .offset:         8
        .size:           8
        .value_kind:     global_buffer
      - .actual_access:  read_only
        .address_space:  global
        .offset:         16
        .size:           8
        .value_kind:     global_buffer
      - .offset:         24
        .size:           4
        .value_kind:     by_value
      - .offset:         32
        .size:           8
        .value_kind:     by_value
      - .actual_access:  read_only
        .address_space:  global
        .offset:         40
        .size:           8
        .value_kind:     global_buffer
      - .actual_access:  read_only
        .address_space:  global
        .offset:         48
        .size:           8
        .value_kind:     global_buffer
      - .actual_access:  read_only
        .address_space:  global
        .offset:         56
        .size:           8
        .value_kind:     global_buffer
      - .actual_access:  read_only
        .address_space:  global
        .offset:         64
        .size:           8
        .value_kind:     global_buffer
      - .offset:         72
        .size:           8
        .value_kind:     by_value
      - .address_space:  global
        .offset:         80
        .size:           8
        .value_kind:     global_buffer
      - .offset:         88
        .size:           4
        .value_kind:     by_value
      - .offset:         92
        .size:           1
        .value_kind:     by_value
    .group_segment_fixed_size: 0
    .kernarg_segment_align: 8
    .kernarg_segment_size: 96
    .language:       OpenCL C
    .language_version:
      - 2
      - 0
    .max_flat_workgroup_size: 256
    .name:           _ZN9rocsparseL28csrmvn_lrb_short_rows_kernelIii21rocsparse_complex_numIfES2_S2_S2_EEvbT_PT0_S5_jNS_24const_host_device_scalarIT4_EEPKS3_PKS4_PKT1_PKT2_S8_PT3_21rocsparse_index_base_b
    .private_segment_fixed_size: 0
    .sgpr_count:     29
    .sgpr_spill_count: 0
    .symbol:         _ZN9rocsparseL28csrmvn_lrb_short_rows_kernelIii21rocsparse_complex_numIfES2_S2_S2_EEvbT_PT0_S5_jNS_24const_host_device_scalarIT4_EEPKS3_PKS4_PKT1_PKT2_S8_PT3_21rocsparse_index_base_b.kd
    .uniform_work_group_size: 1
    .uses_dynamic_stack: false
    .vgpr_count:     18
    .vgpr_spill_count: 0
    .wavefront_size: 64
  - .agpr_count:     0
    .args:
      - .offset:         0
        .size:           1
        .value_kind:     by_value
      - .offset:         4
        .size:           4
        .value_kind:     by_value
      - .actual_access:  read_only
        .address_space:  global
        .offset:         8
        .size:           8
        .value_kind:     global_buffer
      - .actual_access:  read_only
        .address_space:  global
        .offset:         16
        .size:           8
        .value_kind:     global_buffer
      - .offset:         24
        .size:           4
        .value_kind:     by_value
      - .offset:         32
        .size:           8
        .value_kind:     by_value
      - .actual_access:  read_only
        .address_space:  global
        .offset:         40
        .size:           8
        .value_kind:     global_buffer
      - .actual_access:  read_only
        .address_space:  global
        .offset:         48
        .size:           8
        .value_kind:     global_buffer
      - .actual_access:  read_only
        .address_space:  global
        .offset:         56
        .size:           8
        .value_kind:     global_buffer
      - .actual_access:  read_only
        .address_space:  global
        .offset:         64
        .size:           8
        .value_kind:     global_buffer
      - .offset:         72
        .size:           8
        .value_kind:     by_value
      - .address_space:  global
        .offset:         80
        .size:           8
        .value_kind:     global_buffer
      - .offset:         88
        .size:           4
        .value_kind:     by_value
      - .offset:         92
        .size:           1
        .value_kind:     by_value
    .group_segment_fixed_size: 8192
    .kernarg_segment_align: 8
    .kernarg_segment_size: 96
    .language:       OpenCL C
    .language_version:
      - 2
      - 0
    .max_flat_workgroup_size: 256
    .name:           _ZN9rocsparseL30csrmvn_lrb_short_rows_2_kernelIii21rocsparse_complex_numIfES2_S2_S2_EEvbT_PT0_S5_jNS_24const_host_device_scalarIT4_EEPKS3_PKS4_PKT1_PKT2_S8_PT3_21rocsparse_index_base_b
    .private_segment_fixed_size: 0
    .sgpr_count:     28
    .sgpr_spill_count: 0
    .symbol:         _ZN9rocsparseL30csrmvn_lrb_short_rows_2_kernelIii21rocsparse_complex_numIfES2_S2_S2_EEvbT_PT0_S5_jNS_24const_host_device_scalarIT4_EEPKS3_PKS4_PKT1_PKT2_S8_PT3_21rocsparse_index_base_b.kd
    .uniform_work_group_size: 1
    .uses_dynamic_stack: false
    .vgpr_count:     16
    .vgpr_spill_count: 0
    .wavefront_size: 64
  - .agpr_count:     0
    .args:
      - .offset:         0
        .size:           1
        .value_kind:     by_value
      - .offset:         4
        .size:           4
        .value_kind:     by_value
      - .offset:         8
        .size:           8
        .value_kind:     by_value
      - .actual_access:  read_only
        .address_space:  global
        .offset:         16
        .size:           8
        .value_kind:     global_buffer
      - .actual_access:  read_only
        .address_space:  global
        .offset:         24
        .size:           8
        .value_kind:     global_buffer
      - .offset:         32
        .size:           4
        .value_kind:     by_value
      - .offset:         40
        .size:           8
        .value_kind:     by_value
      - .actual_access:  read_only
        .address_space:  global
        .offset:         48
        .size:           8
        .value_kind:     global_buffer
      - .actual_access:  read_only
        .address_space:  global
        .offset:         56
        .size:           8
        .value_kind:     global_buffer
      - .actual_access:  read_only
        .address_space:  global
        .offset:         64
        .size:           8
        .value_kind:     global_buffer
      - .actual_access:  read_only
        .address_space:  global
        .offset:         72
        .size:           8
        .value_kind:     global_buffer
      - .offset:         80
        .size:           8
        .value_kind:     by_value
      - .address_space:  global
        .offset:         88
        .size:           8
        .value_kind:     global_buffer
      - .offset:         96
        .size:           4
        .value_kind:     by_value
      - .offset:         100
        .size:           1
        .value_kind:     by_value
    .group_segment_fixed_size: 0
    .kernarg_segment_align: 8
    .kernarg_segment_size: 104
    .language:       OpenCL C
    .language_version:
      - 2
      - 0
    .max_flat_workgroup_size: 256
    .name:           _ZN9rocsparseL41csrmvn_lrb_medium_rows_warp_reduce_kernelILj256ELj32Eii21rocsparse_complex_numIfES2_S2_S2_EEvbT1_lPT2_S5_jNS_24const_host_device_scalarIT6_EEPKS3_PKS4_PKT3_PKT4_S8_PT5_21rocsparse_index_base_b
    .private_segment_fixed_size: 0
    .sgpr_count:     20
    .sgpr_spill_count: 0
    .symbol:         _ZN9rocsparseL41csrmvn_lrb_medium_rows_warp_reduce_kernelILj256ELj32Eii21rocsparse_complex_numIfES2_S2_S2_EEvbT1_lPT2_S5_jNS_24const_host_device_scalarIT6_EEPKS3_PKS4_PKT3_PKT4_S8_PT5_21rocsparse_index_base_b.kd
    .uniform_work_group_size: 1
    .uses_dynamic_stack: false
    .vgpr_count:     24
    .vgpr_spill_count: 0
    .wavefront_size: 64
  - .agpr_count:     0
    .args:
      - .offset:         0
        .size:           1
        .value_kind:     by_value
      - .offset:         4
        .size:           4
        .value_kind:     by_value
      - .offset:         8
        .size:           8
        .value_kind:     by_value
      - .actual_access:  read_only
        .address_space:  global
        .offset:         16
        .size:           8
        .value_kind:     global_buffer
      - .actual_access:  read_only
        .address_space:  global
        .offset:         24
        .size:           8
        .value_kind:     global_buffer
      - .offset:         32
        .size:           4
        .value_kind:     by_value
      - .offset:         40
        .size:           8
        .value_kind:     by_value
      - .actual_access:  read_only
        .address_space:  global
        .offset:         48
        .size:           8
        .value_kind:     global_buffer
      - .actual_access:  read_only
        .address_space:  global
        .offset:         56
        .size:           8
        .value_kind:     global_buffer
      - .actual_access:  read_only
        .address_space:  global
        .offset:         64
        .size:           8
        .value_kind:     global_buffer
      - .actual_access:  read_only
        .address_space:  global
        .offset:         72
        .size:           8
        .value_kind:     global_buffer
      - .offset:         80
        .size:           8
        .value_kind:     by_value
      - .address_space:  global
        .offset:         88
        .size:           8
        .value_kind:     global_buffer
      - .offset:         96
        .size:           4
        .value_kind:     by_value
      - .offset:         100
        .size:           1
        .value_kind:     by_value
    .group_segment_fixed_size: 0
    .kernarg_segment_align: 8
    .kernarg_segment_size: 104
    .language:       OpenCL C
    .language_version:
      - 2
      - 0
    .max_flat_workgroup_size: 256
    .name:           _ZN9rocsparseL41csrmvn_lrb_medium_rows_warp_reduce_kernelILj256ELj64Eii21rocsparse_complex_numIfES2_S2_S2_EEvbT1_lPT2_S5_jNS_24const_host_device_scalarIT6_EEPKS3_PKS4_PKT3_PKT4_S8_PT5_21rocsparse_index_base_b
    .private_segment_fixed_size: 0
    .sgpr_count:     20
    .sgpr_spill_count: 0
    .symbol:         _ZN9rocsparseL41csrmvn_lrb_medium_rows_warp_reduce_kernelILj256ELj64Eii21rocsparse_complex_numIfES2_S2_S2_EEvbT1_lPT2_S5_jNS_24const_host_device_scalarIT6_EEPKS3_PKS4_PKT3_PKT4_S8_PT5_21rocsparse_index_base_b.kd
    .uniform_work_group_size: 1
    .uses_dynamic_stack: false
    .vgpr_count:     24
    .vgpr_spill_count: 0
    .wavefront_size: 64
  - .agpr_count:     0
    .args:
      - .offset:         0
        .size:           1
        .value_kind:     by_value
      - .offset:         4
        .size:           4
        .value_kind:     by_value
      - .actual_access:  read_only
        .address_space:  global
        .offset:         8
        .size:           8
        .value_kind:     global_buffer
      - .actual_access:  read_only
        .address_space:  global
        .offset:         16
        .size:           8
        .value_kind:     global_buffer
      - .offset:         24
        .size:           4
        .value_kind:     by_value
      - .offset:         32
        .size:           8
        .value_kind:     by_value
      - .actual_access:  read_only
        .address_space:  global
        .offset:         40
        .size:           8
        .value_kind:     global_buffer
      - .actual_access:  read_only
        .address_space:  global
        .offset:         48
        .size:           8
        .value_kind:     global_buffer
      - .actual_access:  read_only
        .address_space:  global
        .offset:         56
        .size:           8
        .value_kind:     global_buffer
      - .actual_access:  read_only
        .address_space:  global
        .offset:         64
        .size:           8
        .value_kind:     global_buffer
      - .offset:         72
        .size:           8
        .value_kind:     by_value
      - .address_space:  global
        .offset:         80
        .size:           8
        .value_kind:     global_buffer
      - .offset:         88
        .size:           4
        .value_kind:     by_value
      - .offset:         92
        .size:           1
        .value_kind:     by_value
    .group_segment_fixed_size: 2048
    .kernarg_segment_align: 8
    .kernarg_segment_size: 96
    .language:       OpenCL C
    .language_version:
      - 2
      - 0
    .max_flat_workgroup_size: 256
    .name:           _ZN9rocsparseL29csrmvn_lrb_medium_rows_kernelILj256Eii21rocsparse_complex_numIfES2_S2_S2_EEvbT0_PT1_S5_jNS_24const_host_device_scalarIT5_EEPKS3_PKS4_PKT2_PKT3_S8_PT4_21rocsparse_index_base_b
    .private_segment_fixed_size: 0
    .sgpr_count:     22
    .sgpr_spill_count: 0
    .symbol:         _ZN9rocsparseL29csrmvn_lrb_medium_rows_kernelILj256Eii21rocsparse_complex_numIfES2_S2_S2_EEvbT0_PT1_S5_jNS_24const_host_device_scalarIT5_EEPKS3_PKS4_PKT2_PKT3_S8_PT4_21rocsparse_index_base_b.kd
    .uniform_work_group_size: 1
    .uses_dynamic_stack: false
    .vgpr_count:     20
    .vgpr_spill_count: 0
    .wavefront_size: 64
  - .agpr_count:     0
    .args:
      - .offset:         0
        .size:           1
        .value_kind:     by_value
      - .offset:         4
        .size:           4
        .value_kind:     by_value
      - .address_space:  global
        .offset:         8
        .size:           8
        .value_kind:     global_buffer
      - .actual_access:  read_only
        .address_space:  global
        .offset:         16
        .size:           8
        .value_kind:     global_buffer
      - .actual_access:  read_only
        .address_space:  global
        .offset:         24
        .size:           8
        .value_kind:     global_buffer
      - .offset:         32
        .size:           4
        .value_kind:     by_value
      - .offset:         40
        .size:           8
        .value_kind:     by_value
      - .actual_access:  read_only
        .address_space:  global
        .offset:         48
        .size:           8
        .value_kind:     global_buffer
      - .actual_access:  read_only
        .address_space:  global
        .offset:         56
        .size:           8
        .value_kind:     global_buffer
      - .actual_access:  read_only
        .address_space:  global
        .offset:         64
        .size:           8
        .value_kind:     global_buffer
      - .actual_access:  read_only
        .address_space:  global
        .offset:         72
        .size:           8
        .value_kind:     global_buffer
      - .offset:         80
        .size:           8
        .value_kind:     by_value
      - .address_space:  global
        .offset:         88
        .size:           8
        .value_kind:     global_buffer
      - .offset:         96
        .size:           4
        .value_kind:     by_value
      - .offset:         100
        .size:           1
        .value_kind:     by_value
    .group_segment_fixed_size: 2048
    .kernarg_segment_align: 8
    .kernarg_segment_size: 104
    .language:       OpenCL C
    .language_version:
      - 2
      - 0
    .max_flat_workgroup_size: 256
    .name:           _ZN9rocsparseL27csrmvn_lrb_long_rows_kernelIii21rocsparse_complex_numIfES2_S2_S2_EEvbT_PjPT0_S6_jNS_24const_host_device_scalarIT4_EEPKS3_PKS5_PKT1_PKT2_S9_PT3_21rocsparse_index_base_b
    .private_segment_fixed_size: 0
    .sgpr_count:     32
    .sgpr_spill_count: 0
    .symbol:         _ZN9rocsparseL27csrmvn_lrb_long_rows_kernelIii21rocsparse_complex_numIfES2_S2_S2_EEvbT_PjPT0_S6_jNS_24const_host_device_scalarIT4_EEPKS3_PKS5_PKT1_PKT2_S9_PT3_21rocsparse_index_base_b.kd
    .uniform_work_group_size: 1
    .uses_dynamic_stack: false
    .vgpr_count:     18
    .vgpr_spill_count: 0
    .wavefront_size: 64
  - .agpr_count:     0
    .args:
      - .offset:         0
        .size:           1
        .value_kind:     by_value
      - .offset:         8
        .size:           8
        .value_kind:     by_value
      - .actual_access:  read_only
        .address_space:  global
        .offset:         16
        .size:           8
        .value_kind:     global_buffer
      - .actual_access:  read_only
        .address_space:  global
        .offset:         24
        .size:           8
        .value_kind:     global_buffer
      - .offset:         32
        .size:           4
        .value_kind:     by_value
      - .offset:         40
        .size:           8
        .value_kind:     by_value
      - .actual_access:  read_only
        .address_space:  global
        .offset:         48
        .size:           8
        .value_kind:     global_buffer
      - .actual_access:  read_only
        .address_space:  global
        .offset:         56
        .size:           8
        .value_kind:     global_buffer
      - .actual_access:  read_only
        .address_space:  global
        .offset:         64
        .size:           8
        .value_kind:     global_buffer
      - .actual_access:  read_only
        .address_space:  global
        .offset:         72
        .size:           8
        .value_kind:     global_buffer
      - .offset:         80
        .size:           8
        .value_kind:     by_value
      - .address_space:  global
        .offset:         88
        .size:           8
        .value_kind:     global_buffer
      - .offset:         96
        .size:           4
        .value_kind:     by_value
      - .offset:         100
        .size:           1
        .value_kind:     by_value
    .group_segment_fixed_size: 0
    .kernarg_segment_align: 8
    .kernarg_segment_size: 104
    .language:       OpenCL C
    .language_version:
      - 2
      - 0
    .max_flat_workgroup_size: 256
    .name:           _ZN9rocsparseL28csrmvn_lrb_short_rows_kernelIli21rocsparse_complex_numIfES2_S2_S2_EEvbT_PT0_S5_jNS_24const_host_device_scalarIT4_EEPKS3_PKS4_PKT1_PKT2_S8_PT3_21rocsparse_index_base_b
    .private_segment_fixed_size: 0
    .sgpr_count:     30
    .sgpr_spill_count: 0
    .symbol:         _ZN9rocsparseL28csrmvn_lrb_short_rows_kernelIli21rocsparse_complex_numIfES2_S2_S2_EEvbT_PT0_S5_jNS_24const_host_device_scalarIT4_EEPKS3_PKS4_PKT1_PKT2_S8_PT3_21rocsparse_index_base_b.kd
    .uniform_work_group_size: 1
    .uses_dynamic_stack: false
    .vgpr_count:     18
    .vgpr_spill_count: 0
    .wavefront_size: 64
  - .agpr_count:     0
    .args:
      - .offset:         0
        .size:           1
        .value_kind:     by_value
      - .offset:         8
        .size:           8
        .value_kind:     by_value
      - .actual_access:  read_only
        .address_space:  global
        .offset:         16
        .size:           8
        .value_kind:     global_buffer
      - .actual_access:  read_only
        .address_space:  global
        .offset:         24
        .size:           8
        .value_kind:     global_buffer
      - .offset:         32
        .size:           4
        .value_kind:     by_value
      - .offset:         40
        .size:           8
        .value_kind:     by_value
      - .actual_access:  read_only
        .address_space:  global
        .offset:         48
        .size:           8
        .value_kind:     global_buffer
      - .actual_access:  read_only
        .address_space:  global
        .offset:         56
        .size:           8
        .value_kind:     global_buffer
      - .actual_access:  read_only
        .address_space:  global
        .offset:         64
        .size:           8
        .value_kind:     global_buffer
      - .actual_access:  read_only
        .address_space:  global
        .offset:         72
        .size:           8
        .value_kind:     global_buffer
      - .offset:         80
        .size:           8
        .value_kind:     by_value
      - .address_space:  global
        .offset:         88
        .size:           8
        .value_kind:     global_buffer
      - .offset:         96
        .size:           4
        .value_kind:     by_value
      - .offset:         100
        .size:           1
        .value_kind:     by_value
    .group_segment_fixed_size: 8192
    .kernarg_segment_align: 8
    .kernarg_segment_size: 104
    .language:       OpenCL C
    .language_version:
      - 2
      - 0
    .max_flat_workgroup_size: 256
    .name:           _ZN9rocsparseL30csrmvn_lrb_short_rows_2_kernelIli21rocsparse_complex_numIfES2_S2_S2_EEvbT_PT0_S5_jNS_24const_host_device_scalarIT4_EEPKS3_PKS4_PKT1_PKT2_S8_PT3_21rocsparse_index_base_b
    .private_segment_fixed_size: 0
    .sgpr_count:     28
    .sgpr_spill_count: 0
    .symbol:         _ZN9rocsparseL30csrmvn_lrb_short_rows_2_kernelIli21rocsparse_complex_numIfES2_S2_S2_EEvbT_PT0_S5_jNS_24const_host_device_scalarIT4_EEPKS3_PKS4_PKT1_PKT2_S8_PT3_21rocsparse_index_base_b.kd
    .uniform_work_group_size: 1
    .uses_dynamic_stack: false
    .vgpr_count:     16
    .vgpr_spill_count: 0
    .wavefront_size: 64
  - .agpr_count:     0
    .args:
      - .offset:         0
        .size:           1
        .value_kind:     by_value
      - .offset:         8
        .size:           8
        .value_kind:     by_value
      - .offset:         16
        .size:           8
        .value_kind:     by_value
      - .actual_access:  read_only
        .address_space:  global
        .offset:         24
        .size:           8
        .value_kind:     global_buffer
      - .actual_access:  read_only
        .address_space:  global
        .offset:         32
        .size:           8
        .value_kind:     global_buffer
      - .offset:         40
        .size:           4
        .value_kind:     by_value
      - .offset:         48
        .size:           8
        .value_kind:     by_value
      - .actual_access:  read_only
        .address_space:  global
        .offset:         56
        .size:           8
        .value_kind:     global_buffer
      - .actual_access:  read_only
        .address_space:  global
        .offset:         64
        .size:           8
        .value_kind:     global_buffer
      - .actual_access:  read_only
        .address_space:  global
        .offset:         72
        .size:           8
        .value_kind:     global_buffer
      - .actual_access:  read_only
        .address_space:  global
        .offset:         80
        .size:           8
        .value_kind:     global_buffer
      - .offset:         88
        .size:           8
        .value_kind:     by_value
      - .address_space:  global
        .offset:         96
        .size:           8
        .value_kind:     global_buffer
      - .offset:         104
        .size:           4
        .value_kind:     by_value
      - .offset:         108
        .size:           1
        .value_kind:     by_value
    .group_segment_fixed_size: 0
    .kernarg_segment_align: 8
    .kernarg_segment_size: 112
    .language:       OpenCL C
    .language_version:
      - 2
      - 0
    .max_flat_workgroup_size: 256
    .name:           _ZN9rocsparseL41csrmvn_lrb_medium_rows_warp_reduce_kernelILj256ELj32Eli21rocsparse_complex_numIfES2_S2_S2_EEvbT1_lPT2_S5_jNS_24const_host_device_scalarIT6_EEPKS3_PKS4_PKT3_PKT4_S8_PT5_21rocsparse_index_base_b
    .private_segment_fixed_size: 0
    .sgpr_count:     20
    .sgpr_spill_count: 0
    .symbol:         _ZN9rocsparseL41csrmvn_lrb_medium_rows_warp_reduce_kernelILj256ELj32Eli21rocsparse_complex_numIfES2_S2_S2_EEvbT1_lPT2_S5_jNS_24const_host_device_scalarIT6_EEPKS3_PKS4_PKT3_PKT4_S8_PT5_21rocsparse_index_base_b.kd
    .uniform_work_group_size: 1
    .uses_dynamic_stack: false
    .vgpr_count:     26
    .vgpr_spill_count: 0
    .wavefront_size: 64
  - .agpr_count:     0
    .args:
      - .offset:         0
        .size:           1
        .value_kind:     by_value
      - .offset:         8
        .size:           8
        .value_kind:     by_value
      - .offset:         16
        .size:           8
        .value_kind:     by_value
      - .actual_access:  read_only
        .address_space:  global
        .offset:         24
        .size:           8
        .value_kind:     global_buffer
      - .actual_access:  read_only
        .address_space:  global
        .offset:         32
        .size:           8
        .value_kind:     global_buffer
      - .offset:         40
        .size:           4
        .value_kind:     by_value
      - .offset:         48
        .size:           8
        .value_kind:     by_value
      - .actual_access:  read_only
        .address_space:  global
        .offset:         56
        .size:           8
        .value_kind:     global_buffer
      - .actual_access:  read_only
        .address_space:  global
        .offset:         64
        .size:           8
        .value_kind:     global_buffer
      - .actual_access:  read_only
        .address_space:  global
        .offset:         72
        .size:           8
        .value_kind:     global_buffer
      - .actual_access:  read_only
        .address_space:  global
        .offset:         80
        .size:           8
        .value_kind:     global_buffer
      - .offset:         88
        .size:           8
        .value_kind:     by_value
      - .address_space:  global
        .offset:         96
        .size:           8
        .value_kind:     global_buffer
      - .offset:         104
        .size:           4
        .value_kind:     by_value
      - .offset:         108
        .size:           1
        .value_kind:     by_value
    .group_segment_fixed_size: 0
    .kernarg_segment_align: 8
    .kernarg_segment_size: 112
    .language:       OpenCL C
    .language_version:
      - 2
      - 0
    .max_flat_workgroup_size: 256
    .name:           _ZN9rocsparseL41csrmvn_lrb_medium_rows_warp_reduce_kernelILj256ELj64Eli21rocsparse_complex_numIfES2_S2_S2_EEvbT1_lPT2_S5_jNS_24const_host_device_scalarIT6_EEPKS3_PKS4_PKT3_PKT4_S8_PT5_21rocsparse_index_base_b
    .private_segment_fixed_size: 0
    .sgpr_count:     20
    .sgpr_spill_count: 0
    .symbol:         _ZN9rocsparseL41csrmvn_lrb_medium_rows_warp_reduce_kernelILj256ELj64Eli21rocsparse_complex_numIfES2_S2_S2_EEvbT1_lPT2_S5_jNS_24const_host_device_scalarIT6_EEPKS3_PKS4_PKT3_PKT4_S8_PT5_21rocsparse_index_base_b.kd
    .uniform_work_group_size: 1
    .uses_dynamic_stack: false
    .vgpr_count:     26
    .vgpr_spill_count: 0
    .wavefront_size: 64
  - .agpr_count:     0
    .args:
      - .offset:         0
        .size:           1
        .value_kind:     by_value
      - .offset:         8
        .size:           8
        .value_kind:     by_value
      - .actual_access:  read_only
        .address_space:  global
        .offset:         16
        .size:           8
        .value_kind:     global_buffer
      - .actual_access:  read_only
        .address_space:  global
        .offset:         24
        .size:           8
        .value_kind:     global_buffer
      - .offset:         32
        .size:           4
        .value_kind:     by_value
      - .offset:         40
        .size:           8
        .value_kind:     by_value
      - .actual_access:  read_only
        .address_space:  global
        .offset:         48
        .size:           8
        .value_kind:     global_buffer
      - .actual_access:  read_only
        .address_space:  global
        .offset:         56
        .size:           8
        .value_kind:     global_buffer
      - .actual_access:  read_only
        .address_space:  global
        .offset:         64
        .size:           8
        .value_kind:     global_buffer
      - .actual_access:  read_only
        .address_space:  global
        .offset:         72
        .size:           8
        .value_kind:     global_buffer
      - .offset:         80
        .size:           8
        .value_kind:     by_value
      - .address_space:  global
        .offset:         88
        .size:           8
        .value_kind:     global_buffer
      - .offset:         96
        .size:           4
        .value_kind:     by_value
      - .offset:         100
        .size:           1
        .value_kind:     by_value
    .group_segment_fixed_size: 2048
    .kernarg_segment_align: 8
    .kernarg_segment_size: 104
    .language:       OpenCL C
    .language_version:
      - 2
      - 0
    .max_flat_workgroup_size: 256
    .name:           _ZN9rocsparseL29csrmvn_lrb_medium_rows_kernelILj256Eli21rocsparse_complex_numIfES2_S2_S2_EEvbT0_PT1_S5_jNS_24const_host_device_scalarIT5_EEPKS3_PKS4_PKT2_PKT3_S8_PT4_21rocsparse_index_base_b
    .private_segment_fixed_size: 0
    .sgpr_count:     24
    .sgpr_spill_count: 0
    .symbol:         _ZN9rocsparseL29csrmvn_lrb_medium_rows_kernelILj256Eli21rocsparse_complex_numIfES2_S2_S2_EEvbT0_PT1_S5_jNS_24const_host_device_scalarIT5_EEPKS3_PKS4_PKT2_PKT3_S8_PT4_21rocsparse_index_base_b.kd
    .uniform_work_group_size: 1
    .uses_dynamic_stack: false
    .vgpr_count:     22
    .vgpr_spill_count: 0
    .wavefront_size: 64
  - .agpr_count:     0
    .args:
      - .offset:         0
        .size:           1
        .value_kind:     by_value
      - .offset:         8
        .size:           8
        .value_kind:     by_value
      - .address_space:  global
        .offset:         16
        .size:           8
        .value_kind:     global_buffer
      - .actual_access:  read_only
        .address_space:  global
        .offset:         24
        .size:           8
        .value_kind:     global_buffer
      - .actual_access:  read_only
        .address_space:  global
        .offset:         32
        .size:           8
        .value_kind:     global_buffer
      - .offset:         40
        .size:           4
        .value_kind:     by_value
      - .offset:         48
        .size:           8
        .value_kind:     by_value
      - .actual_access:  read_only
        .address_space:  global
        .offset:         56
        .size:           8
        .value_kind:     global_buffer
      - .actual_access:  read_only
        .address_space:  global
        .offset:         64
        .size:           8
        .value_kind:     global_buffer
      - .actual_access:  read_only
        .address_space:  global
        .offset:         72
        .size:           8
        .value_kind:     global_buffer
      - .actual_access:  read_only
        .address_space:  global
        .offset:         80
        .size:           8
        .value_kind:     global_buffer
      - .offset:         88
        .size:           8
        .value_kind:     by_value
      - .address_space:  global
        .offset:         96
        .size:           8
        .value_kind:     global_buffer
      - .offset:         104
        .size:           4
        .value_kind:     by_value
      - .offset:         108
        .size:           1
        .value_kind:     by_value
    .group_segment_fixed_size: 2048
    .kernarg_segment_align: 8
    .kernarg_segment_size: 112
    .language:       OpenCL C
    .language_version:
      - 2
      - 0
    .max_flat_workgroup_size: 256
    .name:           _ZN9rocsparseL27csrmvn_lrb_long_rows_kernelIli21rocsparse_complex_numIfES2_S2_S2_EEvbT_PjPT0_S6_jNS_24const_host_device_scalarIT4_EEPKS3_PKS5_PKT1_PKT2_S9_PT3_21rocsparse_index_base_b
    .private_segment_fixed_size: 0
    .sgpr_count:     36
    .sgpr_spill_count: 0
    .symbol:         _ZN9rocsparseL27csrmvn_lrb_long_rows_kernelIli21rocsparse_complex_numIfES2_S2_S2_EEvbT_PjPT0_S6_jNS_24const_host_device_scalarIT4_EEPKS3_PKS5_PKT1_PKT2_S9_PT3_21rocsparse_index_base_b.kd
    .uniform_work_group_size: 1
    .uses_dynamic_stack: false
    .vgpr_count:     20
    .vgpr_spill_count: 0
    .wavefront_size: 64
  - .agpr_count:     0
    .args:
      - .offset:         0
        .size:           1
        .value_kind:     by_value
      - .offset:         8
        .size:           8
        .value_kind:     by_value
      - .actual_access:  read_only
        .address_space:  global
        .offset:         16
        .size:           8
        .value_kind:     global_buffer
      - .actual_access:  read_only
        .address_space:  global
        .offset:         24
        .size:           8
        .value_kind:     global_buffer
      - .offset:         32
        .size:           4
        .value_kind:     by_value
      - .offset:         40
        .size:           8
        .value_kind:     by_value
      - .actual_access:  read_only
        .address_space:  global
        .offset:         48
        .size:           8
        .value_kind:     global_buffer
      - .actual_access:  read_only
        .address_space:  global
        .offset:         56
        .size:           8
        .value_kind:     global_buffer
      - .actual_access:  read_only
        .address_space:  global
        .offset:         64
        .size:           8
        .value_kind:     global_buffer
      - .actual_access:  read_only
        .address_space:  global
        .offset:         72
        .size:           8
        .value_kind:     global_buffer
      - .offset:         80
        .size:           8
        .value_kind:     by_value
      - .address_space:  global
        .offset:         88
        .size:           8
        .value_kind:     global_buffer
      - .offset:         96
        .size:           4
        .value_kind:     by_value
      - .offset:         100
        .size:           1
        .value_kind:     by_value
    .group_segment_fixed_size: 0
    .kernarg_segment_align: 8
    .kernarg_segment_size: 104
    .language:       OpenCL C
    .language_version:
      - 2
      - 0
    .max_flat_workgroup_size: 256
    .name:           _ZN9rocsparseL28csrmvn_lrb_short_rows_kernelIll21rocsparse_complex_numIfES2_S2_S2_EEvbT_PT0_S5_jNS_24const_host_device_scalarIT4_EEPKS3_PKS4_PKT1_PKT2_S8_PT3_21rocsparse_index_base_b
    .private_segment_fixed_size: 0
    .sgpr_count:     33
    .sgpr_spill_count: 0
    .symbol:         _ZN9rocsparseL28csrmvn_lrb_short_rows_kernelIll21rocsparse_complex_numIfES2_S2_S2_EEvbT_PT0_S5_jNS_24const_host_device_scalarIT4_EEPKS3_PKS4_PKT1_PKT2_S8_PT3_21rocsparse_index_base_b.kd
    .uniform_work_group_size: 1
    .uses_dynamic_stack: false
    .vgpr_count:     18
    .vgpr_spill_count: 0
    .wavefront_size: 64
  - .agpr_count:     0
    .args:
      - .offset:         0
        .size:           1
        .value_kind:     by_value
      - .offset:         8
        .size:           8
        .value_kind:     by_value
      - .actual_access:  read_only
        .address_space:  global
        .offset:         16
        .size:           8
        .value_kind:     global_buffer
      - .actual_access:  read_only
        .address_space:  global
        .offset:         24
        .size:           8
        .value_kind:     global_buffer
      - .offset:         32
        .size:           4
        .value_kind:     by_value
      - .offset:         40
        .size:           8
        .value_kind:     by_value
      - .actual_access:  read_only
        .address_space:  global
        .offset:         48
        .size:           8
        .value_kind:     global_buffer
      - .actual_access:  read_only
        .address_space:  global
        .offset:         56
        .size:           8
        .value_kind:     global_buffer
      - .actual_access:  read_only
        .address_space:  global
        .offset:         64
        .size:           8
        .value_kind:     global_buffer
      - .actual_access:  read_only
        .address_space:  global
        .offset:         72
        .size:           8
        .value_kind:     global_buffer
      - .offset:         80
        .size:           8
        .value_kind:     by_value
      - .address_space:  global
        .offset:         88
        .size:           8
        .value_kind:     global_buffer
      - .offset:         96
        .size:           4
        .value_kind:     by_value
      - .offset:         100
        .size:           1
        .value_kind:     by_value
    .group_segment_fixed_size: 8192
    .kernarg_segment_align: 8
    .kernarg_segment_size: 104
    .language:       OpenCL C
    .language_version:
      - 2
      - 0
    .max_flat_workgroup_size: 256
    .name:           _ZN9rocsparseL30csrmvn_lrb_short_rows_2_kernelIll21rocsparse_complex_numIfES2_S2_S2_EEvbT_PT0_S5_jNS_24const_host_device_scalarIT4_EEPKS3_PKS4_PKT1_PKT2_S8_PT3_21rocsparse_index_base_b
    .private_segment_fixed_size: 0
    .sgpr_count:     30
    .sgpr_spill_count: 0
    .symbol:         _ZN9rocsparseL30csrmvn_lrb_short_rows_2_kernelIll21rocsparse_complex_numIfES2_S2_S2_EEvbT_PT0_S5_jNS_24const_host_device_scalarIT4_EEPKS3_PKS4_PKT1_PKT2_S8_PT3_21rocsparse_index_base_b.kd
    .uniform_work_group_size: 1
    .uses_dynamic_stack: false
    .vgpr_count:     16
    .vgpr_spill_count: 0
    .wavefront_size: 64
  - .agpr_count:     0
    .args:
      - .offset:         0
        .size:           1
        .value_kind:     by_value
      - .offset:         8
        .size:           8
        .value_kind:     by_value
      - .offset:         16
        .size:           8
        .value_kind:     by_value
      - .actual_access:  read_only
        .address_space:  global
        .offset:         24
        .size:           8
        .value_kind:     global_buffer
      - .actual_access:  read_only
        .address_space:  global
        .offset:         32
        .size:           8
        .value_kind:     global_buffer
      - .offset:         40
        .size:           4
        .value_kind:     by_value
      - .offset:         48
        .size:           8
        .value_kind:     by_value
      - .actual_access:  read_only
        .address_space:  global
        .offset:         56
        .size:           8
        .value_kind:     global_buffer
      - .actual_access:  read_only
        .address_space:  global
        .offset:         64
        .size:           8
        .value_kind:     global_buffer
      - .actual_access:  read_only
        .address_space:  global
        .offset:         72
        .size:           8
        .value_kind:     global_buffer
      - .actual_access:  read_only
        .address_space:  global
        .offset:         80
        .size:           8
        .value_kind:     global_buffer
      - .offset:         88
        .size:           8
        .value_kind:     by_value
      - .address_space:  global
        .offset:         96
        .size:           8
        .value_kind:     global_buffer
      - .offset:         104
        .size:           4
        .value_kind:     by_value
      - .offset:         108
        .size:           1
        .value_kind:     by_value
    .group_segment_fixed_size: 0
    .kernarg_segment_align: 8
    .kernarg_segment_size: 112
    .language:       OpenCL C
    .language_version:
      - 2
      - 0
    .max_flat_workgroup_size: 256
    .name:           _ZN9rocsparseL41csrmvn_lrb_medium_rows_warp_reduce_kernelILj256ELj32Ell21rocsparse_complex_numIfES2_S2_S2_EEvbT1_lPT2_S5_jNS_24const_host_device_scalarIT6_EEPKS3_PKS4_PKT3_PKT4_S8_PT5_21rocsparse_index_base_b
    .private_segment_fixed_size: 0
    .sgpr_count:     20
    .sgpr_spill_count: 0
    .symbol:         _ZN9rocsparseL41csrmvn_lrb_medium_rows_warp_reduce_kernelILj256ELj32Ell21rocsparse_complex_numIfES2_S2_S2_EEvbT1_lPT2_S5_jNS_24const_host_device_scalarIT6_EEPKS3_PKS4_PKT3_PKT4_S8_PT5_21rocsparse_index_base_b.kd
    .uniform_work_group_size: 1
    .uses_dynamic_stack: false
    .vgpr_count:     28
    .vgpr_spill_count: 0
    .wavefront_size: 64
  - .agpr_count:     0
    .args:
      - .offset:         0
        .size:           1
        .value_kind:     by_value
      - .offset:         8
        .size:           8
        .value_kind:     by_value
      - .offset:         16
        .size:           8
        .value_kind:     by_value
      - .actual_access:  read_only
        .address_space:  global
        .offset:         24
        .size:           8
        .value_kind:     global_buffer
      - .actual_access:  read_only
        .address_space:  global
        .offset:         32
        .size:           8
        .value_kind:     global_buffer
      - .offset:         40
        .size:           4
        .value_kind:     by_value
      - .offset:         48
        .size:           8
        .value_kind:     by_value
      - .actual_access:  read_only
        .address_space:  global
        .offset:         56
        .size:           8
        .value_kind:     global_buffer
      - .actual_access:  read_only
        .address_space:  global
        .offset:         64
        .size:           8
        .value_kind:     global_buffer
      - .actual_access:  read_only
        .address_space:  global
        .offset:         72
        .size:           8
        .value_kind:     global_buffer
      - .actual_access:  read_only
        .address_space:  global
        .offset:         80
        .size:           8
        .value_kind:     global_buffer
      - .offset:         88
        .size:           8
        .value_kind:     by_value
      - .address_space:  global
        .offset:         96
        .size:           8
        .value_kind:     global_buffer
      - .offset:         104
        .size:           4
        .value_kind:     by_value
      - .offset:         108
        .size:           1
        .value_kind:     by_value
    .group_segment_fixed_size: 0
    .kernarg_segment_align: 8
    .kernarg_segment_size: 112
    .language:       OpenCL C
    .language_version:
      - 2
      - 0
    .max_flat_workgroup_size: 256
    .name:           _ZN9rocsparseL41csrmvn_lrb_medium_rows_warp_reduce_kernelILj256ELj64Ell21rocsparse_complex_numIfES2_S2_S2_EEvbT1_lPT2_S5_jNS_24const_host_device_scalarIT6_EEPKS3_PKS4_PKT3_PKT4_S8_PT5_21rocsparse_index_base_b
    .private_segment_fixed_size: 0
    .sgpr_count:     20
    .sgpr_spill_count: 0
    .symbol:         _ZN9rocsparseL41csrmvn_lrb_medium_rows_warp_reduce_kernelILj256ELj64Ell21rocsparse_complex_numIfES2_S2_S2_EEvbT1_lPT2_S5_jNS_24const_host_device_scalarIT6_EEPKS3_PKS4_PKT3_PKT4_S8_PT5_21rocsparse_index_base_b.kd
    .uniform_work_group_size: 1
    .uses_dynamic_stack: false
    .vgpr_count:     28
    .vgpr_spill_count: 0
    .wavefront_size: 64
  - .agpr_count:     0
    .args:
      - .offset:         0
        .size:           1
        .value_kind:     by_value
      - .offset:         8
        .size:           8
        .value_kind:     by_value
      - .actual_access:  read_only
        .address_space:  global
        .offset:         16
        .size:           8
        .value_kind:     global_buffer
      - .actual_access:  read_only
        .address_space:  global
        .offset:         24
        .size:           8
        .value_kind:     global_buffer
      - .offset:         32
        .size:           4
        .value_kind:     by_value
      - .offset:         40
        .size:           8
        .value_kind:     by_value
      - .actual_access:  read_only
        .address_space:  global
        .offset:         48
        .size:           8
        .value_kind:     global_buffer
      - .actual_access:  read_only
        .address_space:  global
        .offset:         56
        .size:           8
        .value_kind:     global_buffer
      - .actual_access:  read_only
        .address_space:  global
        .offset:         64
        .size:           8
        .value_kind:     global_buffer
      - .actual_access:  read_only
        .address_space:  global
        .offset:         72
        .size:           8
        .value_kind:     global_buffer
      - .offset:         80
        .size:           8
        .value_kind:     by_value
      - .address_space:  global
        .offset:         88
        .size:           8
        .value_kind:     global_buffer
      - .offset:         96
        .size:           4
        .value_kind:     by_value
      - .offset:         100
        .size:           1
        .value_kind:     by_value
    .group_segment_fixed_size: 2048
    .kernarg_segment_align: 8
    .kernarg_segment_size: 104
    .language:       OpenCL C
    .language_version:
      - 2
      - 0
    .max_flat_workgroup_size: 256
    .name:           _ZN9rocsparseL29csrmvn_lrb_medium_rows_kernelILj256Ell21rocsparse_complex_numIfES2_S2_S2_EEvbT0_PT1_S5_jNS_24const_host_device_scalarIT5_EEPKS3_PKS4_PKT2_PKT3_S8_PT4_21rocsparse_index_base_b
    .private_segment_fixed_size: 0
    .sgpr_count:     24
    .sgpr_spill_count: 0
    .symbol:         _ZN9rocsparseL29csrmvn_lrb_medium_rows_kernelILj256Ell21rocsparse_complex_numIfES2_S2_S2_EEvbT0_PT1_S5_jNS_24const_host_device_scalarIT5_EEPKS3_PKS4_PKT2_PKT3_S8_PT4_21rocsparse_index_base_b.kd
    .uniform_work_group_size: 1
    .uses_dynamic_stack: false
    .vgpr_count:     24
    .vgpr_spill_count: 0
    .wavefront_size: 64
  - .agpr_count:     0
    .args:
      - .offset:         0
        .size:           1
        .value_kind:     by_value
      - .offset:         8
        .size:           8
        .value_kind:     by_value
      - .address_space:  global
        .offset:         16
        .size:           8
        .value_kind:     global_buffer
      - .actual_access:  read_only
        .address_space:  global
        .offset:         24
        .size:           8
        .value_kind:     global_buffer
      - .actual_access:  read_only
        .address_space:  global
        .offset:         32
        .size:           8
        .value_kind:     global_buffer
      - .offset:         40
        .size:           4
        .value_kind:     by_value
      - .offset:         48
        .size:           8
        .value_kind:     by_value
      - .actual_access:  read_only
        .address_space:  global
        .offset:         56
        .size:           8
        .value_kind:     global_buffer
      - .actual_access:  read_only
        .address_space:  global
        .offset:         64
        .size:           8
        .value_kind:     global_buffer
      - .actual_access:  read_only
        .address_space:  global
        .offset:         72
        .size:           8
        .value_kind:     global_buffer
      - .actual_access:  read_only
        .address_space:  global
        .offset:         80
        .size:           8
        .value_kind:     global_buffer
      - .offset:         88
        .size:           8
        .value_kind:     by_value
      - .address_space:  global
        .offset:         96
        .size:           8
        .value_kind:     global_buffer
      - .offset:         104
        .size:           4
        .value_kind:     by_value
      - .offset:         108
        .size:           1
        .value_kind:     by_value
    .group_segment_fixed_size: 2048
    .kernarg_segment_align: 8
    .kernarg_segment_size: 112
    .language:       OpenCL C
    .language_version:
      - 2
      - 0
    .max_flat_workgroup_size: 256
    .name:           _ZN9rocsparseL27csrmvn_lrb_long_rows_kernelIll21rocsparse_complex_numIfES2_S2_S2_EEvbT_PjPT0_S6_jNS_24const_host_device_scalarIT4_EEPKS3_PKS5_PKT1_PKT2_S9_PT3_21rocsparse_index_base_b
    .private_segment_fixed_size: 0
    .sgpr_count:     36
    .sgpr_spill_count: 0
    .symbol:         _ZN9rocsparseL27csrmvn_lrb_long_rows_kernelIll21rocsparse_complex_numIfES2_S2_S2_EEvbT_PjPT0_S6_jNS_24const_host_device_scalarIT4_EEPKS3_PKS5_PKT1_PKT2_S9_PT3_21rocsparse_index_base_b.kd
    .uniform_work_group_size: 1
    .uses_dynamic_stack: false
    .vgpr_count:     22
    .vgpr_spill_count: 0
    .wavefront_size: 64
  - .agpr_count:     0
    .args:
      - .offset:         0
        .size:           1
        .value_kind:     by_value
      - .offset:         4
        .size:           4
        .value_kind:     by_value
      - .actual_access:  read_only
        .address_space:  global
        .offset:         8
        .size:           8
        .value_kind:     global_buffer
      - .actual_access:  read_only
        .address_space:  global
        .offset:         16
        .size:           8
        .value_kind:     global_buffer
      - .offset:         24
        .size:           4
        .value_kind:     by_value
      - .offset:         32
        .size:           16
        .value_kind:     by_value
      - .actual_access:  read_only
        .address_space:  global
        .offset:         48
        .size:           8
        .value_kind:     global_buffer
      - .actual_access:  read_only
        .address_space:  global
        .offset:         56
        .size:           8
        .value_kind:     global_buffer
      - .actual_access:  read_only
        .address_space:  global
        .offset:         64
        .size:           8
        .value_kind:     global_buffer
      - .actual_access:  read_only
        .address_space:  global
        .offset:         72
        .size:           8
        .value_kind:     global_buffer
      - .offset:         80
        .size:           16
        .value_kind:     by_value
      - .address_space:  global
        .offset:         96
        .size:           8
        .value_kind:     global_buffer
      - .offset:         104
        .size:           4
        .value_kind:     by_value
      - .offset:         108
        .size:           1
        .value_kind:     by_value
    .group_segment_fixed_size: 0
    .kernarg_segment_align: 8
    .kernarg_segment_size: 112
    .language:       OpenCL C
    .language_version:
      - 2
      - 0
    .max_flat_workgroup_size: 256
    .name:           _ZN9rocsparseL28csrmvn_lrb_short_rows_kernelIii21rocsparse_complex_numIdES2_S2_S2_EEvbT_PT0_S5_jNS_24const_host_device_scalarIT4_EEPKS3_PKS4_PKT1_PKT2_S8_PT3_21rocsparse_index_base_b
    .private_segment_fixed_size: 24
    .sgpr_count:     35
    .sgpr_spill_count: 0
    .symbol:         _ZN9rocsparseL28csrmvn_lrb_short_rows_kernelIii21rocsparse_complex_numIdES2_S2_S2_EEvbT_PT0_S5_jNS_24const_host_device_scalarIT4_EEPKS3_PKS4_PKT1_PKT2_S8_PT3_21rocsparse_index_base_b.kd
    .uniform_work_group_size: 1
    .uses_dynamic_stack: false
    .vgpr_count:     26
    .vgpr_spill_count: 0
    .wavefront_size: 64
  - .agpr_count:     0
    .args:
      - .offset:         0
        .size:           1
        .value_kind:     by_value
      - .offset:         4
        .size:           4
        .value_kind:     by_value
      - .actual_access:  read_only
        .address_space:  global
        .offset:         8
        .size:           8
        .value_kind:     global_buffer
      - .actual_access:  read_only
        .address_space:  global
        .offset:         16
        .size:           8
        .value_kind:     global_buffer
      - .offset:         24
        .size:           4
        .value_kind:     by_value
      - .offset:         32
        .size:           16
        .value_kind:     by_value
      - .actual_access:  read_only
        .address_space:  global
        .offset:         48
        .size:           8
        .value_kind:     global_buffer
      - .actual_access:  read_only
        .address_space:  global
        .offset:         56
        .size:           8
        .value_kind:     global_buffer
      - .actual_access:  read_only
        .address_space:  global
        .offset:         64
        .size:           8
        .value_kind:     global_buffer
      - .actual_access:  read_only
        .address_space:  global
        .offset:         72
        .size:           8
        .value_kind:     global_buffer
      - .offset:         80
        .size:           16
        .value_kind:     by_value
      - .address_space:  global
        .offset:         96
        .size:           8
        .value_kind:     global_buffer
      - .offset:         104
        .size:           4
        .value_kind:     by_value
      - .offset:         108
        .size:           1
        .value_kind:     by_value
    .group_segment_fixed_size: 16384
    .kernarg_segment_align: 8
    .kernarg_segment_size: 112
    .language:       OpenCL C
    .language_version:
      - 2
      - 0
    .max_flat_workgroup_size: 256
    .name:           _ZN9rocsparseL30csrmvn_lrb_short_rows_2_kernelIii21rocsparse_complex_numIdES2_S2_S2_EEvbT_PT0_S5_jNS_24const_host_device_scalarIT4_EEPKS3_PKS4_PKT1_PKT2_S8_PT3_21rocsparse_index_base_b
    .private_segment_fixed_size: 24
    .sgpr_count:     34
    .sgpr_spill_count: 0
    .symbol:         _ZN9rocsparseL30csrmvn_lrb_short_rows_2_kernelIii21rocsparse_complex_numIdES2_S2_S2_EEvbT_PT0_S5_jNS_24const_host_device_scalarIT4_EEPKS3_PKS4_PKT1_PKT2_S8_PT3_21rocsparse_index_base_b.kd
    .uniform_work_group_size: 1
    .uses_dynamic_stack: false
    .vgpr_count:     24
    .vgpr_spill_count: 0
    .wavefront_size: 64
  - .agpr_count:     0
    .args:
      - .offset:         0
        .size:           1
        .value_kind:     by_value
      - .offset:         4
        .size:           4
        .value_kind:     by_value
      - .offset:         8
        .size:           8
        .value_kind:     by_value
      - .actual_access:  read_only
        .address_space:  global
        .offset:         16
        .size:           8
        .value_kind:     global_buffer
      - .actual_access:  read_only
        .address_space:  global
        .offset:         24
        .size:           8
        .value_kind:     global_buffer
      - .offset:         32
        .size:           4
        .value_kind:     by_value
      - .offset:         40
        .size:           16
        .value_kind:     by_value
      - .actual_access:  read_only
        .address_space:  global
        .offset:         56
        .size:           8
        .value_kind:     global_buffer
      - .actual_access:  read_only
        .address_space:  global
        .offset:         64
        .size:           8
        .value_kind:     global_buffer
      - .actual_access:  read_only
        .address_space:  global
        .offset:         72
        .size:           8
        .value_kind:     global_buffer
      - .actual_access:  read_only
        .address_space:  global
        .offset:         80
        .size:           8
        .value_kind:     global_buffer
      - .offset:         88
        .size:           16
        .value_kind:     by_value
      - .address_space:  global
        .offset:         104
        .size:           8
        .value_kind:     global_buffer
      - .offset:         112
        .size:           4
        .value_kind:     by_value
      - .offset:         116
        .size:           1
        .value_kind:     by_value
    .group_segment_fixed_size: 4096
    .kernarg_segment_align: 8
    .kernarg_segment_size: 120
    .language:       OpenCL C
    .language_version:
      - 2
      - 0
    .max_flat_workgroup_size: 256
    .name:           _ZN9rocsparseL41csrmvn_lrb_medium_rows_warp_reduce_kernelILj256ELj32Eii21rocsparse_complex_numIdES2_S2_S2_EEvbT1_lPT2_S5_jNS_24const_host_device_scalarIT6_EEPKS3_PKS4_PKT3_PKT4_S8_PT5_21rocsparse_index_base_b
    .private_segment_fixed_size: 0
    .sgpr_count:     26
    .sgpr_spill_count: 0
    .symbol:         _ZN9rocsparseL41csrmvn_lrb_medium_rows_warp_reduce_kernelILj256ELj32Eii21rocsparse_complex_numIdES2_S2_S2_EEvbT1_lPT2_S5_jNS_24const_host_device_scalarIT6_EEPKS3_PKS4_PKT3_PKT4_S8_PT5_21rocsparse_index_base_b.kd
    .uniform_work_group_size: 1
    .uses_dynamic_stack: false
    .vgpr_count:     32
    .vgpr_spill_count: 0
    .wavefront_size: 64
  - .agpr_count:     0
    .args:
      - .offset:         0
        .size:           1
        .value_kind:     by_value
      - .offset:         4
        .size:           4
        .value_kind:     by_value
      - .offset:         8
        .size:           8
        .value_kind:     by_value
      - .actual_access:  read_only
        .address_space:  global
        .offset:         16
        .size:           8
        .value_kind:     global_buffer
      - .actual_access:  read_only
        .address_space:  global
        .offset:         24
        .size:           8
        .value_kind:     global_buffer
      - .offset:         32
        .size:           4
        .value_kind:     by_value
      - .offset:         40
        .size:           16
        .value_kind:     by_value
      - .actual_access:  read_only
        .address_space:  global
        .offset:         56
        .size:           8
        .value_kind:     global_buffer
      - .actual_access:  read_only
        .address_space:  global
        .offset:         64
        .size:           8
        .value_kind:     global_buffer
      - .actual_access:  read_only
        .address_space:  global
        .offset:         72
        .size:           8
        .value_kind:     global_buffer
      - .actual_access:  read_only
        .address_space:  global
        .offset:         80
        .size:           8
        .value_kind:     global_buffer
      - .offset:         88
        .size:           16
        .value_kind:     by_value
      - .address_space:  global
        .offset:         104
        .size:           8
        .value_kind:     global_buffer
      - .offset:         112
        .size:           4
        .value_kind:     by_value
      - .offset:         116
        .size:           1
        .value_kind:     by_value
    .group_segment_fixed_size: 4096
    .kernarg_segment_align: 8
    .kernarg_segment_size: 120
    .language:       OpenCL C
    .language_version:
      - 2
      - 0
    .max_flat_workgroup_size: 256
    .name:           _ZN9rocsparseL41csrmvn_lrb_medium_rows_warp_reduce_kernelILj256ELj64Eii21rocsparse_complex_numIdES2_S2_S2_EEvbT1_lPT2_S5_jNS_24const_host_device_scalarIT6_EEPKS3_PKS4_PKT3_PKT4_S8_PT5_21rocsparse_index_base_b
    .private_segment_fixed_size: 0
    .sgpr_count:     26
    .sgpr_spill_count: 0
    .symbol:         _ZN9rocsparseL41csrmvn_lrb_medium_rows_warp_reduce_kernelILj256ELj64Eii21rocsparse_complex_numIdES2_S2_S2_EEvbT1_lPT2_S5_jNS_24const_host_device_scalarIT6_EEPKS3_PKS4_PKT3_PKT4_S8_PT5_21rocsparse_index_base_b.kd
    .uniform_work_group_size: 1
    .uses_dynamic_stack: false
    .vgpr_count:     32
    .vgpr_spill_count: 0
    .wavefront_size: 64
  - .agpr_count:     0
    .args:
      - .offset:         0
        .size:           1
        .value_kind:     by_value
      - .offset:         4
        .size:           4
        .value_kind:     by_value
      - .actual_access:  read_only
        .address_space:  global
        .offset:         8
        .size:           8
        .value_kind:     global_buffer
      - .actual_access:  read_only
        .address_space:  global
        .offset:         16
        .size:           8
        .value_kind:     global_buffer
      - .offset:         24
        .size:           4
        .value_kind:     by_value
      - .offset:         32
        .size:           16
        .value_kind:     by_value
      - .actual_access:  read_only
        .address_space:  global
        .offset:         48
        .size:           8
        .value_kind:     global_buffer
      - .actual_access:  read_only
        .address_space:  global
        .offset:         56
        .size:           8
        .value_kind:     global_buffer
      - .actual_access:  read_only
        .address_space:  global
        .offset:         64
        .size:           8
        .value_kind:     global_buffer
      - .actual_access:  read_only
        .address_space:  global
        .offset:         72
        .size:           8
        .value_kind:     global_buffer
      - .offset:         80
        .size:           16
        .value_kind:     by_value
      - .address_space:  global
        .offset:         96
        .size:           8
        .value_kind:     global_buffer
      - .offset:         104
        .size:           4
        .value_kind:     by_value
      - .offset:         108
        .size:           1
        .value_kind:     by_value
    .group_segment_fixed_size: 8192
    .kernarg_segment_align: 8
    .kernarg_segment_size: 112
    .language:       OpenCL C
    .language_version:
      - 2
      - 0
    .max_flat_workgroup_size: 256
    .name:           _ZN9rocsparseL29csrmvn_lrb_medium_rows_kernelILj256Eii21rocsparse_complex_numIdES2_S2_S2_EEvbT0_PT1_S5_jNS_24const_host_device_scalarIT5_EEPKS3_PKS4_PKT2_PKT3_S8_PT4_21rocsparse_index_base_b
    .private_segment_fixed_size: 0
    .sgpr_count:     26
    .sgpr_spill_count: 0
    .symbol:         _ZN9rocsparseL29csrmvn_lrb_medium_rows_kernelILj256Eii21rocsparse_complex_numIdES2_S2_S2_EEvbT0_PT1_S5_jNS_24const_host_device_scalarIT5_EEPKS3_PKS4_PKT2_PKT3_S8_PT4_21rocsparse_index_base_b.kd
    .uniform_work_group_size: 1
    .uses_dynamic_stack: false
    .vgpr_count:     28
    .vgpr_spill_count: 0
    .wavefront_size: 64
  - .agpr_count:     0
    .args:
      - .offset:         0
        .size:           1
        .value_kind:     by_value
      - .offset:         4
        .size:           4
        .value_kind:     by_value
      - .address_space:  global
        .offset:         8
        .size:           8
        .value_kind:     global_buffer
      - .actual_access:  read_only
        .address_space:  global
        .offset:         16
        .size:           8
        .value_kind:     global_buffer
      - .actual_access:  read_only
        .address_space:  global
        .offset:         24
        .size:           8
        .value_kind:     global_buffer
      - .offset:         32
        .size:           4
        .value_kind:     by_value
      - .offset:         40
        .size:           16
        .value_kind:     by_value
      - .actual_access:  read_only
        .address_space:  global
        .offset:         56
        .size:           8
        .value_kind:     global_buffer
      - .actual_access:  read_only
        .address_space:  global
        .offset:         64
        .size:           8
        .value_kind:     global_buffer
      - .actual_access:  read_only
        .address_space:  global
        .offset:         72
        .size:           8
        .value_kind:     global_buffer
      - .actual_access:  read_only
        .address_space:  global
        .offset:         80
        .size:           8
        .value_kind:     global_buffer
      - .offset:         88
        .size:           16
        .value_kind:     by_value
      - .address_space:  global
        .offset:         104
        .size:           8
        .value_kind:     global_buffer
      - .offset:         112
        .size:           4
        .value_kind:     by_value
      - .offset:         116
        .size:           1
        .value_kind:     by_value
    .group_segment_fixed_size: 8192
    .kernarg_segment_align: 8
    .kernarg_segment_size: 120
    .language:       OpenCL C
    .language_version:
      - 2
      - 0
    .max_flat_workgroup_size: 256
    .name:           _ZN9rocsparseL27csrmvn_lrb_long_rows_kernelIii21rocsparse_complex_numIdES2_S2_S2_EEvbT_PjPT0_S6_jNS_24const_host_device_scalarIT4_EEPKS3_PKS5_PKT1_PKT2_S9_PT3_21rocsparse_index_base_b
    .private_segment_fixed_size: 0
    .sgpr_count:     32
    .sgpr_spill_count: 0
    .symbol:         _ZN9rocsparseL27csrmvn_lrb_long_rows_kernelIii21rocsparse_complex_numIdES2_S2_S2_EEvbT_PjPT0_S6_jNS_24const_host_device_scalarIT4_EEPKS3_PKS5_PKT1_PKT2_S9_PT3_21rocsparse_index_base_b.kd
    .uniform_work_group_size: 1
    .uses_dynamic_stack: false
    .vgpr_count:     24
    .vgpr_spill_count: 0
    .wavefront_size: 64
  - .agpr_count:     0
    .args:
      - .offset:         0
        .size:           1
        .value_kind:     by_value
      - .offset:         8
        .size:           8
        .value_kind:     by_value
      - .actual_access:  read_only
        .address_space:  global
        .offset:         16
        .size:           8
        .value_kind:     global_buffer
      - .actual_access:  read_only
        .address_space:  global
        .offset:         24
        .size:           8
        .value_kind:     global_buffer
      - .offset:         32
        .size:           4
        .value_kind:     by_value
      - .offset:         40
        .size:           16
        .value_kind:     by_value
      - .actual_access:  read_only
        .address_space:  global
        .offset:         56
        .size:           8
        .value_kind:     global_buffer
      - .actual_access:  read_only
        .address_space:  global
        .offset:         64
        .size:           8
        .value_kind:     global_buffer
      - .actual_access:  read_only
        .address_space:  global
        .offset:         72
        .size:           8
        .value_kind:     global_buffer
      - .actual_access:  read_only
        .address_space:  global
        .offset:         80
        .size:           8
        .value_kind:     global_buffer
      - .offset:         88
        .size:           16
        .value_kind:     by_value
      - .address_space:  global
        .offset:         104
        .size:           8
        .value_kind:     global_buffer
      - .offset:         112
        .size:           4
        .value_kind:     by_value
      - .offset:         116
        .size:           1
        .value_kind:     by_value
    .group_segment_fixed_size: 0
    .kernarg_segment_align: 8
    .kernarg_segment_size: 120
    .language:       OpenCL C
    .language_version:
      - 2
      - 0
    .max_flat_workgroup_size: 256
    .name:           _ZN9rocsparseL28csrmvn_lrb_short_rows_kernelIli21rocsparse_complex_numIdES2_S2_S2_EEvbT_PT0_S5_jNS_24const_host_device_scalarIT4_EEPKS3_PKS4_PKT1_PKT2_S8_PT3_21rocsparse_index_base_b
    .private_segment_fixed_size: 24
    .sgpr_count:     36
    .sgpr_spill_count: 0
    .symbol:         _ZN9rocsparseL28csrmvn_lrb_short_rows_kernelIli21rocsparse_complex_numIdES2_S2_S2_EEvbT_PT0_S5_jNS_24const_host_device_scalarIT4_EEPKS3_PKS4_PKT1_PKT2_S8_PT3_21rocsparse_index_base_b.kd
    .uniform_work_group_size: 1
    .uses_dynamic_stack: false
    .vgpr_count:     28
    .vgpr_spill_count: 0
    .wavefront_size: 64
  - .agpr_count:     0
    .args:
      - .offset:         0
        .size:           1
        .value_kind:     by_value
      - .offset:         8
        .size:           8
        .value_kind:     by_value
      - .actual_access:  read_only
        .address_space:  global
        .offset:         16
        .size:           8
        .value_kind:     global_buffer
      - .actual_access:  read_only
        .address_space:  global
        .offset:         24
        .size:           8
        .value_kind:     global_buffer
      - .offset:         32
        .size:           4
        .value_kind:     by_value
      - .offset:         40
        .size:           16
        .value_kind:     by_value
      - .actual_access:  read_only
        .address_space:  global
        .offset:         56
        .size:           8
        .value_kind:     global_buffer
      - .actual_access:  read_only
        .address_space:  global
        .offset:         64
        .size:           8
        .value_kind:     global_buffer
      - .actual_access:  read_only
        .address_space:  global
        .offset:         72
        .size:           8
        .value_kind:     global_buffer
      - .actual_access:  read_only
        .address_space:  global
        .offset:         80
        .size:           8
        .value_kind:     global_buffer
      - .offset:         88
        .size:           16
        .value_kind:     by_value
      - .address_space:  global
        .offset:         104
        .size:           8
        .value_kind:     global_buffer
      - .offset:         112
        .size:           4
        .value_kind:     by_value
      - .offset:         116
        .size:           1
        .value_kind:     by_value
    .group_segment_fixed_size: 16384
    .kernarg_segment_align: 8
    .kernarg_segment_size: 120
    .language:       OpenCL C
    .language_version:
      - 2
      - 0
    .max_flat_workgroup_size: 256
    .name:           _ZN9rocsparseL30csrmvn_lrb_short_rows_2_kernelIli21rocsparse_complex_numIdES2_S2_S2_EEvbT_PT0_S5_jNS_24const_host_device_scalarIT4_EEPKS3_PKS4_PKT1_PKT2_S8_PT3_21rocsparse_index_base_b
    .private_segment_fixed_size: 24
    .sgpr_count:     34
    .sgpr_spill_count: 0
    .symbol:         _ZN9rocsparseL30csrmvn_lrb_short_rows_2_kernelIli21rocsparse_complex_numIdES2_S2_S2_EEvbT_PT0_S5_jNS_24const_host_device_scalarIT4_EEPKS3_PKS4_PKT1_PKT2_S8_PT3_21rocsparse_index_base_b.kd
    .uniform_work_group_size: 1
    .uses_dynamic_stack: false
    .vgpr_count:     24
    .vgpr_spill_count: 0
    .wavefront_size: 64
  - .agpr_count:     0
    .args:
      - .offset:         0
        .size:           1
        .value_kind:     by_value
      - .offset:         8
        .size:           8
        .value_kind:     by_value
      - .offset:         16
        .size:           8
        .value_kind:     by_value
      - .actual_access:  read_only
        .address_space:  global
        .offset:         24
        .size:           8
        .value_kind:     global_buffer
      - .actual_access:  read_only
        .address_space:  global
        .offset:         32
        .size:           8
        .value_kind:     global_buffer
      - .offset:         40
        .size:           4
        .value_kind:     by_value
      - .offset:         48
        .size:           16
        .value_kind:     by_value
      - .actual_access:  read_only
        .address_space:  global
        .offset:         64
        .size:           8
        .value_kind:     global_buffer
      - .actual_access:  read_only
        .address_space:  global
        .offset:         72
        .size:           8
        .value_kind:     global_buffer
      - .actual_access:  read_only
        .address_space:  global
        .offset:         80
        .size:           8
        .value_kind:     global_buffer
      - .actual_access:  read_only
        .address_space:  global
        .offset:         88
        .size:           8
        .value_kind:     global_buffer
      - .offset:         96
        .size:           16
        .value_kind:     by_value
      - .address_space:  global
        .offset:         112
        .size:           8
        .value_kind:     global_buffer
      - .offset:         120
        .size:           4
        .value_kind:     by_value
      - .offset:         124
        .size:           1
        .value_kind:     by_value
    .group_segment_fixed_size: 4096
    .kernarg_segment_align: 8
    .kernarg_segment_size: 128
    .language:       OpenCL C
    .language_version:
      - 2
      - 0
    .max_flat_workgroup_size: 256
    .name:           _ZN9rocsparseL41csrmvn_lrb_medium_rows_warp_reduce_kernelILj256ELj32Eli21rocsparse_complex_numIdES2_S2_S2_EEvbT1_lPT2_S5_jNS_24const_host_device_scalarIT6_EEPKS3_PKS4_PKT3_PKT4_S8_PT5_21rocsparse_index_base_b
    .private_segment_fixed_size: 0
    .sgpr_count:     26
    .sgpr_spill_count: 0
    .symbol:         _ZN9rocsparseL41csrmvn_lrb_medium_rows_warp_reduce_kernelILj256ELj32Eli21rocsparse_complex_numIdES2_S2_S2_EEvbT1_lPT2_S5_jNS_24const_host_device_scalarIT6_EEPKS3_PKS4_PKT3_PKT4_S8_PT5_21rocsparse_index_base_b.kd
    .uniform_work_group_size: 1
    .uses_dynamic_stack: false
    .vgpr_count:     34
    .vgpr_spill_count: 0
    .wavefront_size: 64
  - .agpr_count:     0
    .args:
      - .offset:         0
        .size:           1
        .value_kind:     by_value
      - .offset:         8
        .size:           8
        .value_kind:     by_value
      - .offset:         16
        .size:           8
        .value_kind:     by_value
      - .actual_access:  read_only
        .address_space:  global
        .offset:         24
        .size:           8
        .value_kind:     global_buffer
      - .actual_access:  read_only
        .address_space:  global
        .offset:         32
        .size:           8
        .value_kind:     global_buffer
      - .offset:         40
        .size:           4
        .value_kind:     by_value
      - .offset:         48
        .size:           16
        .value_kind:     by_value
      - .actual_access:  read_only
        .address_space:  global
        .offset:         64
        .size:           8
        .value_kind:     global_buffer
      - .actual_access:  read_only
        .address_space:  global
        .offset:         72
        .size:           8
        .value_kind:     global_buffer
      - .actual_access:  read_only
        .address_space:  global
        .offset:         80
        .size:           8
        .value_kind:     global_buffer
      - .actual_access:  read_only
        .address_space:  global
        .offset:         88
        .size:           8
        .value_kind:     global_buffer
      - .offset:         96
        .size:           16
        .value_kind:     by_value
      - .address_space:  global
        .offset:         112
        .size:           8
        .value_kind:     global_buffer
      - .offset:         120
        .size:           4
        .value_kind:     by_value
      - .offset:         124
        .size:           1
        .value_kind:     by_value
    .group_segment_fixed_size: 4096
    .kernarg_segment_align: 8
    .kernarg_segment_size: 128
    .language:       OpenCL C
    .language_version:
      - 2
      - 0
    .max_flat_workgroup_size: 256
    .name:           _ZN9rocsparseL41csrmvn_lrb_medium_rows_warp_reduce_kernelILj256ELj64Eli21rocsparse_complex_numIdES2_S2_S2_EEvbT1_lPT2_S5_jNS_24const_host_device_scalarIT6_EEPKS3_PKS4_PKT3_PKT4_S8_PT5_21rocsparse_index_base_b
    .private_segment_fixed_size: 0
    .sgpr_count:     26
    .sgpr_spill_count: 0
    .symbol:         _ZN9rocsparseL41csrmvn_lrb_medium_rows_warp_reduce_kernelILj256ELj64Eli21rocsparse_complex_numIdES2_S2_S2_EEvbT1_lPT2_S5_jNS_24const_host_device_scalarIT6_EEPKS3_PKS4_PKT3_PKT4_S8_PT5_21rocsparse_index_base_b.kd
    .uniform_work_group_size: 1
    .uses_dynamic_stack: false
    .vgpr_count:     34
    .vgpr_spill_count: 0
    .wavefront_size: 64
  - .agpr_count:     0
    .args:
      - .offset:         0
        .size:           1
        .value_kind:     by_value
      - .offset:         8
        .size:           8
        .value_kind:     by_value
      - .actual_access:  read_only
        .address_space:  global
        .offset:         16
        .size:           8
        .value_kind:     global_buffer
      - .actual_access:  read_only
        .address_space:  global
        .offset:         24
        .size:           8
        .value_kind:     global_buffer
      - .offset:         32
        .size:           4
        .value_kind:     by_value
      - .offset:         40
        .size:           16
        .value_kind:     by_value
      - .actual_access:  read_only
        .address_space:  global
        .offset:         56
        .size:           8
        .value_kind:     global_buffer
      - .actual_access:  read_only
        .address_space:  global
        .offset:         64
        .size:           8
        .value_kind:     global_buffer
      - .actual_access:  read_only
        .address_space:  global
        .offset:         72
        .size:           8
        .value_kind:     global_buffer
      - .actual_access:  read_only
        .address_space:  global
        .offset:         80
        .size:           8
        .value_kind:     global_buffer
      - .offset:         88
        .size:           16
        .value_kind:     by_value
      - .address_space:  global
        .offset:         104
        .size:           8
        .value_kind:     global_buffer
      - .offset:         112
        .size:           4
        .value_kind:     by_value
      - .offset:         116
        .size:           1
        .value_kind:     by_value
    .group_segment_fixed_size: 8192
    .kernarg_segment_align: 8
    .kernarg_segment_size: 120
    .language:       OpenCL C
    .language_version:
      - 2
      - 0
    .max_flat_workgroup_size: 256
    .name:           _ZN9rocsparseL29csrmvn_lrb_medium_rows_kernelILj256Eli21rocsparse_complex_numIdES2_S2_S2_EEvbT0_PT1_S5_jNS_24const_host_device_scalarIT5_EEPKS3_PKS4_PKT2_PKT3_S8_PT4_21rocsparse_index_base_b
    .private_segment_fixed_size: 0
    .sgpr_count:     28
    .sgpr_spill_count: 0
    .symbol:         _ZN9rocsparseL29csrmvn_lrb_medium_rows_kernelILj256Eli21rocsparse_complex_numIdES2_S2_S2_EEvbT0_PT1_S5_jNS_24const_host_device_scalarIT5_EEPKS3_PKS4_PKT2_PKT3_S8_PT4_21rocsparse_index_base_b.kd
    .uniform_work_group_size: 1
    .uses_dynamic_stack: false
    .vgpr_count:     30
    .vgpr_spill_count: 0
    .wavefront_size: 64
  - .agpr_count:     0
    .args:
      - .offset:         0
        .size:           1
        .value_kind:     by_value
      - .offset:         8
        .size:           8
        .value_kind:     by_value
      - .address_space:  global
        .offset:         16
        .size:           8
        .value_kind:     global_buffer
      - .actual_access:  read_only
        .address_space:  global
        .offset:         24
        .size:           8
        .value_kind:     global_buffer
      - .actual_access:  read_only
        .address_space:  global
        .offset:         32
        .size:           8
        .value_kind:     global_buffer
      - .offset:         40
        .size:           4
        .value_kind:     by_value
      - .offset:         48
        .size:           16
        .value_kind:     by_value
      - .actual_access:  read_only
        .address_space:  global
        .offset:         64
        .size:           8
        .value_kind:     global_buffer
      - .actual_access:  read_only
        .address_space:  global
        .offset:         72
        .size:           8
        .value_kind:     global_buffer
      - .actual_access:  read_only
        .address_space:  global
        .offset:         80
        .size:           8
        .value_kind:     global_buffer
      - .actual_access:  read_only
        .address_space:  global
        .offset:         88
        .size:           8
        .value_kind:     global_buffer
      - .offset:         96
        .size:           16
        .value_kind:     by_value
      - .address_space:  global
        .offset:         112
        .size:           8
        .value_kind:     global_buffer
      - .offset:         120
        .size:           4
        .value_kind:     by_value
      - .offset:         124
        .size:           1
        .value_kind:     by_value
    .group_segment_fixed_size: 8192
    .kernarg_segment_align: 8
    .kernarg_segment_size: 128
    .language:       OpenCL C
    .language_version:
      - 2
      - 0
    .max_flat_workgroup_size: 256
    .name:           _ZN9rocsparseL27csrmvn_lrb_long_rows_kernelIli21rocsparse_complex_numIdES2_S2_S2_EEvbT_PjPT0_S6_jNS_24const_host_device_scalarIT4_EEPKS3_PKS5_PKT1_PKT2_S9_PT3_21rocsparse_index_base_b
    .private_segment_fixed_size: 0
    .sgpr_count:     36
    .sgpr_spill_count: 0
    .symbol:         _ZN9rocsparseL27csrmvn_lrb_long_rows_kernelIli21rocsparse_complex_numIdES2_S2_S2_EEvbT_PjPT0_S6_jNS_24const_host_device_scalarIT4_EEPKS3_PKS5_PKT1_PKT2_S9_PT3_21rocsparse_index_base_b.kd
    .uniform_work_group_size: 1
    .uses_dynamic_stack: false
    .vgpr_count:     26
    .vgpr_spill_count: 0
    .wavefront_size: 64
  - .agpr_count:     0
    .args:
      - .offset:         0
        .size:           1
        .value_kind:     by_value
      - .offset:         8
        .size:           8
        .value_kind:     by_value
      - .actual_access:  read_only
        .address_space:  global
        .offset:         16
        .size:           8
        .value_kind:     global_buffer
      - .actual_access:  read_only
        .address_space:  global
        .offset:         24
        .size:           8
        .value_kind:     global_buffer
      - .offset:         32
        .size:           4
        .value_kind:     by_value
      - .offset:         40
        .size:           16
        .value_kind:     by_value
      - .actual_access:  read_only
        .address_space:  global
        .offset:         56
        .size:           8
        .value_kind:     global_buffer
      - .actual_access:  read_only
        .address_space:  global
        .offset:         64
        .size:           8
        .value_kind:     global_buffer
      - .actual_access:  read_only
        .address_space:  global
        .offset:         72
        .size:           8
        .value_kind:     global_buffer
      - .actual_access:  read_only
        .address_space:  global
        .offset:         80
        .size:           8
        .value_kind:     global_buffer
      - .offset:         88
        .size:           16
        .value_kind:     by_value
      - .address_space:  global
        .offset:         104
        .size:           8
        .value_kind:     global_buffer
      - .offset:         112
        .size:           4
        .value_kind:     by_value
      - .offset:         116
        .size:           1
        .value_kind:     by_value
    .group_segment_fixed_size: 0
    .kernarg_segment_align: 8
    .kernarg_segment_size: 120
    .language:       OpenCL C
    .language_version:
      - 2
      - 0
    .max_flat_workgroup_size: 256
    .name:           _ZN9rocsparseL28csrmvn_lrb_short_rows_kernelIll21rocsparse_complex_numIdES2_S2_S2_EEvbT_PT0_S5_jNS_24const_host_device_scalarIT4_EEPKS3_PKS4_PKT1_PKT2_S8_PT3_21rocsparse_index_base_b
    .private_segment_fixed_size: 24
    .sgpr_count:     40
    .sgpr_spill_count: 0
    .symbol:         _ZN9rocsparseL28csrmvn_lrb_short_rows_kernelIll21rocsparse_complex_numIdES2_S2_S2_EEvbT_PT0_S5_jNS_24const_host_device_scalarIT4_EEPKS3_PKS4_PKT1_PKT2_S8_PT3_21rocsparse_index_base_b.kd
    .uniform_work_group_size: 1
    .uses_dynamic_stack: false
    .vgpr_count:     28
    .vgpr_spill_count: 0
    .wavefront_size: 64
  - .agpr_count:     0
    .args:
      - .offset:         0
        .size:           1
        .value_kind:     by_value
      - .offset:         8
        .size:           8
        .value_kind:     by_value
      - .actual_access:  read_only
        .address_space:  global
        .offset:         16
        .size:           8
        .value_kind:     global_buffer
      - .actual_access:  read_only
        .address_space:  global
        .offset:         24
        .size:           8
        .value_kind:     global_buffer
      - .offset:         32
        .size:           4
        .value_kind:     by_value
      - .offset:         40
        .size:           16
        .value_kind:     by_value
      - .actual_access:  read_only
        .address_space:  global
        .offset:         56
        .size:           8
        .value_kind:     global_buffer
      - .actual_access:  read_only
        .address_space:  global
        .offset:         64
        .size:           8
        .value_kind:     global_buffer
      - .actual_access:  read_only
        .address_space:  global
        .offset:         72
        .size:           8
        .value_kind:     global_buffer
      - .actual_access:  read_only
        .address_space:  global
        .offset:         80
        .size:           8
        .value_kind:     global_buffer
      - .offset:         88
        .size:           16
        .value_kind:     by_value
      - .address_space:  global
        .offset:         104
        .size:           8
        .value_kind:     global_buffer
      - .offset:         112
        .size:           4
        .value_kind:     by_value
      - .offset:         116
        .size:           1
        .value_kind:     by_value
    .group_segment_fixed_size: 16384
    .kernarg_segment_align: 8
    .kernarg_segment_size: 120
    .language:       OpenCL C
    .language_version:
      - 2
      - 0
    .max_flat_workgroup_size: 256
    .name:           _ZN9rocsparseL30csrmvn_lrb_short_rows_2_kernelIll21rocsparse_complex_numIdES2_S2_S2_EEvbT_PT0_S5_jNS_24const_host_device_scalarIT4_EEPKS3_PKS4_PKT1_PKT2_S8_PT3_21rocsparse_index_base_b
    .private_segment_fixed_size: 24
    .sgpr_count:     36
    .sgpr_spill_count: 0
    .symbol:         _ZN9rocsparseL30csrmvn_lrb_short_rows_2_kernelIll21rocsparse_complex_numIdES2_S2_S2_EEvbT_PT0_S5_jNS_24const_host_device_scalarIT4_EEPKS3_PKS4_PKT1_PKT2_S8_PT3_21rocsparse_index_base_b.kd
    .uniform_work_group_size: 1
    .uses_dynamic_stack: false
    .vgpr_count:     24
    .vgpr_spill_count: 0
    .wavefront_size: 64
  - .agpr_count:     0
    .args:
      - .offset:         0
        .size:           1
        .value_kind:     by_value
      - .offset:         8
        .size:           8
        .value_kind:     by_value
      - .offset:         16
        .size:           8
        .value_kind:     by_value
      - .actual_access:  read_only
        .address_space:  global
        .offset:         24
        .size:           8
        .value_kind:     global_buffer
      - .actual_access:  read_only
        .address_space:  global
        .offset:         32
        .size:           8
        .value_kind:     global_buffer
      - .offset:         40
        .size:           4
        .value_kind:     by_value
      - .offset:         48
        .size:           16
        .value_kind:     by_value
      - .actual_access:  read_only
        .address_space:  global
        .offset:         64
        .size:           8
        .value_kind:     global_buffer
      - .actual_access:  read_only
        .address_space:  global
        .offset:         72
        .size:           8
        .value_kind:     global_buffer
      - .actual_access:  read_only
        .address_space:  global
        .offset:         80
        .size:           8
        .value_kind:     global_buffer
      - .actual_access:  read_only
        .address_space:  global
        .offset:         88
        .size:           8
        .value_kind:     global_buffer
      - .offset:         96
        .size:           16
        .value_kind:     by_value
      - .address_space:  global
        .offset:         112
        .size:           8
        .value_kind:     global_buffer
      - .offset:         120
        .size:           4
        .value_kind:     by_value
      - .offset:         124
        .size:           1
        .value_kind:     by_value
    .group_segment_fixed_size: 4096
    .kernarg_segment_align: 8
    .kernarg_segment_size: 128
    .language:       OpenCL C
    .language_version:
      - 2
      - 0
    .max_flat_workgroup_size: 256
    .name:           _ZN9rocsparseL41csrmvn_lrb_medium_rows_warp_reduce_kernelILj256ELj32Ell21rocsparse_complex_numIdES2_S2_S2_EEvbT1_lPT2_S5_jNS_24const_host_device_scalarIT6_EEPKS3_PKS4_PKT3_PKT4_S8_PT5_21rocsparse_index_base_b
    .private_segment_fixed_size: 0
    .sgpr_count:     26
    .sgpr_spill_count: 0
    .symbol:         _ZN9rocsparseL41csrmvn_lrb_medium_rows_warp_reduce_kernelILj256ELj32Ell21rocsparse_complex_numIdES2_S2_S2_EEvbT1_lPT2_S5_jNS_24const_host_device_scalarIT6_EEPKS3_PKS4_PKT3_PKT4_S8_PT5_21rocsparse_index_base_b.kd
    .uniform_work_group_size: 1
    .uses_dynamic_stack: false
    .vgpr_count:     36
    .vgpr_spill_count: 0
    .wavefront_size: 64
  - .agpr_count:     0
    .args:
      - .offset:         0
        .size:           1
        .value_kind:     by_value
      - .offset:         8
        .size:           8
        .value_kind:     by_value
      - .offset:         16
        .size:           8
        .value_kind:     by_value
      - .actual_access:  read_only
        .address_space:  global
        .offset:         24
        .size:           8
        .value_kind:     global_buffer
      - .actual_access:  read_only
        .address_space:  global
        .offset:         32
        .size:           8
        .value_kind:     global_buffer
      - .offset:         40
        .size:           4
        .value_kind:     by_value
      - .offset:         48
        .size:           16
        .value_kind:     by_value
      - .actual_access:  read_only
        .address_space:  global
        .offset:         64
        .size:           8
        .value_kind:     global_buffer
      - .actual_access:  read_only
        .address_space:  global
        .offset:         72
        .size:           8
        .value_kind:     global_buffer
      - .actual_access:  read_only
        .address_space:  global
        .offset:         80
        .size:           8
        .value_kind:     global_buffer
      - .actual_access:  read_only
        .address_space:  global
        .offset:         88
        .size:           8
        .value_kind:     global_buffer
      - .offset:         96
        .size:           16
        .value_kind:     by_value
      - .address_space:  global
        .offset:         112
        .size:           8
        .value_kind:     global_buffer
      - .offset:         120
        .size:           4
        .value_kind:     by_value
      - .offset:         124
        .size:           1
        .value_kind:     by_value
    .group_segment_fixed_size: 4096
    .kernarg_segment_align: 8
    .kernarg_segment_size: 128
    .language:       OpenCL C
    .language_version:
      - 2
      - 0
    .max_flat_workgroup_size: 256
    .name:           _ZN9rocsparseL41csrmvn_lrb_medium_rows_warp_reduce_kernelILj256ELj64Ell21rocsparse_complex_numIdES2_S2_S2_EEvbT1_lPT2_S5_jNS_24const_host_device_scalarIT6_EEPKS3_PKS4_PKT3_PKT4_S8_PT5_21rocsparse_index_base_b
    .private_segment_fixed_size: 0
    .sgpr_count:     26
    .sgpr_spill_count: 0
    .symbol:         _ZN9rocsparseL41csrmvn_lrb_medium_rows_warp_reduce_kernelILj256ELj64Ell21rocsparse_complex_numIdES2_S2_S2_EEvbT1_lPT2_S5_jNS_24const_host_device_scalarIT6_EEPKS3_PKS4_PKT3_PKT4_S8_PT5_21rocsparse_index_base_b.kd
    .uniform_work_group_size: 1
    .uses_dynamic_stack: false
    .vgpr_count:     36
    .vgpr_spill_count: 0
    .wavefront_size: 64
  - .agpr_count:     0
    .args:
      - .offset:         0
        .size:           1
        .value_kind:     by_value
      - .offset:         8
        .size:           8
        .value_kind:     by_value
      - .actual_access:  read_only
        .address_space:  global
        .offset:         16
        .size:           8
        .value_kind:     global_buffer
      - .actual_access:  read_only
        .address_space:  global
        .offset:         24
        .size:           8
        .value_kind:     global_buffer
      - .offset:         32
        .size:           4
        .value_kind:     by_value
      - .offset:         40
        .size:           16
        .value_kind:     by_value
      - .actual_access:  read_only
        .address_space:  global
        .offset:         56
        .size:           8
        .value_kind:     global_buffer
      - .actual_access:  read_only
        .address_space:  global
        .offset:         64
        .size:           8
        .value_kind:     global_buffer
      - .actual_access:  read_only
        .address_space:  global
        .offset:         72
        .size:           8
        .value_kind:     global_buffer
      - .actual_access:  read_only
        .address_space:  global
        .offset:         80
        .size:           8
        .value_kind:     global_buffer
      - .offset:         88
        .size:           16
        .value_kind:     by_value
      - .address_space:  global
        .offset:         104
        .size:           8
        .value_kind:     global_buffer
      - .offset:         112
        .size:           4
        .value_kind:     by_value
      - .offset:         116
        .size:           1
        .value_kind:     by_value
    .group_segment_fixed_size: 8192
    .kernarg_segment_align: 8
    .kernarg_segment_size: 120
    .language:       OpenCL C
    .language_version:
      - 2
      - 0
    .max_flat_workgroup_size: 256
    .name:           _ZN9rocsparseL29csrmvn_lrb_medium_rows_kernelILj256Ell21rocsparse_complex_numIdES2_S2_S2_EEvbT0_PT1_S5_jNS_24const_host_device_scalarIT5_EEPKS3_PKS4_PKT2_PKT3_S8_PT4_21rocsparse_index_base_b
    .private_segment_fixed_size: 0
    .sgpr_count:     28
    .sgpr_spill_count: 0
    .symbol:         _ZN9rocsparseL29csrmvn_lrb_medium_rows_kernelILj256Ell21rocsparse_complex_numIdES2_S2_S2_EEvbT0_PT1_S5_jNS_24const_host_device_scalarIT5_EEPKS3_PKS4_PKT2_PKT3_S8_PT4_21rocsparse_index_base_b.kd
    .uniform_work_group_size: 1
    .uses_dynamic_stack: false
    .vgpr_count:     32
    .vgpr_spill_count: 0
    .wavefront_size: 64
  - .agpr_count:     0
    .args:
      - .offset:         0
        .size:           1
        .value_kind:     by_value
      - .offset:         8
        .size:           8
        .value_kind:     by_value
      - .address_space:  global
        .offset:         16
        .size:           8
        .value_kind:     global_buffer
      - .actual_access:  read_only
        .address_space:  global
        .offset:         24
        .size:           8
        .value_kind:     global_buffer
      - .actual_access:  read_only
        .address_space:  global
        .offset:         32
        .size:           8
        .value_kind:     global_buffer
      - .offset:         40
        .size:           4
        .value_kind:     by_value
      - .offset:         48
        .size:           16
        .value_kind:     by_value
      - .actual_access:  read_only
        .address_space:  global
        .offset:         64
        .size:           8
        .value_kind:     global_buffer
      - .actual_access:  read_only
        .address_space:  global
        .offset:         72
        .size:           8
        .value_kind:     global_buffer
      - .actual_access:  read_only
        .address_space:  global
        .offset:         80
        .size:           8
        .value_kind:     global_buffer
      - .actual_access:  read_only
        .address_space:  global
        .offset:         88
        .size:           8
        .value_kind:     global_buffer
      - .offset:         96
        .size:           16
        .value_kind:     by_value
      - .address_space:  global
        .offset:         112
        .size:           8
        .value_kind:     global_buffer
      - .offset:         120
        .size:           4
        .value_kind:     by_value
      - .offset:         124
        .size:           1
        .value_kind:     by_value
    .group_segment_fixed_size: 8192
    .kernarg_segment_align: 8
    .kernarg_segment_size: 128
    .language:       OpenCL C
    .language_version:
      - 2
      - 0
    .max_flat_workgroup_size: 256
    .name:           _ZN9rocsparseL27csrmvn_lrb_long_rows_kernelIll21rocsparse_complex_numIdES2_S2_S2_EEvbT_PjPT0_S6_jNS_24const_host_device_scalarIT4_EEPKS3_PKS5_PKT1_PKT2_S9_PT3_21rocsparse_index_base_b
    .private_segment_fixed_size: 0
    .sgpr_count:     36
    .sgpr_spill_count: 0
    .symbol:         _ZN9rocsparseL27csrmvn_lrb_long_rows_kernelIll21rocsparse_complex_numIdES2_S2_S2_EEvbT_PjPT0_S6_jNS_24const_host_device_scalarIT4_EEPKS3_PKS5_PKT1_PKT2_S9_PT3_21rocsparse_index_base_b.kd
    .uniform_work_group_size: 1
    .uses_dynamic_stack: false
    .vgpr_count:     28
    .vgpr_spill_count: 0
    .wavefront_size: 64
  - .agpr_count:     0
    .args:
      - .offset:         0
        .size:           1
        .value_kind:     by_value
      - .offset:         4
        .size:           4
        .value_kind:     by_value
      - .actual_access:  read_only
        .address_space:  global
        .offset:         8
        .size:           8
        .value_kind:     global_buffer
      - .actual_access:  read_only
        .address_space:  global
        .offset:         16
        .size:           8
        .value_kind:     global_buffer
      - .offset:         24
        .size:           4
        .value_kind:     by_value
      - .offset:         32
        .size:           8
        .value_kind:     by_value
      - .actual_access:  read_only
        .address_space:  global
        .offset:         40
        .size:           8
        .value_kind:     global_buffer
      - .actual_access:  read_only
        .address_space:  global
        .offset:         48
        .size:           8
        .value_kind:     global_buffer
      - .actual_access:  read_only
        .address_space:  global
        .offset:         56
        .size:           8
        .value_kind:     global_buffer
      - .actual_access:  read_only
        .address_space:  global
        .offset:         64
        .size:           8
        .value_kind:     global_buffer
      - .offset:         72
        .size:           8
        .value_kind:     by_value
      - .address_space:  global
        .offset:         80
        .size:           8
        .value_kind:     global_buffer
      - .offset:         88
        .size:           4
        .value_kind:     by_value
      - .offset:         92
        .size:           1
        .value_kind:     by_value
    .group_segment_fixed_size: 0
    .kernarg_segment_align: 8
    .kernarg_segment_size: 96
    .language:       OpenCL C
    .language_version:
      - 2
      - 0
    .max_flat_workgroup_size: 256
    .name:           _ZN9rocsparseL28csrmvn_lrb_short_rows_kernelIiiaaiiEEvbT_PT0_S3_jNS_24const_host_device_scalarIT4_EEPKS1_PKS2_PKT1_PKT2_S6_PT3_21rocsparse_index_base_b
    .private_segment_fixed_size: 0
    .sgpr_count:     29
    .sgpr_spill_count: 0
    .symbol:         _ZN9rocsparseL28csrmvn_lrb_short_rows_kernelIiiaaiiEEvbT_PT0_S3_jNS_24const_host_device_scalarIT4_EEPKS1_PKS2_PKT1_PKT2_S6_PT3_21rocsparse_index_base_b.kd
    .uniform_work_group_size: 1
    .uses_dynamic_stack: false
    .vgpr_count:     9
    .vgpr_spill_count: 0
    .wavefront_size: 64
  - .agpr_count:     0
    .args:
      - .offset:         0
        .size:           1
        .value_kind:     by_value
      - .offset:         4
        .size:           4
        .value_kind:     by_value
      - .actual_access:  read_only
        .address_space:  global
        .offset:         8
        .size:           8
        .value_kind:     global_buffer
      - .actual_access:  read_only
        .address_space:  global
        .offset:         16
        .size:           8
        .value_kind:     global_buffer
      - .offset:         24
        .size:           4
        .value_kind:     by_value
      - .offset:         32
        .size:           8
        .value_kind:     by_value
      - .actual_access:  read_only
        .address_space:  global
        .offset:         40
        .size:           8
        .value_kind:     global_buffer
      - .actual_access:  read_only
        .address_space:  global
        .offset:         48
        .size:           8
        .value_kind:     global_buffer
      - .actual_access:  read_only
        .address_space:  global
        .offset:         56
        .size:           8
        .value_kind:     global_buffer
      - .actual_access:  read_only
        .address_space:  global
        .offset:         64
        .size:           8
        .value_kind:     global_buffer
      - .offset:         72
        .size:           8
        .value_kind:     by_value
      - .address_space:  global
        .offset:         80
        .size:           8
        .value_kind:     global_buffer
      - .offset:         88
        .size:           4
        .value_kind:     by_value
      - .offset:         92
        .size:           1
        .value_kind:     by_value
    .group_segment_fixed_size: 4096
    .kernarg_segment_align: 8
    .kernarg_segment_size: 96
    .language:       OpenCL C
    .language_version:
      - 2
      - 0
    .max_flat_workgroup_size: 256
    .name:           _ZN9rocsparseL30csrmvn_lrb_short_rows_2_kernelIiiaaiiEEvbT_PT0_S3_jNS_24const_host_device_scalarIT4_EEPKS1_PKS2_PKT1_PKT2_S6_PT3_21rocsparse_index_base_b
    .private_segment_fixed_size: 0
    .sgpr_count:     30
    .sgpr_spill_count: 0
    .symbol:         _ZN9rocsparseL30csrmvn_lrb_short_rows_2_kernelIiiaaiiEEvbT_PT0_S3_jNS_24const_host_device_scalarIT4_EEPKS1_PKS2_PKT1_PKT2_S6_PT3_21rocsparse_index_base_b.kd
    .uniform_work_group_size: 1
    .uses_dynamic_stack: false
    .vgpr_count:     10
    .vgpr_spill_count: 0
    .wavefront_size: 64
  - .agpr_count:     0
    .args:
      - .offset:         0
        .size:           1
        .value_kind:     by_value
      - .offset:         4
        .size:           4
        .value_kind:     by_value
      - .offset:         8
        .size:           8
        .value_kind:     by_value
      - .actual_access:  read_only
        .address_space:  global
        .offset:         16
        .size:           8
        .value_kind:     global_buffer
      - .actual_access:  read_only
        .address_space:  global
        .offset:         24
        .size:           8
        .value_kind:     global_buffer
      - .offset:         32
        .size:           4
        .value_kind:     by_value
      - .offset:         40
        .size:           8
        .value_kind:     by_value
      - .actual_access:  read_only
        .address_space:  global
        .offset:         48
        .size:           8
        .value_kind:     global_buffer
      - .actual_access:  read_only
        .address_space:  global
        .offset:         56
        .size:           8
        .value_kind:     global_buffer
      - .actual_access:  read_only
        .address_space:  global
        .offset:         64
        .size:           8
        .value_kind:     global_buffer
      - .actual_access:  read_only
        .address_space:  global
        .offset:         72
        .size:           8
        .value_kind:     global_buffer
      - .offset:         80
        .size:           8
        .value_kind:     by_value
      - .address_space:  global
        .offset:         88
        .size:           8
        .value_kind:     global_buffer
      - .offset:         96
        .size:           4
        .value_kind:     by_value
      - .offset:         100
        .size:           1
        .value_kind:     by_value
    .group_segment_fixed_size: 0
    .kernarg_segment_align: 8
    .kernarg_segment_size: 104
    .language:       OpenCL C
    .language_version:
      - 2
      - 0
    .max_flat_workgroup_size: 256
    .name:           _ZN9rocsparseL41csrmvn_lrb_medium_rows_warp_reduce_kernelILj256ELj32EiiaaiiEEvbT1_lPT2_S3_jNS_24const_host_device_scalarIT6_EEPKS1_PKS2_PKT3_PKT4_S6_PT5_21rocsparse_index_base_b
    .private_segment_fixed_size: 0
    .sgpr_count:     29
    .sgpr_spill_count: 0
    .symbol:         _ZN9rocsparseL41csrmvn_lrb_medium_rows_warp_reduce_kernelILj256ELj32EiiaaiiEEvbT1_lPT2_S3_jNS_24const_host_device_scalarIT6_EEPKS1_PKS2_PKT3_PKT4_S6_PT5_21rocsparse_index_base_b.kd
    .uniform_work_group_size: 1
    .uses_dynamic_stack: false
    .vgpr_count:     26
    .vgpr_spill_count: 0
    .wavefront_size: 64
  - .agpr_count:     0
    .args:
      - .offset:         0
        .size:           1
        .value_kind:     by_value
      - .offset:         4
        .size:           4
        .value_kind:     by_value
      - .offset:         8
        .size:           8
        .value_kind:     by_value
      - .actual_access:  read_only
        .address_space:  global
        .offset:         16
        .size:           8
        .value_kind:     global_buffer
      - .actual_access:  read_only
        .address_space:  global
        .offset:         24
        .size:           8
        .value_kind:     global_buffer
      - .offset:         32
        .size:           4
        .value_kind:     by_value
      - .offset:         40
        .size:           8
        .value_kind:     by_value
      - .actual_access:  read_only
        .address_space:  global
        .offset:         48
        .size:           8
        .value_kind:     global_buffer
      - .actual_access:  read_only
        .address_space:  global
        .offset:         56
        .size:           8
        .value_kind:     global_buffer
      - .actual_access:  read_only
        .address_space:  global
        .offset:         64
        .size:           8
        .value_kind:     global_buffer
      - .actual_access:  read_only
        .address_space:  global
        .offset:         72
        .size:           8
        .value_kind:     global_buffer
      - .offset:         80
        .size:           8
        .value_kind:     by_value
      - .address_space:  global
        .offset:         88
        .size:           8
        .value_kind:     global_buffer
      - .offset:         96
        .size:           4
        .value_kind:     by_value
      - .offset:         100
        .size:           1
        .value_kind:     by_value
    .group_segment_fixed_size: 0
    .kernarg_segment_align: 8
    .kernarg_segment_size: 104
    .language:       OpenCL C
    .language_version:
      - 2
      - 0
    .max_flat_workgroup_size: 256
    .name:           _ZN9rocsparseL41csrmvn_lrb_medium_rows_warp_reduce_kernelILj256ELj64EiiaaiiEEvbT1_lPT2_S3_jNS_24const_host_device_scalarIT6_EEPKS1_PKS2_PKT3_PKT4_S6_PT5_21rocsparse_index_base_b
    .private_segment_fixed_size: 0
    .sgpr_count:     29
    .sgpr_spill_count: 0
    .symbol:         _ZN9rocsparseL41csrmvn_lrb_medium_rows_warp_reduce_kernelILj256ELj64EiiaaiiEEvbT1_lPT2_S3_jNS_24const_host_device_scalarIT6_EEPKS1_PKS2_PKT3_PKT4_S6_PT5_21rocsparse_index_base_b.kd
    .uniform_work_group_size: 1
    .uses_dynamic_stack: false
    .vgpr_count:     26
    .vgpr_spill_count: 0
    .wavefront_size: 64
  - .agpr_count:     0
    .args:
      - .offset:         0
        .size:           1
        .value_kind:     by_value
      - .offset:         4
        .size:           4
        .value_kind:     by_value
      - .actual_access:  read_only
        .address_space:  global
        .offset:         8
        .size:           8
        .value_kind:     global_buffer
      - .actual_access:  read_only
        .address_space:  global
        .offset:         16
        .size:           8
        .value_kind:     global_buffer
      - .offset:         24
        .size:           4
        .value_kind:     by_value
      - .offset:         32
        .size:           8
        .value_kind:     by_value
      - .actual_access:  read_only
        .address_space:  global
        .offset:         40
        .size:           8
        .value_kind:     global_buffer
      - .actual_access:  read_only
        .address_space:  global
        .offset:         48
        .size:           8
        .value_kind:     global_buffer
      - .actual_access:  read_only
        .address_space:  global
        .offset:         56
        .size:           8
        .value_kind:     global_buffer
      - .actual_access:  read_only
        .address_space:  global
        .offset:         64
        .size:           8
        .value_kind:     global_buffer
      - .offset:         72
        .size:           8
        .value_kind:     by_value
      - .address_space:  global
        .offset:         80
        .size:           8
        .value_kind:     global_buffer
      - .offset:         88
        .size:           4
        .value_kind:     by_value
      - .offset:         92
        .size:           1
        .value_kind:     by_value
    .group_segment_fixed_size: 1024
    .kernarg_segment_align: 8
    .kernarg_segment_size: 96
    .language:       OpenCL C
    .language_version:
      - 2
      - 0
    .max_flat_workgroup_size: 256
    .name:           _ZN9rocsparseL29csrmvn_lrb_medium_rows_kernelILj256EiiaaiiEEvbT0_PT1_S3_jNS_24const_host_device_scalarIT5_EEPKS1_PKS2_PKT2_PKT3_S6_PT4_21rocsparse_index_base_b
    .private_segment_fixed_size: 0
    .sgpr_count:     32
    .sgpr_spill_count: 0
    .symbol:         _ZN9rocsparseL29csrmvn_lrb_medium_rows_kernelILj256EiiaaiiEEvbT0_PT1_S3_jNS_24const_host_device_scalarIT5_EEPKS1_PKS2_PKT2_PKT3_S6_PT4_21rocsparse_index_base_b.kd
    .uniform_work_group_size: 1
    .uses_dynamic_stack: false
    .vgpr_count:     24
    .vgpr_spill_count: 0
    .wavefront_size: 64
  - .agpr_count:     0
    .args:
      - .offset:         0
        .size:           1
        .value_kind:     by_value
      - .offset:         4
        .size:           4
        .value_kind:     by_value
      - .address_space:  global
        .offset:         8
        .size:           8
        .value_kind:     global_buffer
      - .actual_access:  read_only
        .address_space:  global
        .offset:         16
        .size:           8
        .value_kind:     global_buffer
      - .actual_access:  read_only
        .address_space:  global
        .offset:         24
        .size:           8
        .value_kind:     global_buffer
      - .offset:         32
        .size:           4
        .value_kind:     by_value
      - .offset:         40
        .size:           8
        .value_kind:     by_value
      - .actual_access:  read_only
        .address_space:  global
        .offset:         48
        .size:           8
        .value_kind:     global_buffer
      - .actual_access:  read_only
        .address_space:  global
        .offset:         56
        .size:           8
        .value_kind:     global_buffer
      - .actual_access:  read_only
        .address_space:  global
        .offset:         64
        .size:           8
        .value_kind:     global_buffer
      - .actual_access:  read_only
        .address_space:  global
        .offset:         72
        .size:           8
        .value_kind:     global_buffer
      - .offset:         80
        .size:           8
        .value_kind:     by_value
      - .address_space:  global
        .offset:         88
        .size:           8
        .value_kind:     global_buffer
      - .offset:         96
        .size:           4
        .value_kind:     by_value
      - .offset:         100
        .size:           1
        .value_kind:     by_value
    .group_segment_fixed_size: 1024
    .kernarg_segment_align: 8
    .kernarg_segment_size: 104
    .language:       OpenCL C
    .language_version:
      - 2
      - 0
    .max_flat_workgroup_size: 256
    .name:           _ZN9rocsparseL27csrmvn_lrb_long_rows_kernelIiiaaiiEEvbT_PjPT0_S4_jNS_24const_host_device_scalarIT4_EEPKS1_PKS3_PKT1_PKT2_S7_PT3_21rocsparse_index_base_b
    .private_segment_fixed_size: 0
    .sgpr_count:     39
    .sgpr_spill_count: 0
    .symbol:         _ZN9rocsparseL27csrmvn_lrb_long_rows_kernelIiiaaiiEEvbT_PjPT0_S4_jNS_24const_host_device_scalarIT4_EEPKS1_PKS3_PKT1_PKT2_S7_PT3_21rocsparse_index_base_b.kd
    .uniform_work_group_size: 1
    .uses_dynamic_stack: false
    .vgpr_count:     24
    .vgpr_spill_count: 0
    .wavefront_size: 64
  - .agpr_count:     0
    .args:
      - .offset:         0
        .size:           1
        .value_kind:     by_value
      - .offset:         8
        .size:           8
        .value_kind:     by_value
      - .actual_access:  read_only
        .address_space:  global
        .offset:         16
        .size:           8
        .value_kind:     global_buffer
      - .actual_access:  read_only
        .address_space:  global
        .offset:         24
        .size:           8
        .value_kind:     global_buffer
      - .offset:         32
        .size:           4
        .value_kind:     by_value
      - .offset:         40
        .size:           8
        .value_kind:     by_value
      - .actual_access:  read_only
        .address_space:  global
        .offset:         48
        .size:           8
        .value_kind:     global_buffer
      - .actual_access:  read_only
        .address_space:  global
        .offset:         56
        .size:           8
        .value_kind:     global_buffer
      - .actual_access:  read_only
        .address_space:  global
        .offset:         64
        .size:           8
        .value_kind:     global_buffer
      - .actual_access:  read_only
        .address_space:  global
        .offset:         72
        .size:           8
        .value_kind:     global_buffer
      - .offset:         80
        .size:           8
        .value_kind:     by_value
      - .address_space:  global
        .offset:         88
        .size:           8
        .value_kind:     global_buffer
      - .offset:         96
        .size:           4
        .value_kind:     by_value
      - .offset:         100
        .size:           1
        .value_kind:     by_value
    .group_segment_fixed_size: 0
    .kernarg_segment_align: 8
    .kernarg_segment_size: 104
    .language:       OpenCL C
    .language_version:
      - 2
      - 0
    .max_flat_workgroup_size: 256
    .name:           _ZN9rocsparseL28csrmvn_lrb_short_rows_kernelIliaaiiEEvbT_PT0_S3_jNS_24const_host_device_scalarIT4_EEPKS1_PKS2_PKT1_PKT2_S6_PT3_21rocsparse_index_base_b
    .private_segment_fixed_size: 0
    .sgpr_count:     30
    .sgpr_spill_count: 0
    .symbol:         _ZN9rocsparseL28csrmvn_lrb_short_rows_kernelIliaaiiEEvbT_PT0_S3_jNS_24const_host_device_scalarIT4_EEPKS1_PKS2_PKT1_PKT2_S6_PT3_21rocsparse_index_base_b.kd
    .uniform_work_group_size: 1
    .uses_dynamic_stack: false
    .vgpr_count:     10
    .vgpr_spill_count: 0
    .wavefront_size: 64
  - .agpr_count:     0
    .args:
      - .offset:         0
        .size:           1
        .value_kind:     by_value
      - .offset:         8
        .size:           8
        .value_kind:     by_value
      - .actual_access:  read_only
        .address_space:  global
        .offset:         16
        .size:           8
        .value_kind:     global_buffer
      - .actual_access:  read_only
        .address_space:  global
        .offset:         24
        .size:           8
        .value_kind:     global_buffer
      - .offset:         32
        .size:           4
        .value_kind:     by_value
      - .offset:         40
        .size:           8
        .value_kind:     by_value
      - .actual_access:  read_only
        .address_space:  global
        .offset:         48
        .size:           8
        .value_kind:     global_buffer
      - .actual_access:  read_only
        .address_space:  global
        .offset:         56
        .size:           8
        .value_kind:     global_buffer
      - .actual_access:  read_only
        .address_space:  global
        .offset:         64
        .size:           8
        .value_kind:     global_buffer
      - .actual_access:  read_only
        .address_space:  global
        .offset:         72
        .size:           8
        .value_kind:     global_buffer
      - .offset:         80
        .size:           8
        .value_kind:     by_value
      - .address_space:  global
        .offset:         88
        .size:           8
        .value_kind:     global_buffer
      - .offset:         96
        .size:           4
        .value_kind:     by_value
      - .offset:         100
        .size:           1
        .value_kind:     by_value
    .group_segment_fixed_size: 4096
    .kernarg_segment_align: 8
    .kernarg_segment_size: 104
    .language:       OpenCL C
    .language_version:
      - 2
      - 0
    .max_flat_workgroup_size: 256
    .name:           _ZN9rocsparseL30csrmvn_lrb_short_rows_2_kernelIliaaiiEEvbT_PT0_S3_jNS_24const_host_device_scalarIT4_EEPKS1_PKS2_PKT1_PKT2_S6_PT3_21rocsparse_index_base_b
    .private_segment_fixed_size: 0
    .sgpr_count:     30
    .sgpr_spill_count: 0
    .symbol:         _ZN9rocsparseL30csrmvn_lrb_short_rows_2_kernelIliaaiiEEvbT_PT0_S3_jNS_24const_host_device_scalarIT4_EEPKS1_PKS2_PKT1_PKT2_S6_PT3_21rocsparse_index_base_b.kd
    .uniform_work_group_size: 1
    .uses_dynamic_stack: false
    .vgpr_count:     10
    .vgpr_spill_count: 0
    .wavefront_size: 64
  - .agpr_count:     0
    .args:
      - .offset:         0
        .size:           1
        .value_kind:     by_value
      - .offset:         8
        .size:           8
        .value_kind:     by_value
      - .offset:         16
        .size:           8
        .value_kind:     by_value
      - .actual_access:  read_only
        .address_space:  global
        .offset:         24
        .size:           8
        .value_kind:     global_buffer
      - .actual_access:  read_only
        .address_space:  global
        .offset:         32
        .size:           8
        .value_kind:     global_buffer
      - .offset:         40
        .size:           4
        .value_kind:     by_value
      - .offset:         48
        .size:           8
        .value_kind:     by_value
      - .actual_access:  read_only
        .address_space:  global
        .offset:         56
        .size:           8
        .value_kind:     global_buffer
      - .actual_access:  read_only
        .address_space:  global
        .offset:         64
        .size:           8
        .value_kind:     global_buffer
      - .actual_access:  read_only
        .address_space:  global
        .offset:         72
        .size:           8
        .value_kind:     global_buffer
      - .actual_access:  read_only
        .address_space:  global
        .offset:         80
        .size:           8
        .value_kind:     global_buffer
      - .offset:         88
        .size:           8
        .value_kind:     by_value
      - .address_space:  global
        .offset:         96
        .size:           8
        .value_kind:     global_buffer
      - .offset:         104
        .size:           4
        .value_kind:     by_value
      - .offset:         108
        .size:           1
        .value_kind:     by_value
    .group_segment_fixed_size: 0
    .kernarg_segment_align: 8
    .kernarg_segment_size: 112
    .language:       OpenCL C
    .language_version:
      - 2
      - 0
    .max_flat_workgroup_size: 256
    .name:           _ZN9rocsparseL41csrmvn_lrb_medium_rows_warp_reduce_kernelILj256ELj32EliaaiiEEvbT1_lPT2_S3_jNS_24const_host_device_scalarIT6_EEPKS1_PKS2_PKT3_PKT4_S6_PT5_21rocsparse_index_base_b
    .private_segment_fixed_size: 0
    .sgpr_count:     25
    .sgpr_spill_count: 0
    .symbol:         _ZN9rocsparseL41csrmvn_lrb_medium_rows_warp_reduce_kernelILj256ELj32EliaaiiEEvbT1_lPT2_S3_jNS_24const_host_device_scalarIT6_EEPKS1_PKS2_PKT3_PKT4_S6_PT5_21rocsparse_index_base_b.kd
    .uniform_work_group_size: 1
    .uses_dynamic_stack: false
    .vgpr_count:     29
    .vgpr_spill_count: 0
    .wavefront_size: 64
  - .agpr_count:     0
    .args:
      - .offset:         0
        .size:           1
        .value_kind:     by_value
      - .offset:         8
        .size:           8
        .value_kind:     by_value
      - .offset:         16
        .size:           8
        .value_kind:     by_value
      - .actual_access:  read_only
        .address_space:  global
        .offset:         24
        .size:           8
        .value_kind:     global_buffer
      - .actual_access:  read_only
        .address_space:  global
        .offset:         32
        .size:           8
        .value_kind:     global_buffer
      - .offset:         40
        .size:           4
        .value_kind:     by_value
      - .offset:         48
        .size:           8
        .value_kind:     by_value
      - .actual_access:  read_only
        .address_space:  global
        .offset:         56
        .size:           8
        .value_kind:     global_buffer
      - .actual_access:  read_only
        .address_space:  global
        .offset:         64
        .size:           8
        .value_kind:     global_buffer
      - .actual_access:  read_only
        .address_space:  global
        .offset:         72
        .size:           8
        .value_kind:     global_buffer
      - .actual_access:  read_only
        .address_space:  global
        .offset:         80
        .size:           8
        .value_kind:     global_buffer
      - .offset:         88
        .size:           8
        .value_kind:     by_value
      - .address_space:  global
        .offset:         96
        .size:           8
        .value_kind:     global_buffer
      - .offset:         104
        .size:           4
        .value_kind:     by_value
      - .offset:         108
        .size:           1
        .value_kind:     by_value
    .group_segment_fixed_size: 0
    .kernarg_segment_align: 8
    .kernarg_segment_size: 112
    .language:       OpenCL C
    .language_version:
      - 2
      - 0
    .max_flat_workgroup_size: 256
    .name:           _ZN9rocsparseL41csrmvn_lrb_medium_rows_warp_reduce_kernelILj256ELj64EliaaiiEEvbT1_lPT2_S3_jNS_24const_host_device_scalarIT6_EEPKS1_PKS2_PKT3_PKT4_S6_PT5_21rocsparse_index_base_b
    .private_segment_fixed_size: 0
    .sgpr_count:     25
    .sgpr_spill_count: 0
    .symbol:         _ZN9rocsparseL41csrmvn_lrb_medium_rows_warp_reduce_kernelILj256ELj64EliaaiiEEvbT1_lPT2_S3_jNS_24const_host_device_scalarIT6_EEPKS1_PKS2_PKT3_PKT4_S6_PT5_21rocsparse_index_base_b.kd
    .uniform_work_group_size: 1
    .uses_dynamic_stack: false
    .vgpr_count:     29
    .vgpr_spill_count: 0
    .wavefront_size: 64
  - .agpr_count:     0
    .args:
      - .offset:         0
        .size:           1
        .value_kind:     by_value
      - .offset:         8
        .size:           8
        .value_kind:     by_value
      - .actual_access:  read_only
        .address_space:  global
        .offset:         16
        .size:           8
        .value_kind:     global_buffer
      - .actual_access:  read_only
        .address_space:  global
        .offset:         24
        .size:           8
        .value_kind:     global_buffer
      - .offset:         32
        .size:           4
        .value_kind:     by_value
      - .offset:         40
        .size:           8
        .value_kind:     by_value
      - .actual_access:  read_only
        .address_space:  global
        .offset:         48
        .size:           8
        .value_kind:     global_buffer
      - .actual_access:  read_only
        .address_space:  global
        .offset:         56
        .size:           8
        .value_kind:     global_buffer
      - .actual_access:  read_only
        .address_space:  global
        .offset:         64
        .size:           8
        .value_kind:     global_buffer
      - .actual_access:  read_only
        .address_space:  global
        .offset:         72
        .size:           8
        .value_kind:     global_buffer
      - .offset:         80
        .size:           8
        .value_kind:     by_value
      - .address_space:  global
        .offset:         88
        .size:           8
        .value_kind:     global_buffer
      - .offset:         96
        .size:           4
        .value_kind:     by_value
      - .offset:         100
        .size:           1
        .value_kind:     by_value
    .group_segment_fixed_size: 1024
    .kernarg_segment_align: 8
    .kernarg_segment_size: 104
    .language:       OpenCL C
    .language_version:
      - 2
      - 0
    .max_flat_workgroup_size: 256
    .name:           _ZN9rocsparseL29csrmvn_lrb_medium_rows_kernelILj256EliaaiiEEvbT0_PT1_S3_jNS_24const_host_device_scalarIT5_EEPKS1_PKS2_PKT2_PKT3_S6_PT4_21rocsparse_index_base_b
    .private_segment_fixed_size: 0
    .sgpr_count:     29
    .sgpr_spill_count: 0
    .symbol:         _ZN9rocsparseL29csrmvn_lrb_medium_rows_kernelILj256EliaaiiEEvbT0_PT1_S3_jNS_24const_host_device_scalarIT5_EEPKS1_PKS2_PKT2_PKT3_S6_PT4_21rocsparse_index_base_b.kd
    .uniform_work_group_size: 1
    .uses_dynamic_stack: false
    .vgpr_count:     25
    .vgpr_spill_count: 0
    .wavefront_size: 64
  - .agpr_count:     0
    .args:
      - .offset:         0
        .size:           1
        .value_kind:     by_value
      - .offset:         8
        .size:           8
        .value_kind:     by_value
      - .address_space:  global
        .offset:         16
        .size:           8
        .value_kind:     global_buffer
      - .actual_access:  read_only
        .address_space:  global
        .offset:         24
        .size:           8
        .value_kind:     global_buffer
      - .actual_access:  read_only
        .address_space:  global
        .offset:         32
        .size:           8
        .value_kind:     global_buffer
      - .offset:         40
        .size:           4
        .value_kind:     by_value
      - .offset:         48
        .size:           8
        .value_kind:     by_value
      - .actual_access:  read_only
        .address_space:  global
        .offset:         56
        .size:           8
        .value_kind:     global_buffer
      - .actual_access:  read_only
        .address_space:  global
        .offset:         64
        .size:           8
        .value_kind:     global_buffer
      - .actual_access:  read_only
        .address_space:  global
        .offset:         72
        .size:           8
        .value_kind:     global_buffer
      - .actual_access:  read_only
        .address_space:  global
        .offset:         80
        .size:           8
        .value_kind:     global_buffer
      - .offset:         88
        .size:           8
        .value_kind:     by_value
      - .address_space:  global
        .offset:         96
        .size:           8
        .value_kind:     global_buffer
      - .offset:         104
        .size:           4
        .value_kind:     by_value
      - .offset:         108
        .size:           1
        .value_kind:     by_value
    .group_segment_fixed_size: 1024
    .kernarg_segment_align: 8
    .kernarg_segment_size: 112
    .language:       OpenCL C
    .language_version:
      - 2
      - 0
    .max_flat_workgroup_size: 256
    .name:           _ZN9rocsparseL27csrmvn_lrb_long_rows_kernelIliaaiiEEvbT_PjPT0_S4_jNS_24const_host_device_scalarIT4_EEPKS1_PKS3_PKT1_PKT2_S7_PT3_21rocsparse_index_base_b
    .private_segment_fixed_size: 0
    .sgpr_count:     35
    .sgpr_spill_count: 0
    .symbol:         _ZN9rocsparseL27csrmvn_lrb_long_rows_kernelIliaaiiEEvbT_PjPT0_S4_jNS_24const_host_device_scalarIT4_EEPKS1_PKS3_PKT1_PKT2_S7_PT3_21rocsparse_index_base_b.kd
    .uniform_work_group_size: 1
    .uses_dynamic_stack: false
    .vgpr_count:     25
    .vgpr_spill_count: 0
    .wavefront_size: 64
  - .agpr_count:     0
    .args:
      - .offset:         0
        .size:           1
        .value_kind:     by_value
      - .offset:         8
        .size:           8
        .value_kind:     by_value
      - .actual_access:  read_only
        .address_space:  global
        .offset:         16
        .size:           8
        .value_kind:     global_buffer
      - .actual_access:  read_only
        .address_space:  global
        .offset:         24
        .size:           8
        .value_kind:     global_buffer
      - .offset:         32
        .size:           4
        .value_kind:     by_value
      - .offset:         40
        .size:           8
        .value_kind:     by_value
      - .actual_access:  read_only
        .address_space:  global
        .offset:         48
        .size:           8
        .value_kind:     global_buffer
      - .actual_access:  read_only
        .address_space:  global
        .offset:         56
        .size:           8
        .value_kind:     global_buffer
      - .actual_access:  read_only
        .address_space:  global
        .offset:         64
        .size:           8
        .value_kind:     global_buffer
      - .actual_access:  read_only
        .address_space:  global
        .offset:         72
        .size:           8
        .value_kind:     global_buffer
      - .offset:         80
        .size:           8
        .value_kind:     by_value
      - .address_space:  global
        .offset:         88
        .size:           8
        .value_kind:     global_buffer
      - .offset:         96
        .size:           4
        .value_kind:     by_value
      - .offset:         100
        .size:           1
        .value_kind:     by_value
    .group_segment_fixed_size: 0
    .kernarg_segment_align: 8
    .kernarg_segment_size: 104
    .language:       OpenCL C
    .language_version:
      - 2
      - 0
    .max_flat_workgroup_size: 256
    .name:           _ZN9rocsparseL28csrmvn_lrb_short_rows_kernelIllaaiiEEvbT_PT0_S3_jNS_24const_host_device_scalarIT4_EEPKS1_PKS2_PKT1_PKT2_S6_PT3_21rocsparse_index_base_b
    .private_segment_fixed_size: 0
    .sgpr_count:     33
    .sgpr_spill_count: 0
    .symbol:         _ZN9rocsparseL28csrmvn_lrb_short_rows_kernelIllaaiiEEvbT_PT0_S3_jNS_24const_host_device_scalarIT4_EEPKS1_PKS2_PKT1_PKT2_S6_PT3_21rocsparse_index_base_b.kd
    .uniform_work_group_size: 1
    .uses_dynamic_stack: false
    .vgpr_count:     12
    .vgpr_spill_count: 0
    .wavefront_size: 64
  - .agpr_count:     0
    .args:
      - .offset:         0
        .size:           1
        .value_kind:     by_value
      - .offset:         8
        .size:           8
        .value_kind:     by_value
      - .actual_access:  read_only
        .address_space:  global
        .offset:         16
        .size:           8
        .value_kind:     global_buffer
      - .actual_access:  read_only
        .address_space:  global
        .offset:         24
        .size:           8
        .value_kind:     global_buffer
      - .offset:         32
        .size:           4
        .value_kind:     by_value
      - .offset:         40
        .size:           8
        .value_kind:     by_value
      - .actual_access:  read_only
        .address_space:  global
        .offset:         48
        .size:           8
        .value_kind:     global_buffer
      - .actual_access:  read_only
        .address_space:  global
        .offset:         56
        .size:           8
        .value_kind:     global_buffer
      - .actual_access:  read_only
        .address_space:  global
        .offset:         64
        .size:           8
        .value_kind:     global_buffer
      - .actual_access:  read_only
        .address_space:  global
        .offset:         72
        .size:           8
        .value_kind:     global_buffer
      - .offset:         80
        .size:           8
        .value_kind:     by_value
      - .address_space:  global
        .offset:         88
        .size:           8
        .value_kind:     global_buffer
      - .offset:         96
        .size:           4
        .value_kind:     by_value
      - .offset:         100
        .size:           1
        .value_kind:     by_value
    .group_segment_fixed_size: 4096
    .kernarg_segment_align: 8
    .kernarg_segment_size: 104
    .language:       OpenCL C
    .language_version:
      - 2
      - 0
    .max_flat_workgroup_size: 256
    .name:           _ZN9rocsparseL30csrmvn_lrb_short_rows_2_kernelIllaaiiEEvbT_PT0_S3_jNS_24const_host_device_scalarIT4_EEPKS1_PKS2_PKT1_PKT2_S6_PT3_21rocsparse_index_base_b
    .private_segment_fixed_size: 0
    .sgpr_count:     32
    .sgpr_spill_count: 0
    .symbol:         _ZN9rocsparseL30csrmvn_lrb_short_rows_2_kernelIllaaiiEEvbT_PT0_S3_jNS_24const_host_device_scalarIT4_EEPKS1_PKS2_PKT1_PKT2_S6_PT3_21rocsparse_index_base_b.kd
    .uniform_work_group_size: 1
    .uses_dynamic_stack: false
    .vgpr_count:     10
    .vgpr_spill_count: 0
    .wavefront_size: 64
  - .agpr_count:     0
    .args:
      - .offset:         0
        .size:           1
        .value_kind:     by_value
      - .offset:         8
        .size:           8
        .value_kind:     by_value
      - .offset:         16
        .size:           8
        .value_kind:     by_value
      - .actual_access:  read_only
        .address_space:  global
        .offset:         24
        .size:           8
        .value_kind:     global_buffer
      - .actual_access:  read_only
        .address_space:  global
        .offset:         32
        .size:           8
        .value_kind:     global_buffer
      - .offset:         40
        .size:           4
        .value_kind:     by_value
      - .offset:         48
        .size:           8
        .value_kind:     by_value
      - .actual_access:  read_only
        .address_space:  global
        .offset:         56
        .size:           8
        .value_kind:     global_buffer
      - .actual_access:  read_only
        .address_space:  global
        .offset:         64
        .size:           8
        .value_kind:     global_buffer
      - .actual_access:  read_only
        .address_space:  global
        .offset:         72
        .size:           8
        .value_kind:     global_buffer
      - .actual_access:  read_only
        .address_space:  global
        .offset:         80
        .size:           8
        .value_kind:     global_buffer
      - .offset:         88
        .size:           8
        .value_kind:     by_value
      - .address_space:  global
        .offset:         96
        .size:           8
        .value_kind:     global_buffer
      - .offset:         104
        .size:           4
        .value_kind:     by_value
      - .offset:         108
        .size:           1
        .value_kind:     by_value
    .group_segment_fixed_size: 0
    .kernarg_segment_align: 8
    .kernarg_segment_size: 112
    .language:       OpenCL C
    .language_version:
      - 2
      - 0
    .max_flat_workgroup_size: 256
    .name:           _ZN9rocsparseL41csrmvn_lrb_medium_rows_warp_reduce_kernelILj256ELj32EllaaiiEEvbT1_lPT2_S3_jNS_24const_host_device_scalarIT6_EEPKS1_PKS2_PKT3_PKT4_S6_PT5_21rocsparse_index_base_b
    .private_segment_fixed_size: 0
    .sgpr_count:     20
    .sgpr_spill_count: 0
    .symbol:         _ZN9rocsparseL41csrmvn_lrb_medium_rows_warp_reduce_kernelILj256ELj32EllaaiiEEvbT1_lPT2_S3_jNS_24const_host_device_scalarIT6_EEPKS1_PKS2_PKT3_PKT4_S6_PT5_21rocsparse_index_base_b.kd
    .uniform_work_group_size: 1
    .uses_dynamic_stack: false
    .vgpr_count:     18
    .vgpr_spill_count: 0
    .wavefront_size: 64
  - .agpr_count:     0
    .args:
      - .offset:         0
        .size:           1
        .value_kind:     by_value
      - .offset:         8
        .size:           8
        .value_kind:     by_value
      - .offset:         16
        .size:           8
        .value_kind:     by_value
      - .actual_access:  read_only
        .address_space:  global
        .offset:         24
        .size:           8
        .value_kind:     global_buffer
      - .actual_access:  read_only
        .address_space:  global
        .offset:         32
        .size:           8
        .value_kind:     global_buffer
      - .offset:         40
        .size:           4
        .value_kind:     by_value
      - .offset:         48
        .size:           8
        .value_kind:     by_value
      - .actual_access:  read_only
        .address_space:  global
        .offset:         56
        .size:           8
        .value_kind:     global_buffer
      - .actual_access:  read_only
        .address_space:  global
        .offset:         64
        .size:           8
        .value_kind:     global_buffer
      - .actual_access:  read_only
        .address_space:  global
        .offset:         72
        .size:           8
        .value_kind:     global_buffer
      - .actual_access:  read_only
        .address_space:  global
        .offset:         80
        .size:           8
        .value_kind:     global_buffer
      - .offset:         88
        .size:           8
        .value_kind:     by_value
      - .address_space:  global
        .offset:         96
        .size:           8
        .value_kind:     global_buffer
      - .offset:         104
        .size:           4
        .value_kind:     by_value
      - .offset:         108
        .size:           1
        .value_kind:     by_value
    .group_segment_fixed_size: 0
    .kernarg_segment_align: 8
    .kernarg_segment_size: 112
    .language:       OpenCL C
    .language_version:
      - 2
      - 0
    .max_flat_workgroup_size: 256
    .name:           _ZN9rocsparseL41csrmvn_lrb_medium_rows_warp_reduce_kernelILj256ELj64EllaaiiEEvbT1_lPT2_S3_jNS_24const_host_device_scalarIT6_EEPKS1_PKS2_PKT3_PKT4_S6_PT5_21rocsparse_index_base_b
    .private_segment_fixed_size: 0
    .sgpr_count:     20
    .sgpr_spill_count: 0
    .symbol:         _ZN9rocsparseL41csrmvn_lrb_medium_rows_warp_reduce_kernelILj256ELj64EllaaiiEEvbT1_lPT2_S3_jNS_24const_host_device_scalarIT6_EEPKS1_PKS2_PKT3_PKT4_S6_PT5_21rocsparse_index_base_b.kd
    .uniform_work_group_size: 1
    .uses_dynamic_stack: false
    .vgpr_count:     18
    .vgpr_spill_count: 0
    .wavefront_size: 64
  - .agpr_count:     0
    .args:
      - .offset:         0
        .size:           1
        .value_kind:     by_value
      - .offset:         8
        .size:           8
        .value_kind:     by_value
      - .actual_access:  read_only
        .address_space:  global
        .offset:         16
        .size:           8
        .value_kind:     global_buffer
      - .actual_access:  read_only
        .address_space:  global
        .offset:         24
        .size:           8
        .value_kind:     global_buffer
      - .offset:         32
        .size:           4
        .value_kind:     by_value
      - .offset:         40
        .size:           8
        .value_kind:     by_value
      - .actual_access:  read_only
        .address_space:  global
        .offset:         48
        .size:           8
        .value_kind:     global_buffer
      - .actual_access:  read_only
        .address_space:  global
        .offset:         56
        .size:           8
        .value_kind:     global_buffer
      - .actual_access:  read_only
        .address_space:  global
        .offset:         64
        .size:           8
        .value_kind:     global_buffer
      - .actual_access:  read_only
        .address_space:  global
        .offset:         72
        .size:           8
        .value_kind:     global_buffer
      - .offset:         80
        .size:           8
        .value_kind:     by_value
      - .address_space:  global
        .offset:         88
        .size:           8
        .value_kind:     global_buffer
      - .offset:         96
        .size:           4
        .value_kind:     by_value
      - .offset:         100
        .size:           1
        .value_kind:     by_value
    .group_segment_fixed_size: 1024
    .kernarg_segment_align: 8
    .kernarg_segment_size: 104
    .language:       OpenCL C
    .language_version:
      - 2
      - 0
    .max_flat_workgroup_size: 256
    .name:           _ZN9rocsparseL29csrmvn_lrb_medium_rows_kernelILj256EllaaiiEEvbT0_PT1_S3_jNS_24const_host_device_scalarIT5_EEPKS1_PKS2_PKT2_PKT3_S6_PT4_21rocsparse_index_base_b
    .private_segment_fixed_size: 0
    .sgpr_count:     24
    .sgpr_spill_count: 0
    .symbol:         _ZN9rocsparseL29csrmvn_lrb_medium_rows_kernelILj256EllaaiiEEvbT0_PT1_S3_jNS_24const_host_device_scalarIT5_EEPKS1_PKS2_PKT2_PKT3_S6_PT4_21rocsparse_index_base_b.kd
    .uniform_work_group_size: 1
    .uses_dynamic_stack: false
    .vgpr_count:     14
    .vgpr_spill_count: 0
    .wavefront_size: 64
  - .agpr_count:     0
    .args:
      - .offset:         0
        .size:           1
        .value_kind:     by_value
      - .offset:         8
        .size:           8
        .value_kind:     by_value
      - .address_space:  global
        .offset:         16
        .size:           8
        .value_kind:     global_buffer
      - .actual_access:  read_only
        .address_space:  global
        .offset:         24
        .size:           8
        .value_kind:     global_buffer
      - .actual_access:  read_only
        .address_space:  global
        .offset:         32
        .size:           8
        .value_kind:     global_buffer
      - .offset:         40
        .size:           4
        .value_kind:     by_value
      - .offset:         48
        .size:           8
        .value_kind:     by_value
      - .actual_access:  read_only
        .address_space:  global
        .offset:         56
        .size:           8
        .value_kind:     global_buffer
      - .actual_access:  read_only
        .address_space:  global
        .offset:         64
        .size:           8
        .value_kind:     global_buffer
      - .actual_access:  read_only
        .address_space:  global
        .offset:         72
        .size:           8
        .value_kind:     global_buffer
      - .actual_access:  read_only
        .address_space:  global
        .offset:         80
        .size:           8
        .value_kind:     global_buffer
      - .offset:         88
        .size:           8
        .value_kind:     by_value
      - .address_space:  global
        .offset:         96
        .size:           8
        .value_kind:     global_buffer
      - .offset:         104
        .size:           4
        .value_kind:     by_value
      - .offset:         108
        .size:           1
        .value_kind:     by_value
    .group_segment_fixed_size: 1024
    .kernarg_segment_align: 8
    .kernarg_segment_size: 112
    .language:       OpenCL C
    .language_version:
      - 2
      - 0
    .max_flat_workgroup_size: 256
    .name:           _ZN9rocsparseL27csrmvn_lrb_long_rows_kernelIllaaiiEEvbT_PjPT0_S4_jNS_24const_host_device_scalarIT4_EEPKS1_PKS3_PKT1_PKT2_S7_PT3_21rocsparse_index_base_b
    .private_segment_fixed_size: 0
    .sgpr_count:     34
    .sgpr_spill_count: 0
    .symbol:         _ZN9rocsparseL27csrmvn_lrb_long_rows_kernelIllaaiiEEvbT_PjPT0_S4_jNS_24const_host_device_scalarIT4_EEPKS1_PKS3_PKT1_PKT2_S7_PT3_21rocsparse_index_base_b.kd
    .uniform_work_group_size: 1
    .uses_dynamic_stack: false
    .vgpr_count:     14
    .vgpr_spill_count: 0
    .wavefront_size: 64
  - .agpr_count:     0
    .args:
      - .offset:         0
        .size:           1
        .value_kind:     by_value
      - .offset:         4
        .size:           4
        .value_kind:     by_value
      - .actual_access:  read_only
        .address_space:  global
        .offset:         8
        .size:           8
        .value_kind:     global_buffer
      - .actual_access:  read_only
        .address_space:  global
        .offset:         16
        .size:           8
        .value_kind:     global_buffer
      - .offset:         24
        .size:           4
        .value_kind:     by_value
      - .offset:         32
        .size:           8
        .value_kind:     by_value
      - .actual_access:  read_only
        .address_space:  global
        .offset:         40
        .size:           8
        .value_kind:     global_buffer
      - .actual_access:  read_only
        .address_space:  global
        .offset:         48
        .size:           8
        .value_kind:     global_buffer
      - .actual_access:  read_only
        .address_space:  global
        .offset:         56
        .size:           8
        .value_kind:     global_buffer
      - .actual_access:  read_only
        .address_space:  global
        .offset:         64
        .size:           8
        .value_kind:     global_buffer
      - .offset:         72
        .size:           8
        .value_kind:     by_value
      - .address_space:  global
        .offset:         80
        .size:           8
        .value_kind:     global_buffer
      - .offset:         88
        .size:           4
        .value_kind:     by_value
      - .offset:         92
        .size:           1
        .value_kind:     by_value
    .group_segment_fixed_size: 0
    .kernarg_segment_align: 8
    .kernarg_segment_size: 96
    .language:       OpenCL C
    .language_version:
      - 2
      - 0
    .max_flat_workgroup_size: 256
    .name:           _ZN9rocsparseL28csrmvn_lrb_short_rows_kernelIiiaaffEEvbT_PT0_S3_jNS_24const_host_device_scalarIT4_EEPKS1_PKS2_PKT1_PKT2_S6_PT3_21rocsparse_index_base_b
    .private_segment_fixed_size: 0
    .sgpr_count:     29
    .sgpr_spill_count: 0
    .symbol:         _ZN9rocsparseL28csrmvn_lrb_short_rows_kernelIiiaaffEEvbT_PT0_S3_jNS_24const_host_device_scalarIT4_EEPKS1_PKS2_PKT1_PKT2_S6_PT3_21rocsparse_index_base_b.kd
    .uniform_work_group_size: 1
    .uses_dynamic_stack: false
    .vgpr_count:     9
    .vgpr_spill_count: 0
    .wavefront_size: 64
  - .agpr_count:     0
    .args:
      - .offset:         0
        .size:           1
        .value_kind:     by_value
      - .offset:         4
        .size:           4
        .value_kind:     by_value
      - .actual_access:  read_only
        .address_space:  global
        .offset:         8
        .size:           8
        .value_kind:     global_buffer
      - .actual_access:  read_only
        .address_space:  global
        .offset:         16
        .size:           8
        .value_kind:     global_buffer
      - .offset:         24
        .size:           4
        .value_kind:     by_value
      - .offset:         32
        .size:           8
        .value_kind:     by_value
      - .actual_access:  read_only
        .address_space:  global
        .offset:         40
        .size:           8
        .value_kind:     global_buffer
      - .actual_access:  read_only
        .address_space:  global
        .offset:         48
        .size:           8
        .value_kind:     global_buffer
      - .actual_access:  read_only
        .address_space:  global
        .offset:         56
        .size:           8
        .value_kind:     global_buffer
      - .actual_access:  read_only
        .address_space:  global
        .offset:         64
        .size:           8
        .value_kind:     global_buffer
      - .offset:         72
        .size:           8
        .value_kind:     by_value
      - .address_space:  global
        .offset:         80
        .size:           8
        .value_kind:     global_buffer
      - .offset:         88
        .size:           4
        .value_kind:     by_value
      - .offset:         92
        .size:           1
        .value_kind:     by_value
    .group_segment_fixed_size: 4096
    .kernarg_segment_align: 8
    .kernarg_segment_size: 96
    .language:       OpenCL C
    .language_version:
      - 2
      - 0
    .max_flat_workgroup_size: 256
    .name:           _ZN9rocsparseL30csrmvn_lrb_short_rows_2_kernelIiiaaffEEvbT_PT0_S3_jNS_24const_host_device_scalarIT4_EEPKS1_PKS2_PKT1_PKT2_S6_PT3_21rocsparse_index_base_b
    .private_segment_fixed_size: 0
    .sgpr_count:     32
    .sgpr_spill_count: 0
    .symbol:         _ZN9rocsparseL30csrmvn_lrb_short_rows_2_kernelIiiaaffEEvbT_PT0_S3_jNS_24const_host_device_scalarIT4_EEPKS1_PKS2_PKT1_PKT2_S6_PT3_21rocsparse_index_base_b.kd
    .uniform_work_group_size: 1
    .uses_dynamic_stack: false
    .vgpr_count:     8
    .vgpr_spill_count: 0
    .wavefront_size: 64
  - .agpr_count:     0
    .args:
      - .offset:         0
        .size:           1
        .value_kind:     by_value
      - .offset:         4
        .size:           4
        .value_kind:     by_value
      - .offset:         8
        .size:           8
        .value_kind:     by_value
      - .actual_access:  read_only
        .address_space:  global
        .offset:         16
        .size:           8
        .value_kind:     global_buffer
      - .actual_access:  read_only
        .address_space:  global
        .offset:         24
        .size:           8
        .value_kind:     global_buffer
      - .offset:         32
        .size:           4
        .value_kind:     by_value
      - .offset:         40
        .size:           8
        .value_kind:     by_value
      - .actual_access:  read_only
        .address_space:  global
        .offset:         48
        .size:           8
        .value_kind:     global_buffer
      - .actual_access:  read_only
        .address_space:  global
        .offset:         56
        .size:           8
        .value_kind:     global_buffer
      - .actual_access:  read_only
        .address_space:  global
        .offset:         64
        .size:           8
        .value_kind:     global_buffer
      - .actual_access:  read_only
        .address_space:  global
        .offset:         72
        .size:           8
        .value_kind:     global_buffer
      - .offset:         80
        .size:           8
        .value_kind:     by_value
      - .address_space:  global
        .offset:         88
        .size:           8
        .value_kind:     global_buffer
      - .offset:         96
        .size:           4
        .value_kind:     by_value
      - .offset:         100
        .size:           1
        .value_kind:     by_value
    .group_segment_fixed_size: 0
    .kernarg_segment_align: 8
    .kernarg_segment_size: 104
    .language:       OpenCL C
    .language_version:
      - 2
      - 0
    .max_flat_workgroup_size: 256
    .name:           _ZN9rocsparseL41csrmvn_lrb_medium_rows_warp_reduce_kernelILj256ELj32EiiaaffEEvbT1_lPT2_S3_jNS_24const_host_device_scalarIT6_EEPKS1_PKS2_PKT3_PKT4_S6_PT5_21rocsparse_index_base_b
    .private_segment_fixed_size: 0
    .sgpr_count:     22
    .sgpr_spill_count: 0
    .symbol:         _ZN9rocsparseL41csrmvn_lrb_medium_rows_warp_reduce_kernelILj256ELj32EiiaaffEEvbT1_lPT2_S3_jNS_24const_host_device_scalarIT6_EEPKS1_PKS2_PKT3_PKT4_S6_PT5_21rocsparse_index_base_b.kd
    .uniform_work_group_size: 1
    .uses_dynamic_stack: false
    .vgpr_count:     13
    .vgpr_spill_count: 0
    .wavefront_size: 64
  - .agpr_count:     0
    .args:
      - .offset:         0
        .size:           1
        .value_kind:     by_value
      - .offset:         4
        .size:           4
        .value_kind:     by_value
      - .offset:         8
        .size:           8
        .value_kind:     by_value
      - .actual_access:  read_only
        .address_space:  global
        .offset:         16
        .size:           8
        .value_kind:     global_buffer
      - .actual_access:  read_only
        .address_space:  global
        .offset:         24
        .size:           8
        .value_kind:     global_buffer
      - .offset:         32
        .size:           4
        .value_kind:     by_value
      - .offset:         40
        .size:           8
        .value_kind:     by_value
      - .actual_access:  read_only
        .address_space:  global
        .offset:         48
        .size:           8
        .value_kind:     global_buffer
      - .actual_access:  read_only
        .address_space:  global
        .offset:         56
        .size:           8
        .value_kind:     global_buffer
      - .actual_access:  read_only
        .address_space:  global
        .offset:         64
        .size:           8
        .value_kind:     global_buffer
      - .actual_access:  read_only
        .address_space:  global
        .offset:         72
        .size:           8
        .value_kind:     global_buffer
      - .offset:         80
        .size:           8
        .value_kind:     by_value
      - .address_space:  global
        .offset:         88
        .size:           8
        .value_kind:     global_buffer
      - .offset:         96
        .size:           4
        .value_kind:     by_value
      - .offset:         100
        .size:           1
        .value_kind:     by_value
    .group_segment_fixed_size: 0
    .kernarg_segment_align: 8
    .kernarg_segment_size: 104
    .language:       OpenCL C
    .language_version:
      - 2
      - 0
    .max_flat_workgroup_size: 256
    .name:           _ZN9rocsparseL41csrmvn_lrb_medium_rows_warp_reduce_kernelILj256ELj64EiiaaffEEvbT1_lPT2_S3_jNS_24const_host_device_scalarIT6_EEPKS1_PKS2_PKT3_PKT4_S6_PT5_21rocsparse_index_base_b
    .private_segment_fixed_size: 0
    .sgpr_count:     22
    .sgpr_spill_count: 0
    .symbol:         _ZN9rocsparseL41csrmvn_lrb_medium_rows_warp_reduce_kernelILj256ELj64EiiaaffEEvbT1_lPT2_S3_jNS_24const_host_device_scalarIT6_EEPKS1_PKS2_PKT3_PKT4_S6_PT5_21rocsparse_index_base_b.kd
    .uniform_work_group_size: 1
    .uses_dynamic_stack: false
    .vgpr_count:     13
    .vgpr_spill_count: 0
    .wavefront_size: 64
  - .agpr_count:     0
    .args:
      - .offset:         0
        .size:           1
        .value_kind:     by_value
      - .offset:         4
        .size:           4
        .value_kind:     by_value
      - .actual_access:  read_only
        .address_space:  global
        .offset:         8
        .size:           8
        .value_kind:     global_buffer
      - .actual_access:  read_only
        .address_space:  global
        .offset:         16
        .size:           8
        .value_kind:     global_buffer
      - .offset:         24
        .size:           4
        .value_kind:     by_value
      - .offset:         32
        .size:           8
        .value_kind:     by_value
      - .actual_access:  read_only
        .address_space:  global
        .offset:         40
        .size:           8
        .value_kind:     global_buffer
      - .actual_access:  read_only
        .address_space:  global
        .offset:         48
        .size:           8
        .value_kind:     global_buffer
      - .actual_access:  read_only
        .address_space:  global
        .offset:         56
        .size:           8
        .value_kind:     global_buffer
      - .actual_access:  read_only
        .address_space:  global
        .offset:         64
        .size:           8
        .value_kind:     global_buffer
      - .offset:         72
        .size:           8
        .value_kind:     by_value
      - .address_space:  global
        .offset:         80
        .size:           8
        .value_kind:     global_buffer
      - .offset:         88
        .size:           4
        .value_kind:     by_value
      - .offset:         92
        .size:           1
        .value_kind:     by_value
    .group_segment_fixed_size: 1024
    .kernarg_segment_align: 8
    .kernarg_segment_size: 96
    .language:       OpenCL C
    .language_version:
      - 2
      - 0
    .max_flat_workgroup_size: 256
    .name:           _ZN9rocsparseL29csrmvn_lrb_medium_rows_kernelILj256EiiaaffEEvbT0_PT1_S3_jNS_24const_host_device_scalarIT5_EEPKS1_PKS2_PKT2_PKT3_S6_PT4_21rocsparse_index_base_b
    .private_segment_fixed_size: 0
    .sgpr_count:     24
    .sgpr_spill_count: 0
    .symbol:         _ZN9rocsparseL29csrmvn_lrb_medium_rows_kernelILj256EiiaaffEEvbT0_PT1_S3_jNS_24const_host_device_scalarIT5_EEPKS1_PKS2_PKT2_PKT3_S6_PT4_21rocsparse_index_base_b.kd
    .uniform_work_group_size: 1
    .uses_dynamic_stack: false
    .vgpr_count:     10
    .vgpr_spill_count: 0
    .wavefront_size: 64
  - .agpr_count:     0
    .args:
      - .offset:         0
        .size:           1
        .value_kind:     by_value
      - .offset:         4
        .size:           4
        .value_kind:     by_value
      - .address_space:  global
        .offset:         8
        .size:           8
        .value_kind:     global_buffer
      - .actual_access:  read_only
        .address_space:  global
        .offset:         16
        .size:           8
        .value_kind:     global_buffer
      - .actual_access:  read_only
        .address_space:  global
        .offset:         24
        .size:           8
        .value_kind:     global_buffer
      - .offset:         32
        .size:           4
        .value_kind:     by_value
      - .offset:         40
        .size:           8
        .value_kind:     by_value
      - .actual_access:  read_only
        .address_space:  global
        .offset:         48
        .size:           8
        .value_kind:     global_buffer
      - .actual_access:  read_only
        .address_space:  global
        .offset:         56
        .size:           8
        .value_kind:     global_buffer
      - .actual_access:  read_only
        .address_space:  global
        .offset:         64
        .size:           8
        .value_kind:     global_buffer
      - .actual_access:  read_only
        .address_space:  global
        .offset:         72
        .size:           8
        .value_kind:     global_buffer
      - .offset:         80
        .size:           8
        .value_kind:     by_value
      - .address_space:  global
        .offset:         88
        .size:           8
        .value_kind:     global_buffer
      - .offset:         96
        .size:           4
        .value_kind:     by_value
      - .offset:         100
        .size:           1
        .value_kind:     by_value
    .group_segment_fixed_size: 1024
    .kernarg_segment_align: 8
    .kernarg_segment_size: 104
    .language:       OpenCL C
    .language_version:
      - 2
      - 0
    .max_flat_workgroup_size: 256
    .name:           _ZN9rocsparseL27csrmvn_lrb_long_rows_kernelIiiaaffEEvbT_PjPT0_S4_jNS_24const_host_device_scalarIT4_EEPKS1_PKS3_PKT1_PKT2_S7_PT3_21rocsparse_index_base_b
    .private_segment_fixed_size: 0
    .sgpr_count:     32
    .sgpr_spill_count: 0
    .symbol:         _ZN9rocsparseL27csrmvn_lrb_long_rows_kernelIiiaaffEEvbT_PjPT0_S4_jNS_24const_host_device_scalarIT4_EEPKS1_PKS3_PKT1_PKT2_S7_PT3_21rocsparse_index_base_b.kd
    .uniform_work_group_size: 1
    .uses_dynamic_stack: false
    .vgpr_count:     10
    .vgpr_spill_count: 0
    .wavefront_size: 64
  - .agpr_count:     0
    .args:
      - .offset:         0
        .size:           1
        .value_kind:     by_value
      - .offset:         8
        .size:           8
        .value_kind:     by_value
      - .actual_access:  read_only
        .address_space:  global
        .offset:         16
        .size:           8
        .value_kind:     global_buffer
      - .actual_access:  read_only
        .address_space:  global
        .offset:         24
        .size:           8
        .value_kind:     global_buffer
      - .offset:         32
        .size:           4
        .value_kind:     by_value
      - .offset:         40
        .size:           8
        .value_kind:     by_value
      - .actual_access:  read_only
        .address_space:  global
        .offset:         48
        .size:           8
        .value_kind:     global_buffer
      - .actual_access:  read_only
        .address_space:  global
        .offset:         56
        .size:           8
        .value_kind:     global_buffer
      - .actual_access:  read_only
        .address_space:  global
        .offset:         64
        .size:           8
        .value_kind:     global_buffer
      - .actual_access:  read_only
        .address_space:  global
        .offset:         72
        .size:           8
        .value_kind:     global_buffer
      - .offset:         80
        .size:           8
        .value_kind:     by_value
      - .address_space:  global
        .offset:         88
        .size:           8
        .value_kind:     global_buffer
      - .offset:         96
        .size:           4
        .value_kind:     by_value
      - .offset:         100
        .size:           1
        .value_kind:     by_value
    .group_segment_fixed_size: 0
    .kernarg_segment_align: 8
    .kernarg_segment_size: 104
    .language:       OpenCL C
    .language_version:
      - 2
      - 0
    .max_flat_workgroup_size: 256
    .name:           _ZN9rocsparseL28csrmvn_lrb_short_rows_kernelIliaaffEEvbT_PT0_S3_jNS_24const_host_device_scalarIT4_EEPKS1_PKS2_PKT1_PKT2_S6_PT3_21rocsparse_index_base_b
    .private_segment_fixed_size: 0
    .sgpr_count:     30
    .sgpr_spill_count: 0
    .symbol:         _ZN9rocsparseL28csrmvn_lrb_short_rows_kernelIliaaffEEvbT_PT0_S3_jNS_24const_host_device_scalarIT4_EEPKS1_PKS2_PKT1_PKT2_S6_PT3_21rocsparse_index_base_b.kd
    .uniform_work_group_size: 1
    .uses_dynamic_stack: false
    .vgpr_count:     10
    .vgpr_spill_count: 0
    .wavefront_size: 64
  - .agpr_count:     0
    .args:
      - .offset:         0
        .size:           1
        .value_kind:     by_value
      - .offset:         8
        .size:           8
        .value_kind:     by_value
      - .actual_access:  read_only
        .address_space:  global
        .offset:         16
        .size:           8
        .value_kind:     global_buffer
      - .actual_access:  read_only
        .address_space:  global
        .offset:         24
        .size:           8
        .value_kind:     global_buffer
      - .offset:         32
        .size:           4
        .value_kind:     by_value
      - .offset:         40
        .size:           8
        .value_kind:     by_value
      - .actual_access:  read_only
        .address_space:  global
        .offset:         48
        .size:           8
        .value_kind:     global_buffer
      - .actual_access:  read_only
        .address_space:  global
        .offset:         56
        .size:           8
        .value_kind:     global_buffer
      - .actual_access:  read_only
        .address_space:  global
        .offset:         64
        .size:           8
        .value_kind:     global_buffer
      - .actual_access:  read_only
        .address_space:  global
        .offset:         72
        .size:           8
        .value_kind:     global_buffer
      - .offset:         80
        .size:           8
        .value_kind:     by_value
      - .address_space:  global
        .offset:         88
        .size:           8
        .value_kind:     global_buffer
      - .offset:         96
        .size:           4
        .value_kind:     by_value
      - .offset:         100
        .size:           1
        .value_kind:     by_value
    .group_segment_fixed_size: 4096
    .kernarg_segment_align: 8
    .kernarg_segment_size: 104
    .language:       OpenCL C
    .language_version:
      - 2
      - 0
    .max_flat_workgroup_size: 256
    .name:           _ZN9rocsparseL30csrmvn_lrb_short_rows_2_kernelIliaaffEEvbT_PT0_S3_jNS_24const_host_device_scalarIT4_EEPKS1_PKS2_PKT1_PKT2_S6_PT3_21rocsparse_index_base_b
    .private_segment_fixed_size: 0
    .sgpr_count:     32
    .sgpr_spill_count: 0
    .symbol:         _ZN9rocsparseL30csrmvn_lrb_short_rows_2_kernelIliaaffEEvbT_PT0_S3_jNS_24const_host_device_scalarIT4_EEPKS1_PKS2_PKT1_PKT2_S6_PT3_21rocsparse_index_base_b.kd
    .uniform_work_group_size: 1
    .uses_dynamic_stack: false
    .vgpr_count:     10
    .vgpr_spill_count: 0
    .wavefront_size: 64
  - .agpr_count:     0
    .args:
      - .offset:         0
        .size:           1
        .value_kind:     by_value
      - .offset:         8
        .size:           8
        .value_kind:     by_value
      - .offset:         16
        .size:           8
        .value_kind:     by_value
      - .actual_access:  read_only
        .address_space:  global
        .offset:         24
        .size:           8
        .value_kind:     global_buffer
      - .actual_access:  read_only
        .address_space:  global
        .offset:         32
        .size:           8
        .value_kind:     global_buffer
      - .offset:         40
        .size:           4
        .value_kind:     by_value
      - .offset:         48
        .size:           8
        .value_kind:     by_value
      - .actual_access:  read_only
        .address_space:  global
        .offset:         56
        .size:           8
        .value_kind:     global_buffer
      - .actual_access:  read_only
        .address_space:  global
        .offset:         64
        .size:           8
        .value_kind:     global_buffer
      - .actual_access:  read_only
        .address_space:  global
        .offset:         72
        .size:           8
        .value_kind:     global_buffer
      - .actual_access:  read_only
        .address_space:  global
        .offset:         80
        .size:           8
        .value_kind:     global_buffer
      - .offset:         88
        .size:           8
        .value_kind:     by_value
      - .address_space:  global
        .offset:         96
        .size:           8
        .value_kind:     global_buffer
      - .offset:         104
        .size:           4
        .value_kind:     by_value
      - .offset:         108
        .size:           1
        .value_kind:     by_value
    .group_segment_fixed_size: 0
    .kernarg_segment_align: 8
    .kernarg_segment_size: 112
    .language:       OpenCL C
    .language_version:
      - 2
      - 0
    .max_flat_workgroup_size: 256
    .name:           _ZN9rocsparseL41csrmvn_lrb_medium_rows_warp_reduce_kernelILj256ELj32EliaaffEEvbT1_lPT2_S3_jNS_24const_host_device_scalarIT6_EEPKS1_PKS2_PKT3_PKT4_S6_PT5_21rocsparse_index_base_b
    .private_segment_fixed_size: 0
    .sgpr_count:     22
    .sgpr_spill_count: 0
    .symbol:         _ZN9rocsparseL41csrmvn_lrb_medium_rows_warp_reduce_kernelILj256ELj32EliaaffEEvbT1_lPT2_S3_jNS_24const_host_device_scalarIT6_EEPKS1_PKS2_PKT3_PKT4_S6_PT5_21rocsparse_index_base_b.kd
    .uniform_work_group_size: 1
    .uses_dynamic_stack: false
    .vgpr_count:     16
    .vgpr_spill_count: 0
    .wavefront_size: 64
  - .agpr_count:     0
    .args:
      - .offset:         0
        .size:           1
        .value_kind:     by_value
      - .offset:         8
        .size:           8
        .value_kind:     by_value
      - .offset:         16
        .size:           8
        .value_kind:     by_value
      - .actual_access:  read_only
        .address_space:  global
        .offset:         24
        .size:           8
        .value_kind:     global_buffer
      - .actual_access:  read_only
        .address_space:  global
        .offset:         32
        .size:           8
        .value_kind:     global_buffer
      - .offset:         40
        .size:           4
        .value_kind:     by_value
      - .offset:         48
        .size:           8
        .value_kind:     by_value
      - .actual_access:  read_only
        .address_space:  global
        .offset:         56
        .size:           8
        .value_kind:     global_buffer
      - .actual_access:  read_only
        .address_space:  global
        .offset:         64
        .size:           8
        .value_kind:     global_buffer
      - .actual_access:  read_only
        .address_space:  global
        .offset:         72
        .size:           8
        .value_kind:     global_buffer
      - .actual_access:  read_only
        .address_space:  global
        .offset:         80
        .size:           8
        .value_kind:     global_buffer
      - .offset:         88
        .size:           8
        .value_kind:     by_value
      - .address_space:  global
        .offset:         96
        .size:           8
        .value_kind:     global_buffer
      - .offset:         104
        .size:           4
        .value_kind:     by_value
      - .offset:         108
        .size:           1
        .value_kind:     by_value
    .group_segment_fixed_size: 0
    .kernarg_segment_align: 8
    .kernarg_segment_size: 112
    .language:       OpenCL C
    .language_version:
      - 2
      - 0
    .max_flat_workgroup_size: 256
    .name:           _ZN9rocsparseL41csrmvn_lrb_medium_rows_warp_reduce_kernelILj256ELj64EliaaffEEvbT1_lPT2_S3_jNS_24const_host_device_scalarIT6_EEPKS1_PKS2_PKT3_PKT4_S6_PT5_21rocsparse_index_base_b
    .private_segment_fixed_size: 0
    .sgpr_count:     22
    .sgpr_spill_count: 0
    .symbol:         _ZN9rocsparseL41csrmvn_lrb_medium_rows_warp_reduce_kernelILj256ELj64EliaaffEEvbT1_lPT2_S3_jNS_24const_host_device_scalarIT6_EEPKS1_PKS2_PKT3_PKT4_S6_PT5_21rocsparse_index_base_b.kd
    .uniform_work_group_size: 1
    .uses_dynamic_stack: false
    .vgpr_count:     16
    .vgpr_spill_count: 0
    .wavefront_size: 64
  - .agpr_count:     0
    .args:
      - .offset:         0
        .size:           1
        .value_kind:     by_value
      - .offset:         8
        .size:           8
        .value_kind:     by_value
      - .actual_access:  read_only
        .address_space:  global
        .offset:         16
        .size:           8
        .value_kind:     global_buffer
      - .actual_access:  read_only
        .address_space:  global
        .offset:         24
        .size:           8
        .value_kind:     global_buffer
      - .offset:         32
        .size:           4
        .value_kind:     by_value
      - .offset:         40
        .size:           8
        .value_kind:     by_value
      - .actual_access:  read_only
        .address_space:  global
        .offset:         48
        .size:           8
        .value_kind:     global_buffer
      - .actual_access:  read_only
        .address_space:  global
        .offset:         56
        .size:           8
        .value_kind:     global_buffer
      - .actual_access:  read_only
        .address_space:  global
        .offset:         64
        .size:           8
        .value_kind:     global_buffer
      - .actual_access:  read_only
        .address_space:  global
        .offset:         72
        .size:           8
        .value_kind:     global_buffer
      - .offset:         80
        .size:           8
        .value_kind:     by_value
      - .address_space:  global
        .offset:         88
        .size:           8
        .value_kind:     global_buffer
      - .offset:         96
        .size:           4
        .value_kind:     by_value
      - .offset:         100
        .size:           1
        .value_kind:     by_value
    .group_segment_fixed_size: 1024
    .kernarg_segment_align: 8
    .kernarg_segment_size: 104
    .language:       OpenCL C
    .language_version:
      - 2
      - 0
    .max_flat_workgroup_size: 256
    .name:           _ZN9rocsparseL29csrmvn_lrb_medium_rows_kernelILj256EliaaffEEvbT0_PT1_S3_jNS_24const_host_device_scalarIT5_EEPKS1_PKS2_PKT2_PKT3_S6_PT4_21rocsparse_index_base_b
    .private_segment_fixed_size: 0
    .sgpr_count:     26
    .sgpr_spill_count: 0
    .symbol:         _ZN9rocsparseL29csrmvn_lrb_medium_rows_kernelILj256EliaaffEEvbT0_PT1_S3_jNS_24const_host_device_scalarIT5_EEPKS1_PKS2_PKT2_PKT3_S6_PT4_21rocsparse_index_base_b.kd
    .uniform_work_group_size: 1
    .uses_dynamic_stack: false
    .vgpr_count:     12
    .vgpr_spill_count: 0
    .wavefront_size: 64
  - .agpr_count:     0
    .args:
      - .offset:         0
        .size:           1
        .value_kind:     by_value
      - .offset:         8
        .size:           8
        .value_kind:     by_value
      - .address_space:  global
        .offset:         16
        .size:           8
        .value_kind:     global_buffer
      - .actual_access:  read_only
        .address_space:  global
        .offset:         24
        .size:           8
        .value_kind:     global_buffer
      - .actual_access:  read_only
        .address_space:  global
        .offset:         32
        .size:           8
        .value_kind:     global_buffer
      - .offset:         40
        .size:           4
        .value_kind:     by_value
      - .offset:         48
        .size:           8
        .value_kind:     by_value
      - .actual_access:  read_only
        .address_space:  global
        .offset:         56
        .size:           8
        .value_kind:     global_buffer
      - .actual_access:  read_only
        .address_space:  global
        .offset:         64
        .size:           8
        .value_kind:     global_buffer
      - .actual_access:  read_only
        .address_space:  global
        .offset:         72
        .size:           8
        .value_kind:     global_buffer
      - .actual_access:  read_only
        .address_space:  global
        .offset:         80
        .size:           8
        .value_kind:     global_buffer
      - .offset:         88
        .size:           8
        .value_kind:     by_value
      - .address_space:  global
        .offset:         96
        .size:           8
        .value_kind:     global_buffer
      - .offset:         104
        .size:           4
        .value_kind:     by_value
      - .offset:         108
        .size:           1
        .value_kind:     by_value
    .group_segment_fixed_size: 1024
    .kernarg_segment_align: 8
    .kernarg_segment_size: 112
    .language:       OpenCL C
    .language_version:
      - 2
      - 0
    .max_flat_workgroup_size: 256
    .name:           _ZN9rocsparseL27csrmvn_lrb_long_rows_kernelIliaaffEEvbT_PjPT0_S4_jNS_24const_host_device_scalarIT4_EEPKS1_PKS3_PKT1_PKT2_S7_PT3_21rocsparse_index_base_b
    .private_segment_fixed_size: 0
    .sgpr_count:     34
    .sgpr_spill_count: 0
    .symbol:         _ZN9rocsparseL27csrmvn_lrb_long_rows_kernelIliaaffEEvbT_PjPT0_S4_jNS_24const_host_device_scalarIT4_EEPKS1_PKS3_PKT1_PKT2_S7_PT3_21rocsparse_index_base_b.kd
    .uniform_work_group_size: 1
    .uses_dynamic_stack: false
    .vgpr_count:     12
    .vgpr_spill_count: 0
    .wavefront_size: 64
  - .agpr_count:     0
    .args:
      - .offset:         0
        .size:           1
        .value_kind:     by_value
      - .offset:         8
        .size:           8
        .value_kind:     by_value
      - .actual_access:  read_only
        .address_space:  global
        .offset:         16
        .size:           8
        .value_kind:     global_buffer
      - .actual_access:  read_only
        .address_space:  global
        .offset:         24
        .size:           8
        .value_kind:     global_buffer
      - .offset:         32
        .size:           4
        .value_kind:     by_value
      - .offset:         40
        .size:           8
        .value_kind:     by_value
      - .actual_access:  read_only
        .address_space:  global
        .offset:         48
        .size:           8
        .value_kind:     global_buffer
      - .actual_access:  read_only
        .address_space:  global
        .offset:         56
        .size:           8
        .value_kind:     global_buffer
      - .actual_access:  read_only
        .address_space:  global
        .offset:         64
        .size:           8
        .value_kind:     global_buffer
      - .actual_access:  read_only
        .address_space:  global
        .offset:         72
        .size:           8
        .value_kind:     global_buffer
      - .offset:         80
        .size:           8
        .value_kind:     by_value
      - .address_space:  global
        .offset:         88
        .size:           8
        .value_kind:     global_buffer
      - .offset:         96
        .size:           4
        .value_kind:     by_value
      - .offset:         100
        .size:           1
        .value_kind:     by_value
    .group_segment_fixed_size: 0
    .kernarg_segment_align: 8
    .kernarg_segment_size: 104
    .language:       OpenCL C
    .language_version:
      - 2
      - 0
    .max_flat_workgroup_size: 256
    .name:           _ZN9rocsparseL28csrmvn_lrb_short_rows_kernelIllaaffEEvbT_PT0_S3_jNS_24const_host_device_scalarIT4_EEPKS1_PKS2_PKT1_PKT2_S6_PT3_21rocsparse_index_base_b
    .private_segment_fixed_size: 0
    .sgpr_count:     33
    .sgpr_spill_count: 0
    .symbol:         _ZN9rocsparseL28csrmvn_lrb_short_rows_kernelIllaaffEEvbT_PT0_S3_jNS_24const_host_device_scalarIT4_EEPKS1_PKS2_PKT1_PKT2_S6_PT3_21rocsparse_index_base_b.kd
    .uniform_work_group_size: 1
    .uses_dynamic_stack: false
    .vgpr_count:     12
    .vgpr_spill_count: 0
    .wavefront_size: 64
  - .agpr_count:     0
    .args:
      - .offset:         0
        .size:           1
        .value_kind:     by_value
      - .offset:         8
        .size:           8
        .value_kind:     by_value
      - .actual_access:  read_only
        .address_space:  global
        .offset:         16
        .size:           8
        .value_kind:     global_buffer
      - .actual_access:  read_only
        .address_space:  global
        .offset:         24
        .size:           8
        .value_kind:     global_buffer
      - .offset:         32
        .size:           4
        .value_kind:     by_value
      - .offset:         40
        .size:           8
        .value_kind:     by_value
      - .actual_access:  read_only
        .address_space:  global
        .offset:         48
        .size:           8
        .value_kind:     global_buffer
      - .actual_access:  read_only
        .address_space:  global
        .offset:         56
        .size:           8
        .value_kind:     global_buffer
      - .actual_access:  read_only
        .address_space:  global
        .offset:         64
        .size:           8
        .value_kind:     global_buffer
      - .actual_access:  read_only
        .address_space:  global
        .offset:         72
        .size:           8
        .value_kind:     global_buffer
      - .offset:         80
        .size:           8
        .value_kind:     by_value
      - .address_space:  global
        .offset:         88
        .size:           8
        .value_kind:     global_buffer
      - .offset:         96
        .size:           4
        .value_kind:     by_value
      - .offset:         100
        .size:           1
        .value_kind:     by_value
    .group_segment_fixed_size: 4096
    .kernarg_segment_align: 8
    .kernarg_segment_size: 104
    .language:       OpenCL C
    .language_version:
      - 2
      - 0
    .max_flat_workgroup_size: 256
    .name:           _ZN9rocsparseL30csrmvn_lrb_short_rows_2_kernelIllaaffEEvbT_PT0_S3_jNS_24const_host_device_scalarIT4_EEPKS1_PKS2_PKT1_PKT2_S6_PT3_21rocsparse_index_base_b
    .private_segment_fixed_size: 0
    .sgpr_count:     34
    .sgpr_spill_count: 0
    .symbol:         _ZN9rocsparseL30csrmvn_lrb_short_rows_2_kernelIllaaffEEvbT_PT0_S3_jNS_24const_host_device_scalarIT4_EEPKS1_PKS2_PKT1_PKT2_S6_PT3_21rocsparse_index_base_b.kd
    .uniform_work_group_size: 1
    .uses_dynamic_stack: false
    .vgpr_count:     10
    .vgpr_spill_count: 0
    .wavefront_size: 64
  - .agpr_count:     0
    .args:
      - .offset:         0
        .size:           1
        .value_kind:     by_value
      - .offset:         8
        .size:           8
        .value_kind:     by_value
      - .offset:         16
        .size:           8
        .value_kind:     by_value
      - .actual_access:  read_only
        .address_space:  global
        .offset:         24
        .size:           8
        .value_kind:     global_buffer
      - .actual_access:  read_only
        .address_space:  global
        .offset:         32
        .size:           8
        .value_kind:     global_buffer
      - .offset:         40
        .size:           4
        .value_kind:     by_value
      - .offset:         48
        .size:           8
        .value_kind:     by_value
      - .actual_access:  read_only
        .address_space:  global
        .offset:         56
        .size:           8
        .value_kind:     global_buffer
      - .actual_access:  read_only
        .address_space:  global
        .offset:         64
        .size:           8
        .value_kind:     global_buffer
      - .actual_access:  read_only
        .address_space:  global
        .offset:         72
        .size:           8
        .value_kind:     global_buffer
      - .actual_access:  read_only
        .address_space:  global
        .offset:         80
        .size:           8
        .value_kind:     global_buffer
      - .offset:         88
        .size:           8
        .value_kind:     by_value
      - .address_space:  global
        .offset:         96
        .size:           8
        .value_kind:     global_buffer
      - .offset:         104
        .size:           4
        .value_kind:     by_value
      - .offset:         108
        .size:           1
        .value_kind:     by_value
    .group_segment_fixed_size: 0
    .kernarg_segment_align: 8
    .kernarg_segment_size: 112
    .language:       OpenCL C
    .language_version:
      - 2
      - 0
    .max_flat_workgroup_size: 256
    .name:           _ZN9rocsparseL41csrmvn_lrb_medium_rows_warp_reduce_kernelILj256ELj32EllaaffEEvbT1_lPT2_S3_jNS_24const_host_device_scalarIT6_EEPKS1_PKS2_PKT3_PKT4_S6_PT5_21rocsparse_index_base_b
    .private_segment_fixed_size: 0
    .sgpr_count:     22
    .sgpr_spill_count: 0
    .symbol:         _ZN9rocsparseL41csrmvn_lrb_medium_rows_warp_reduce_kernelILj256ELj32EllaaffEEvbT1_lPT2_S3_jNS_24const_host_device_scalarIT6_EEPKS1_PKS2_PKT3_PKT4_S6_PT5_21rocsparse_index_base_b.kd
    .uniform_work_group_size: 1
    .uses_dynamic_stack: false
    .vgpr_count:     18
    .vgpr_spill_count: 0
    .wavefront_size: 64
  - .agpr_count:     0
    .args:
      - .offset:         0
        .size:           1
        .value_kind:     by_value
      - .offset:         8
        .size:           8
        .value_kind:     by_value
      - .offset:         16
        .size:           8
        .value_kind:     by_value
      - .actual_access:  read_only
        .address_space:  global
        .offset:         24
        .size:           8
        .value_kind:     global_buffer
      - .actual_access:  read_only
        .address_space:  global
        .offset:         32
        .size:           8
        .value_kind:     global_buffer
      - .offset:         40
        .size:           4
        .value_kind:     by_value
      - .offset:         48
        .size:           8
        .value_kind:     by_value
      - .actual_access:  read_only
        .address_space:  global
        .offset:         56
        .size:           8
        .value_kind:     global_buffer
      - .actual_access:  read_only
        .address_space:  global
        .offset:         64
        .size:           8
        .value_kind:     global_buffer
      - .actual_access:  read_only
        .address_space:  global
        .offset:         72
        .size:           8
        .value_kind:     global_buffer
      - .actual_access:  read_only
        .address_space:  global
        .offset:         80
        .size:           8
        .value_kind:     global_buffer
      - .offset:         88
        .size:           8
        .value_kind:     by_value
      - .address_space:  global
        .offset:         96
        .size:           8
        .value_kind:     global_buffer
      - .offset:         104
        .size:           4
        .value_kind:     by_value
      - .offset:         108
        .size:           1
        .value_kind:     by_value
    .group_segment_fixed_size: 0
    .kernarg_segment_align: 8
    .kernarg_segment_size: 112
    .language:       OpenCL C
    .language_version:
      - 2
      - 0
    .max_flat_workgroup_size: 256
    .name:           _ZN9rocsparseL41csrmvn_lrb_medium_rows_warp_reduce_kernelILj256ELj64EllaaffEEvbT1_lPT2_S3_jNS_24const_host_device_scalarIT6_EEPKS1_PKS2_PKT3_PKT4_S6_PT5_21rocsparse_index_base_b
    .private_segment_fixed_size: 0
    .sgpr_count:     22
    .sgpr_spill_count: 0
    .symbol:         _ZN9rocsparseL41csrmvn_lrb_medium_rows_warp_reduce_kernelILj256ELj64EllaaffEEvbT1_lPT2_S3_jNS_24const_host_device_scalarIT6_EEPKS1_PKS2_PKT3_PKT4_S6_PT5_21rocsparse_index_base_b.kd
    .uniform_work_group_size: 1
    .uses_dynamic_stack: false
    .vgpr_count:     18
    .vgpr_spill_count: 0
    .wavefront_size: 64
  - .agpr_count:     0
    .args:
      - .offset:         0
        .size:           1
        .value_kind:     by_value
      - .offset:         8
        .size:           8
        .value_kind:     by_value
      - .actual_access:  read_only
        .address_space:  global
        .offset:         16
        .size:           8
        .value_kind:     global_buffer
      - .actual_access:  read_only
        .address_space:  global
        .offset:         24
        .size:           8
        .value_kind:     global_buffer
      - .offset:         32
        .size:           4
        .value_kind:     by_value
      - .offset:         40
        .size:           8
        .value_kind:     by_value
      - .actual_access:  read_only
        .address_space:  global
        .offset:         48
        .size:           8
        .value_kind:     global_buffer
      - .actual_access:  read_only
        .address_space:  global
        .offset:         56
        .size:           8
        .value_kind:     global_buffer
      - .actual_access:  read_only
        .address_space:  global
        .offset:         64
        .size:           8
        .value_kind:     global_buffer
      - .actual_access:  read_only
        .address_space:  global
        .offset:         72
        .size:           8
        .value_kind:     global_buffer
      - .offset:         80
        .size:           8
        .value_kind:     by_value
      - .address_space:  global
        .offset:         88
        .size:           8
        .value_kind:     global_buffer
      - .offset:         96
        .size:           4
        .value_kind:     by_value
      - .offset:         100
        .size:           1
        .value_kind:     by_value
    .group_segment_fixed_size: 1024
    .kernarg_segment_align: 8
    .kernarg_segment_size: 104
    .language:       OpenCL C
    .language_version:
      - 2
      - 0
    .max_flat_workgroup_size: 256
    .name:           _ZN9rocsparseL29csrmvn_lrb_medium_rows_kernelILj256EllaaffEEvbT0_PT1_S3_jNS_24const_host_device_scalarIT5_EEPKS1_PKS2_PKT2_PKT3_S6_PT4_21rocsparse_index_base_b
    .private_segment_fixed_size: 0
    .sgpr_count:     26
    .sgpr_spill_count: 0
    .symbol:         _ZN9rocsparseL29csrmvn_lrb_medium_rows_kernelILj256EllaaffEEvbT0_PT1_S3_jNS_24const_host_device_scalarIT5_EEPKS1_PKS2_PKT2_PKT3_S6_PT4_21rocsparse_index_base_b.kd
    .uniform_work_group_size: 1
    .uses_dynamic_stack: false
    .vgpr_count:     14
    .vgpr_spill_count: 0
    .wavefront_size: 64
  - .agpr_count:     0
    .args:
      - .offset:         0
        .size:           1
        .value_kind:     by_value
      - .offset:         8
        .size:           8
        .value_kind:     by_value
      - .address_space:  global
        .offset:         16
        .size:           8
        .value_kind:     global_buffer
      - .actual_access:  read_only
        .address_space:  global
        .offset:         24
        .size:           8
        .value_kind:     global_buffer
      - .actual_access:  read_only
        .address_space:  global
        .offset:         32
        .size:           8
        .value_kind:     global_buffer
      - .offset:         40
        .size:           4
        .value_kind:     by_value
      - .offset:         48
        .size:           8
        .value_kind:     by_value
      - .actual_access:  read_only
        .address_space:  global
        .offset:         56
        .size:           8
        .value_kind:     global_buffer
      - .actual_access:  read_only
        .address_space:  global
        .offset:         64
        .size:           8
        .value_kind:     global_buffer
      - .actual_access:  read_only
        .address_space:  global
        .offset:         72
        .size:           8
        .value_kind:     global_buffer
      - .actual_access:  read_only
        .address_space:  global
        .offset:         80
        .size:           8
        .value_kind:     global_buffer
      - .offset:         88
        .size:           8
        .value_kind:     by_value
      - .address_space:  global
        .offset:         96
        .size:           8
        .value_kind:     global_buffer
      - .offset:         104
        .size:           4
        .value_kind:     by_value
      - .offset:         108
        .size:           1
        .value_kind:     by_value
    .group_segment_fixed_size: 1024
    .kernarg_segment_align: 8
    .kernarg_segment_size: 112
    .language:       OpenCL C
    .language_version:
      - 2
      - 0
    .max_flat_workgroup_size: 256
    .name:           _ZN9rocsparseL27csrmvn_lrb_long_rows_kernelIllaaffEEvbT_PjPT0_S4_jNS_24const_host_device_scalarIT4_EEPKS1_PKS3_PKT1_PKT2_S7_PT3_21rocsparse_index_base_b
    .private_segment_fixed_size: 0
    .sgpr_count:     34
    .sgpr_spill_count: 0
    .symbol:         _ZN9rocsparseL27csrmvn_lrb_long_rows_kernelIllaaffEEvbT_PjPT0_S4_jNS_24const_host_device_scalarIT4_EEPKS1_PKS3_PKT1_PKT2_S7_PT3_21rocsparse_index_base_b.kd
    .uniform_work_group_size: 1
    .uses_dynamic_stack: false
    .vgpr_count:     14
    .vgpr_spill_count: 0
    .wavefront_size: 64
  - .agpr_count:     0
    .args:
      - .offset:         0
        .size:           1
        .value_kind:     by_value
      - .offset:         4
        .size:           4
        .value_kind:     by_value
      - .actual_access:  read_only
        .address_space:  global
        .offset:         8
        .size:           8
        .value_kind:     global_buffer
      - .actual_access:  read_only
        .address_space:  global
        .offset:         16
        .size:           8
        .value_kind:     global_buffer
      - .offset:         24
        .size:           4
        .value_kind:     by_value
      - .offset:         32
        .size:           8
        .value_kind:     by_value
      - .actual_access:  read_only
        .address_space:  global
        .offset:         40
        .size:           8
        .value_kind:     global_buffer
      - .actual_access:  read_only
        .address_space:  global
        .offset:         48
        .size:           8
        .value_kind:     global_buffer
      - .actual_access:  read_only
        .address_space:  global
        .offset:         56
        .size:           8
        .value_kind:     global_buffer
      - .actual_access:  read_only
        .address_space:  global
        .offset:         64
        .size:           8
        .value_kind:     global_buffer
      - .offset:         72
        .size:           8
        .value_kind:     by_value
      - .address_space:  global
        .offset:         80
        .size:           8
        .value_kind:     global_buffer
      - .offset:         88
        .size:           4
        .value_kind:     by_value
      - .offset:         92
        .size:           1
        .value_kind:     by_value
    .group_segment_fixed_size: 0
    .kernarg_segment_align: 8
    .kernarg_segment_size: 96
    .language:       OpenCL C
    .language_version:
      - 2
      - 0
    .max_flat_workgroup_size: 256
    .name:           _ZN9rocsparseL28csrmvn_lrb_short_rows_kernelIiiDF16_DF16_ffEEvbT_PT0_S3_jNS_24const_host_device_scalarIT4_EEPKS1_PKS2_PKT1_PKT2_S6_PT3_21rocsparse_index_base_b
    .private_segment_fixed_size: 0
    .sgpr_count:     29
    .sgpr_spill_count: 0
    .symbol:         _ZN9rocsparseL28csrmvn_lrb_short_rows_kernelIiiDF16_DF16_ffEEvbT_PT0_S3_jNS_24const_host_device_scalarIT4_EEPKS1_PKS2_PKT1_PKT2_S6_PT3_21rocsparse_index_base_b.kd
    .uniform_work_group_size: 1
    .uses_dynamic_stack: false
    .vgpr_count:     11
    .vgpr_spill_count: 0
    .wavefront_size: 64
  - .agpr_count:     0
    .args:
      - .offset:         0
        .size:           1
        .value_kind:     by_value
      - .offset:         4
        .size:           4
        .value_kind:     by_value
      - .actual_access:  read_only
        .address_space:  global
        .offset:         8
        .size:           8
        .value_kind:     global_buffer
      - .actual_access:  read_only
        .address_space:  global
        .offset:         16
        .size:           8
        .value_kind:     global_buffer
      - .offset:         24
        .size:           4
        .value_kind:     by_value
      - .offset:         32
        .size:           8
        .value_kind:     by_value
      - .actual_access:  read_only
        .address_space:  global
        .offset:         40
        .size:           8
        .value_kind:     global_buffer
      - .actual_access:  read_only
        .address_space:  global
        .offset:         48
        .size:           8
        .value_kind:     global_buffer
      - .actual_access:  read_only
        .address_space:  global
        .offset:         56
        .size:           8
        .value_kind:     global_buffer
      - .actual_access:  read_only
        .address_space:  global
        .offset:         64
        .size:           8
        .value_kind:     global_buffer
      - .offset:         72
        .size:           8
        .value_kind:     by_value
      - .address_space:  global
        .offset:         80
        .size:           8
        .value_kind:     global_buffer
      - .offset:         88
        .size:           4
        .value_kind:     by_value
      - .offset:         92
        .size:           1
        .value_kind:     by_value
    .group_segment_fixed_size: 4096
    .kernarg_segment_align: 8
    .kernarg_segment_size: 96
    .language:       OpenCL C
    .language_version:
      - 2
      - 0
    .max_flat_workgroup_size: 256
    .name:           _ZN9rocsparseL30csrmvn_lrb_short_rows_2_kernelIiiDF16_DF16_ffEEvbT_PT0_S3_jNS_24const_host_device_scalarIT4_EEPKS1_PKS2_PKT1_PKT2_S6_PT3_21rocsparse_index_base_b
    .private_segment_fixed_size: 0
    .sgpr_count:     32
    .sgpr_spill_count: 0
    .symbol:         _ZN9rocsparseL30csrmvn_lrb_short_rows_2_kernelIiiDF16_DF16_ffEEvbT_PT0_S3_jNS_24const_host_device_scalarIT4_EEPKS1_PKS2_PKT1_PKT2_S6_PT3_21rocsparse_index_base_b.kd
    .uniform_work_group_size: 1
    .uses_dynamic_stack: false
    .vgpr_count:     8
    .vgpr_spill_count: 0
    .wavefront_size: 64
  - .agpr_count:     0
    .args:
      - .offset:         0
        .size:           1
        .value_kind:     by_value
      - .offset:         4
        .size:           4
        .value_kind:     by_value
      - .offset:         8
        .size:           8
        .value_kind:     by_value
      - .actual_access:  read_only
        .address_space:  global
        .offset:         16
        .size:           8
        .value_kind:     global_buffer
      - .actual_access:  read_only
        .address_space:  global
        .offset:         24
        .size:           8
        .value_kind:     global_buffer
      - .offset:         32
        .size:           4
        .value_kind:     by_value
      - .offset:         40
        .size:           8
        .value_kind:     by_value
      - .actual_access:  read_only
        .address_space:  global
        .offset:         48
        .size:           8
        .value_kind:     global_buffer
      - .actual_access:  read_only
        .address_space:  global
        .offset:         56
        .size:           8
        .value_kind:     global_buffer
      - .actual_access:  read_only
        .address_space:  global
        .offset:         64
        .size:           8
        .value_kind:     global_buffer
      - .actual_access:  read_only
        .address_space:  global
        .offset:         72
        .size:           8
        .value_kind:     global_buffer
      - .offset:         80
        .size:           8
        .value_kind:     by_value
      - .address_space:  global
        .offset:         88
        .size:           8
        .value_kind:     global_buffer
      - .offset:         96
        .size:           4
        .value_kind:     by_value
      - .offset:         100
        .size:           1
        .value_kind:     by_value
    .group_segment_fixed_size: 0
    .kernarg_segment_align: 8
    .kernarg_segment_size: 104
    .language:       OpenCL C
    .language_version:
      - 2
      - 0
    .max_flat_workgroup_size: 256
    .name:           _ZN9rocsparseL41csrmvn_lrb_medium_rows_warp_reduce_kernelILj256ELj32EiiDF16_DF16_ffEEvbT1_lPT2_S3_jNS_24const_host_device_scalarIT6_EEPKS1_PKS2_PKT3_PKT4_S6_PT5_21rocsparse_index_base_b
    .private_segment_fixed_size: 0
    .sgpr_count:     22
    .sgpr_spill_count: 0
    .symbol:         _ZN9rocsparseL41csrmvn_lrb_medium_rows_warp_reduce_kernelILj256ELj32EiiDF16_DF16_ffEEvbT1_lPT2_S3_jNS_24const_host_device_scalarIT6_EEPKS1_PKS2_PKT3_PKT4_S6_PT5_21rocsparse_index_base_b.kd
    .uniform_work_group_size: 1
    .uses_dynamic_stack: false
    .vgpr_count:     13
    .vgpr_spill_count: 0
    .wavefront_size: 64
  - .agpr_count:     0
    .args:
      - .offset:         0
        .size:           1
        .value_kind:     by_value
      - .offset:         4
        .size:           4
        .value_kind:     by_value
      - .offset:         8
        .size:           8
        .value_kind:     by_value
      - .actual_access:  read_only
        .address_space:  global
        .offset:         16
        .size:           8
        .value_kind:     global_buffer
      - .actual_access:  read_only
        .address_space:  global
        .offset:         24
        .size:           8
        .value_kind:     global_buffer
      - .offset:         32
        .size:           4
        .value_kind:     by_value
      - .offset:         40
        .size:           8
        .value_kind:     by_value
      - .actual_access:  read_only
        .address_space:  global
        .offset:         48
        .size:           8
        .value_kind:     global_buffer
      - .actual_access:  read_only
        .address_space:  global
        .offset:         56
        .size:           8
        .value_kind:     global_buffer
      - .actual_access:  read_only
        .address_space:  global
        .offset:         64
        .size:           8
        .value_kind:     global_buffer
      - .actual_access:  read_only
        .address_space:  global
        .offset:         72
        .size:           8
        .value_kind:     global_buffer
      - .offset:         80
        .size:           8
        .value_kind:     by_value
      - .address_space:  global
        .offset:         88
        .size:           8
        .value_kind:     global_buffer
      - .offset:         96
        .size:           4
        .value_kind:     by_value
      - .offset:         100
        .size:           1
        .value_kind:     by_value
    .group_segment_fixed_size: 0
    .kernarg_segment_align: 8
    .kernarg_segment_size: 104
    .language:       OpenCL C
    .language_version:
      - 2
      - 0
    .max_flat_workgroup_size: 256
    .name:           _ZN9rocsparseL41csrmvn_lrb_medium_rows_warp_reduce_kernelILj256ELj64EiiDF16_DF16_ffEEvbT1_lPT2_S3_jNS_24const_host_device_scalarIT6_EEPKS1_PKS2_PKT3_PKT4_S6_PT5_21rocsparse_index_base_b
    .private_segment_fixed_size: 0
    .sgpr_count:     22
    .sgpr_spill_count: 0
    .symbol:         _ZN9rocsparseL41csrmvn_lrb_medium_rows_warp_reduce_kernelILj256ELj64EiiDF16_DF16_ffEEvbT1_lPT2_S3_jNS_24const_host_device_scalarIT6_EEPKS1_PKS2_PKT3_PKT4_S6_PT5_21rocsparse_index_base_b.kd
    .uniform_work_group_size: 1
    .uses_dynamic_stack: false
    .vgpr_count:     13
    .vgpr_spill_count: 0
    .wavefront_size: 64
  - .agpr_count:     0
    .args:
      - .offset:         0
        .size:           1
        .value_kind:     by_value
      - .offset:         4
        .size:           4
        .value_kind:     by_value
      - .actual_access:  read_only
        .address_space:  global
        .offset:         8
        .size:           8
        .value_kind:     global_buffer
      - .actual_access:  read_only
        .address_space:  global
        .offset:         16
        .size:           8
        .value_kind:     global_buffer
      - .offset:         24
        .size:           4
        .value_kind:     by_value
      - .offset:         32
        .size:           8
        .value_kind:     by_value
      - .actual_access:  read_only
        .address_space:  global
        .offset:         40
        .size:           8
        .value_kind:     global_buffer
      - .actual_access:  read_only
        .address_space:  global
        .offset:         48
        .size:           8
        .value_kind:     global_buffer
      - .actual_access:  read_only
        .address_space:  global
        .offset:         56
        .size:           8
        .value_kind:     global_buffer
      - .actual_access:  read_only
        .address_space:  global
        .offset:         64
        .size:           8
        .value_kind:     global_buffer
      - .offset:         72
        .size:           8
        .value_kind:     by_value
      - .address_space:  global
        .offset:         80
        .size:           8
        .value_kind:     global_buffer
      - .offset:         88
        .size:           4
        .value_kind:     by_value
      - .offset:         92
        .size:           1
        .value_kind:     by_value
    .group_segment_fixed_size: 1024
    .kernarg_segment_align: 8
    .kernarg_segment_size: 96
    .language:       OpenCL C
    .language_version:
      - 2
      - 0
    .max_flat_workgroup_size: 256
    .name:           _ZN9rocsparseL29csrmvn_lrb_medium_rows_kernelILj256EiiDF16_DF16_ffEEvbT0_PT1_S3_jNS_24const_host_device_scalarIT5_EEPKS1_PKS2_PKT2_PKT3_S6_PT4_21rocsparse_index_base_b
    .private_segment_fixed_size: 0
    .sgpr_count:     24
    .sgpr_spill_count: 0
    .symbol:         _ZN9rocsparseL29csrmvn_lrb_medium_rows_kernelILj256EiiDF16_DF16_ffEEvbT0_PT1_S3_jNS_24const_host_device_scalarIT5_EEPKS1_PKS2_PKT2_PKT3_S6_PT4_21rocsparse_index_base_b.kd
    .uniform_work_group_size: 1
    .uses_dynamic_stack: false
    .vgpr_count:     10
    .vgpr_spill_count: 0
    .wavefront_size: 64
  - .agpr_count:     0
    .args:
      - .offset:         0
        .size:           1
        .value_kind:     by_value
      - .offset:         4
        .size:           4
        .value_kind:     by_value
      - .address_space:  global
        .offset:         8
        .size:           8
        .value_kind:     global_buffer
      - .actual_access:  read_only
        .address_space:  global
        .offset:         16
        .size:           8
        .value_kind:     global_buffer
      - .actual_access:  read_only
        .address_space:  global
        .offset:         24
        .size:           8
        .value_kind:     global_buffer
      - .offset:         32
        .size:           4
        .value_kind:     by_value
      - .offset:         40
        .size:           8
        .value_kind:     by_value
      - .actual_access:  read_only
        .address_space:  global
        .offset:         48
        .size:           8
        .value_kind:     global_buffer
      - .actual_access:  read_only
        .address_space:  global
        .offset:         56
        .size:           8
        .value_kind:     global_buffer
      - .actual_access:  read_only
        .address_space:  global
        .offset:         64
        .size:           8
        .value_kind:     global_buffer
      - .actual_access:  read_only
        .address_space:  global
        .offset:         72
        .size:           8
        .value_kind:     global_buffer
      - .offset:         80
        .size:           8
        .value_kind:     by_value
      - .address_space:  global
        .offset:         88
        .size:           8
        .value_kind:     global_buffer
      - .offset:         96
        .size:           4
        .value_kind:     by_value
      - .offset:         100
        .size:           1
        .value_kind:     by_value
    .group_segment_fixed_size: 1024
    .kernarg_segment_align: 8
    .kernarg_segment_size: 104
    .language:       OpenCL C
    .language_version:
      - 2
      - 0
    .max_flat_workgroup_size: 256
    .name:           _ZN9rocsparseL27csrmvn_lrb_long_rows_kernelIiiDF16_DF16_ffEEvbT_PjPT0_S4_jNS_24const_host_device_scalarIT4_EEPKS1_PKS3_PKT1_PKT2_S7_PT3_21rocsparse_index_base_b
    .private_segment_fixed_size: 0
    .sgpr_count:     32
    .sgpr_spill_count: 0
    .symbol:         _ZN9rocsparseL27csrmvn_lrb_long_rows_kernelIiiDF16_DF16_ffEEvbT_PjPT0_S4_jNS_24const_host_device_scalarIT4_EEPKS1_PKS3_PKT1_PKT2_S7_PT3_21rocsparse_index_base_b.kd
    .uniform_work_group_size: 1
    .uses_dynamic_stack: false
    .vgpr_count:     10
    .vgpr_spill_count: 0
    .wavefront_size: 64
  - .agpr_count:     0
    .args:
      - .offset:         0
        .size:           1
        .value_kind:     by_value
      - .offset:         8
        .size:           8
        .value_kind:     by_value
      - .actual_access:  read_only
        .address_space:  global
        .offset:         16
        .size:           8
        .value_kind:     global_buffer
      - .actual_access:  read_only
        .address_space:  global
        .offset:         24
        .size:           8
        .value_kind:     global_buffer
      - .offset:         32
        .size:           4
        .value_kind:     by_value
      - .offset:         40
        .size:           8
        .value_kind:     by_value
      - .actual_access:  read_only
        .address_space:  global
        .offset:         48
        .size:           8
        .value_kind:     global_buffer
      - .actual_access:  read_only
        .address_space:  global
        .offset:         56
        .size:           8
        .value_kind:     global_buffer
      - .actual_access:  read_only
        .address_space:  global
        .offset:         64
        .size:           8
        .value_kind:     global_buffer
      - .actual_access:  read_only
        .address_space:  global
        .offset:         72
        .size:           8
        .value_kind:     global_buffer
      - .offset:         80
        .size:           8
        .value_kind:     by_value
      - .address_space:  global
        .offset:         88
        .size:           8
        .value_kind:     global_buffer
      - .offset:         96
        .size:           4
        .value_kind:     by_value
      - .offset:         100
        .size:           1
        .value_kind:     by_value
    .group_segment_fixed_size: 0
    .kernarg_segment_align: 8
    .kernarg_segment_size: 104
    .language:       OpenCL C
    .language_version:
      - 2
      - 0
    .max_flat_workgroup_size: 256
    .name:           _ZN9rocsparseL28csrmvn_lrb_short_rows_kernelIliDF16_DF16_ffEEvbT_PT0_S3_jNS_24const_host_device_scalarIT4_EEPKS1_PKS2_PKT1_PKT2_S6_PT3_21rocsparse_index_base_b
    .private_segment_fixed_size: 0
    .sgpr_count:     30
    .sgpr_spill_count: 0
    .symbol:         _ZN9rocsparseL28csrmvn_lrb_short_rows_kernelIliDF16_DF16_ffEEvbT_PT0_S3_jNS_24const_host_device_scalarIT4_EEPKS1_PKS2_PKT1_PKT2_S6_PT3_21rocsparse_index_base_b.kd
    .uniform_work_group_size: 1
    .uses_dynamic_stack: false
    .vgpr_count:     10
    .vgpr_spill_count: 0
    .wavefront_size: 64
  - .agpr_count:     0
    .args:
      - .offset:         0
        .size:           1
        .value_kind:     by_value
      - .offset:         8
        .size:           8
        .value_kind:     by_value
      - .actual_access:  read_only
        .address_space:  global
        .offset:         16
        .size:           8
        .value_kind:     global_buffer
      - .actual_access:  read_only
        .address_space:  global
        .offset:         24
        .size:           8
        .value_kind:     global_buffer
      - .offset:         32
        .size:           4
        .value_kind:     by_value
      - .offset:         40
        .size:           8
        .value_kind:     by_value
      - .actual_access:  read_only
        .address_space:  global
        .offset:         48
        .size:           8
        .value_kind:     global_buffer
      - .actual_access:  read_only
        .address_space:  global
        .offset:         56
        .size:           8
        .value_kind:     global_buffer
      - .actual_access:  read_only
        .address_space:  global
        .offset:         64
        .size:           8
        .value_kind:     global_buffer
      - .actual_access:  read_only
        .address_space:  global
        .offset:         72
        .size:           8
        .value_kind:     global_buffer
      - .offset:         80
        .size:           8
        .value_kind:     by_value
      - .address_space:  global
        .offset:         88
        .size:           8
        .value_kind:     global_buffer
      - .offset:         96
        .size:           4
        .value_kind:     by_value
      - .offset:         100
        .size:           1
        .value_kind:     by_value
    .group_segment_fixed_size: 4096
    .kernarg_segment_align: 8
    .kernarg_segment_size: 104
    .language:       OpenCL C
    .language_version:
      - 2
      - 0
    .max_flat_workgroup_size: 256
    .name:           _ZN9rocsparseL30csrmvn_lrb_short_rows_2_kernelIliDF16_DF16_ffEEvbT_PT0_S3_jNS_24const_host_device_scalarIT4_EEPKS1_PKS2_PKT1_PKT2_S6_PT3_21rocsparse_index_base_b
    .private_segment_fixed_size: 0
    .sgpr_count:     32
    .sgpr_spill_count: 0
    .symbol:         _ZN9rocsparseL30csrmvn_lrb_short_rows_2_kernelIliDF16_DF16_ffEEvbT_PT0_S3_jNS_24const_host_device_scalarIT4_EEPKS1_PKS2_PKT1_PKT2_S6_PT3_21rocsparse_index_base_b.kd
    .uniform_work_group_size: 1
    .uses_dynamic_stack: false
    .vgpr_count:     10
    .vgpr_spill_count: 0
    .wavefront_size: 64
  - .agpr_count:     0
    .args:
      - .offset:         0
        .size:           1
        .value_kind:     by_value
      - .offset:         8
        .size:           8
        .value_kind:     by_value
      - .offset:         16
        .size:           8
        .value_kind:     by_value
      - .actual_access:  read_only
        .address_space:  global
        .offset:         24
        .size:           8
        .value_kind:     global_buffer
      - .actual_access:  read_only
        .address_space:  global
        .offset:         32
        .size:           8
        .value_kind:     global_buffer
      - .offset:         40
        .size:           4
        .value_kind:     by_value
      - .offset:         48
        .size:           8
        .value_kind:     by_value
      - .actual_access:  read_only
        .address_space:  global
        .offset:         56
        .size:           8
        .value_kind:     global_buffer
      - .actual_access:  read_only
        .address_space:  global
        .offset:         64
        .size:           8
        .value_kind:     global_buffer
      - .actual_access:  read_only
        .address_space:  global
        .offset:         72
        .size:           8
        .value_kind:     global_buffer
      - .actual_access:  read_only
        .address_space:  global
        .offset:         80
        .size:           8
        .value_kind:     global_buffer
      - .offset:         88
        .size:           8
        .value_kind:     by_value
      - .address_space:  global
        .offset:         96
        .size:           8
        .value_kind:     global_buffer
      - .offset:         104
        .size:           4
        .value_kind:     by_value
      - .offset:         108
        .size:           1
        .value_kind:     by_value
    .group_segment_fixed_size: 0
    .kernarg_segment_align: 8
    .kernarg_segment_size: 112
    .language:       OpenCL C
    .language_version:
      - 2
      - 0
    .max_flat_workgroup_size: 256
    .name:           _ZN9rocsparseL41csrmvn_lrb_medium_rows_warp_reduce_kernelILj256ELj32EliDF16_DF16_ffEEvbT1_lPT2_S3_jNS_24const_host_device_scalarIT6_EEPKS1_PKS2_PKT3_PKT4_S6_PT5_21rocsparse_index_base_b
    .private_segment_fixed_size: 0
    .sgpr_count:     24
    .sgpr_spill_count: 0
    .symbol:         _ZN9rocsparseL41csrmvn_lrb_medium_rows_warp_reduce_kernelILj256ELj32EliDF16_DF16_ffEEvbT1_lPT2_S3_jNS_24const_host_device_scalarIT6_EEPKS1_PKS2_PKT3_PKT4_S6_PT5_21rocsparse_index_base_b.kd
    .uniform_work_group_size: 1
    .uses_dynamic_stack: false
    .vgpr_count:     17
    .vgpr_spill_count: 0
    .wavefront_size: 64
  - .agpr_count:     0
    .args:
      - .offset:         0
        .size:           1
        .value_kind:     by_value
      - .offset:         8
        .size:           8
        .value_kind:     by_value
      - .offset:         16
        .size:           8
        .value_kind:     by_value
      - .actual_access:  read_only
        .address_space:  global
        .offset:         24
        .size:           8
        .value_kind:     global_buffer
      - .actual_access:  read_only
        .address_space:  global
        .offset:         32
        .size:           8
        .value_kind:     global_buffer
      - .offset:         40
        .size:           4
        .value_kind:     by_value
      - .offset:         48
        .size:           8
        .value_kind:     by_value
      - .actual_access:  read_only
        .address_space:  global
        .offset:         56
        .size:           8
        .value_kind:     global_buffer
      - .actual_access:  read_only
        .address_space:  global
        .offset:         64
        .size:           8
        .value_kind:     global_buffer
      - .actual_access:  read_only
        .address_space:  global
        .offset:         72
        .size:           8
        .value_kind:     global_buffer
      - .actual_access:  read_only
        .address_space:  global
        .offset:         80
        .size:           8
        .value_kind:     global_buffer
      - .offset:         88
        .size:           8
        .value_kind:     by_value
      - .address_space:  global
        .offset:         96
        .size:           8
        .value_kind:     global_buffer
      - .offset:         104
        .size:           4
        .value_kind:     by_value
      - .offset:         108
        .size:           1
        .value_kind:     by_value
    .group_segment_fixed_size: 0
    .kernarg_segment_align: 8
    .kernarg_segment_size: 112
    .language:       OpenCL C
    .language_version:
      - 2
      - 0
    .max_flat_workgroup_size: 256
    .name:           _ZN9rocsparseL41csrmvn_lrb_medium_rows_warp_reduce_kernelILj256ELj64EliDF16_DF16_ffEEvbT1_lPT2_S3_jNS_24const_host_device_scalarIT6_EEPKS1_PKS2_PKT3_PKT4_S6_PT5_21rocsparse_index_base_b
    .private_segment_fixed_size: 0
    .sgpr_count:     24
    .sgpr_spill_count: 0
    .symbol:         _ZN9rocsparseL41csrmvn_lrb_medium_rows_warp_reduce_kernelILj256ELj64EliDF16_DF16_ffEEvbT1_lPT2_S3_jNS_24const_host_device_scalarIT6_EEPKS1_PKS2_PKT3_PKT4_S6_PT5_21rocsparse_index_base_b.kd
    .uniform_work_group_size: 1
    .uses_dynamic_stack: false
    .vgpr_count:     17
    .vgpr_spill_count: 0
    .wavefront_size: 64
  - .agpr_count:     0
    .args:
      - .offset:         0
        .size:           1
        .value_kind:     by_value
      - .offset:         8
        .size:           8
        .value_kind:     by_value
      - .actual_access:  read_only
        .address_space:  global
        .offset:         16
        .size:           8
        .value_kind:     global_buffer
      - .actual_access:  read_only
        .address_space:  global
        .offset:         24
        .size:           8
        .value_kind:     global_buffer
      - .offset:         32
        .size:           4
        .value_kind:     by_value
      - .offset:         40
        .size:           8
        .value_kind:     by_value
      - .actual_access:  read_only
        .address_space:  global
        .offset:         48
        .size:           8
        .value_kind:     global_buffer
      - .actual_access:  read_only
        .address_space:  global
        .offset:         56
        .size:           8
        .value_kind:     global_buffer
      - .actual_access:  read_only
        .address_space:  global
        .offset:         64
        .size:           8
        .value_kind:     global_buffer
      - .actual_access:  read_only
        .address_space:  global
        .offset:         72
        .size:           8
        .value_kind:     global_buffer
      - .offset:         80
        .size:           8
        .value_kind:     by_value
      - .address_space:  global
        .offset:         88
        .size:           8
        .value_kind:     global_buffer
      - .offset:         96
        .size:           4
        .value_kind:     by_value
      - .offset:         100
        .size:           1
        .value_kind:     by_value
    .group_segment_fixed_size: 1024
    .kernarg_segment_align: 8
    .kernarg_segment_size: 104
    .language:       OpenCL C
    .language_version:
      - 2
      - 0
    .max_flat_workgroup_size: 256
    .name:           _ZN9rocsparseL29csrmvn_lrb_medium_rows_kernelILj256EliDF16_DF16_ffEEvbT0_PT1_S3_jNS_24const_host_device_scalarIT5_EEPKS1_PKS2_PKT2_PKT3_S6_PT4_21rocsparse_index_base_b
    .private_segment_fixed_size: 0
    .sgpr_count:     28
    .sgpr_spill_count: 0
    .symbol:         _ZN9rocsparseL29csrmvn_lrb_medium_rows_kernelILj256EliDF16_DF16_ffEEvbT0_PT1_S3_jNS_24const_host_device_scalarIT5_EEPKS1_PKS2_PKT2_PKT3_S6_PT4_21rocsparse_index_base_b.kd
    .uniform_work_group_size: 1
    .uses_dynamic_stack: false
    .vgpr_count:     13
    .vgpr_spill_count: 0
    .wavefront_size: 64
  - .agpr_count:     0
    .args:
      - .offset:         0
        .size:           1
        .value_kind:     by_value
      - .offset:         8
        .size:           8
        .value_kind:     by_value
      - .address_space:  global
        .offset:         16
        .size:           8
        .value_kind:     global_buffer
      - .actual_access:  read_only
        .address_space:  global
        .offset:         24
        .size:           8
        .value_kind:     global_buffer
      - .actual_access:  read_only
        .address_space:  global
        .offset:         32
        .size:           8
        .value_kind:     global_buffer
      - .offset:         40
        .size:           4
        .value_kind:     by_value
      - .offset:         48
        .size:           8
        .value_kind:     by_value
      - .actual_access:  read_only
        .address_space:  global
        .offset:         56
        .size:           8
        .value_kind:     global_buffer
      - .actual_access:  read_only
        .address_space:  global
        .offset:         64
        .size:           8
        .value_kind:     global_buffer
      - .actual_access:  read_only
        .address_space:  global
        .offset:         72
        .size:           8
        .value_kind:     global_buffer
      - .actual_access:  read_only
        .address_space:  global
        .offset:         80
        .size:           8
        .value_kind:     global_buffer
      - .offset:         88
        .size:           8
        .value_kind:     by_value
      - .address_space:  global
        .offset:         96
        .size:           8
        .value_kind:     global_buffer
      - .offset:         104
        .size:           4
        .value_kind:     by_value
      - .offset:         108
        .size:           1
        .value_kind:     by_value
    .group_segment_fixed_size: 1024
    .kernarg_segment_align: 8
    .kernarg_segment_size: 112
    .language:       OpenCL C
    .language_version:
      - 2
      - 0
    .max_flat_workgroup_size: 256
    .name:           _ZN9rocsparseL27csrmvn_lrb_long_rows_kernelIliDF16_DF16_ffEEvbT_PjPT0_S4_jNS_24const_host_device_scalarIT4_EEPKS1_PKS3_PKT1_PKT2_S7_PT3_21rocsparse_index_base_b
    .private_segment_fixed_size: 0
    .sgpr_count:     34
    .sgpr_spill_count: 0
    .symbol:         _ZN9rocsparseL27csrmvn_lrb_long_rows_kernelIliDF16_DF16_ffEEvbT_PjPT0_S4_jNS_24const_host_device_scalarIT4_EEPKS1_PKS3_PKT1_PKT2_S7_PT3_21rocsparse_index_base_b.kd
    .uniform_work_group_size: 1
    .uses_dynamic_stack: false
    .vgpr_count:     13
    .vgpr_spill_count: 0
    .wavefront_size: 64
  - .agpr_count:     0
    .args:
      - .offset:         0
        .size:           1
        .value_kind:     by_value
      - .offset:         8
        .size:           8
        .value_kind:     by_value
      - .actual_access:  read_only
        .address_space:  global
        .offset:         16
        .size:           8
        .value_kind:     global_buffer
      - .actual_access:  read_only
        .address_space:  global
        .offset:         24
        .size:           8
        .value_kind:     global_buffer
      - .offset:         32
        .size:           4
        .value_kind:     by_value
      - .offset:         40
        .size:           8
        .value_kind:     by_value
      - .actual_access:  read_only
        .address_space:  global
        .offset:         48
        .size:           8
        .value_kind:     global_buffer
      - .actual_access:  read_only
        .address_space:  global
        .offset:         56
        .size:           8
        .value_kind:     global_buffer
      - .actual_access:  read_only
        .address_space:  global
        .offset:         64
        .size:           8
        .value_kind:     global_buffer
      - .actual_access:  read_only
        .address_space:  global
        .offset:         72
        .size:           8
        .value_kind:     global_buffer
      - .offset:         80
        .size:           8
        .value_kind:     by_value
      - .address_space:  global
        .offset:         88
        .size:           8
        .value_kind:     global_buffer
      - .offset:         96
        .size:           4
        .value_kind:     by_value
      - .offset:         100
        .size:           1
        .value_kind:     by_value
    .group_segment_fixed_size: 0
    .kernarg_segment_align: 8
    .kernarg_segment_size: 104
    .language:       OpenCL C
    .language_version:
      - 2
      - 0
    .max_flat_workgroup_size: 256
    .name:           _ZN9rocsparseL28csrmvn_lrb_short_rows_kernelIllDF16_DF16_ffEEvbT_PT0_S3_jNS_24const_host_device_scalarIT4_EEPKS1_PKS2_PKT1_PKT2_S6_PT3_21rocsparse_index_base_b
    .private_segment_fixed_size: 0
    .sgpr_count:     33
    .sgpr_spill_count: 0
    .symbol:         _ZN9rocsparseL28csrmvn_lrb_short_rows_kernelIllDF16_DF16_ffEEvbT_PT0_S3_jNS_24const_host_device_scalarIT4_EEPKS1_PKS2_PKT1_PKT2_S6_PT3_21rocsparse_index_base_b.kd
    .uniform_work_group_size: 1
    .uses_dynamic_stack: false
    .vgpr_count:     12
    .vgpr_spill_count: 0
    .wavefront_size: 64
  - .agpr_count:     0
    .args:
      - .offset:         0
        .size:           1
        .value_kind:     by_value
      - .offset:         8
        .size:           8
        .value_kind:     by_value
      - .actual_access:  read_only
        .address_space:  global
        .offset:         16
        .size:           8
        .value_kind:     global_buffer
      - .actual_access:  read_only
        .address_space:  global
        .offset:         24
        .size:           8
        .value_kind:     global_buffer
      - .offset:         32
        .size:           4
        .value_kind:     by_value
      - .offset:         40
        .size:           8
        .value_kind:     by_value
      - .actual_access:  read_only
        .address_space:  global
        .offset:         48
        .size:           8
        .value_kind:     global_buffer
      - .actual_access:  read_only
        .address_space:  global
        .offset:         56
        .size:           8
        .value_kind:     global_buffer
      - .actual_access:  read_only
        .address_space:  global
        .offset:         64
        .size:           8
        .value_kind:     global_buffer
      - .actual_access:  read_only
        .address_space:  global
        .offset:         72
        .size:           8
        .value_kind:     global_buffer
      - .offset:         80
        .size:           8
        .value_kind:     by_value
      - .address_space:  global
        .offset:         88
        .size:           8
        .value_kind:     global_buffer
      - .offset:         96
        .size:           4
        .value_kind:     by_value
      - .offset:         100
        .size:           1
        .value_kind:     by_value
    .group_segment_fixed_size: 4096
    .kernarg_segment_align: 8
    .kernarg_segment_size: 104
    .language:       OpenCL C
    .language_version:
      - 2
      - 0
    .max_flat_workgroup_size: 256
    .name:           _ZN9rocsparseL30csrmvn_lrb_short_rows_2_kernelIllDF16_DF16_ffEEvbT_PT0_S3_jNS_24const_host_device_scalarIT4_EEPKS1_PKS2_PKT1_PKT2_S6_PT3_21rocsparse_index_base_b
    .private_segment_fixed_size: 0
    .sgpr_count:     34
    .sgpr_spill_count: 0
    .symbol:         _ZN9rocsparseL30csrmvn_lrb_short_rows_2_kernelIllDF16_DF16_ffEEvbT_PT0_S3_jNS_24const_host_device_scalarIT4_EEPKS1_PKS2_PKT1_PKT2_S6_PT3_21rocsparse_index_base_b.kd
    .uniform_work_group_size: 1
    .uses_dynamic_stack: false
    .vgpr_count:     10
    .vgpr_spill_count: 0
    .wavefront_size: 64
  - .agpr_count:     0
    .args:
      - .offset:         0
        .size:           1
        .value_kind:     by_value
      - .offset:         8
        .size:           8
        .value_kind:     by_value
      - .offset:         16
        .size:           8
        .value_kind:     by_value
      - .actual_access:  read_only
        .address_space:  global
        .offset:         24
        .size:           8
        .value_kind:     global_buffer
      - .actual_access:  read_only
        .address_space:  global
        .offset:         32
        .size:           8
        .value_kind:     global_buffer
      - .offset:         40
        .size:           4
        .value_kind:     by_value
      - .offset:         48
        .size:           8
        .value_kind:     by_value
      - .actual_access:  read_only
        .address_space:  global
        .offset:         56
        .size:           8
        .value_kind:     global_buffer
      - .actual_access:  read_only
        .address_space:  global
        .offset:         64
        .size:           8
        .value_kind:     global_buffer
      - .actual_access:  read_only
        .address_space:  global
        .offset:         72
        .size:           8
        .value_kind:     global_buffer
      - .actual_access:  read_only
        .address_space:  global
        .offset:         80
        .size:           8
        .value_kind:     global_buffer
      - .offset:         88
        .size:           8
        .value_kind:     by_value
      - .address_space:  global
        .offset:         96
        .size:           8
        .value_kind:     global_buffer
      - .offset:         104
        .size:           4
        .value_kind:     by_value
      - .offset:         108
        .size:           1
        .value_kind:     by_value
    .group_segment_fixed_size: 0
    .kernarg_segment_align: 8
    .kernarg_segment_size: 112
    .language:       OpenCL C
    .language_version:
      - 2
      - 0
    .max_flat_workgroup_size: 256
    .name:           _ZN9rocsparseL41csrmvn_lrb_medium_rows_warp_reduce_kernelILj256ELj32EllDF16_DF16_ffEEvbT1_lPT2_S3_jNS_24const_host_device_scalarIT6_EEPKS1_PKS2_PKT3_PKT4_S6_PT5_21rocsparse_index_base_b
    .private_segment_fixed_size: 0
    .sgpr_count:     24
    .sgpr_spill_count: 0
    .symbol:         _ZN9rocsparseL41csrmvn_lrb_medium_rows_warp_reduce_kernelILj256ELj32EllDF16_DF16_ffEEvbT1_lPT2_S3_jNS_24const_host_device_scalarIT6_EEPKS1_PKS2_PKT3_PKT4_S6_PT5_21rocsparse_index_base_b.kd
    .uniform_work_group_size: 1
    .uses_dynamic_stack: false
    .vgpr_count:     17
    .vgpr_spill_count: 0
    .wavefront_size: 64
  - .agpr_count:     0
    .args:
      - .offset:         0
        .size:           1
        .value_kind:     by_value
      - .offset:         8
        .size:           8
        .value_kind:     by_value
      - .offset:         16
        .size:           8
        .value_kind:     by_value
      - .actual_access:  read_only
        .address_space:  global
        .offset:         24
        .size:           8
        .value_kind:     global_buffer
      - .actual_access:  read_only
        .address_space:  global
        .offset:         32
        .size:           8
        .value_kind:     global_buffer
      - .offset:         40
        .size:           4
        .value_kind:     by_value
      - .offset:         48
        .size:           8
        .value_kind:     by_value
      - .actual_access:  read_only
        .address_space:  global
        .offset:         56
        .size:           8
        .value_kind:     global_buffer
      - .actual_access:  read_only
        .address_space:  global
        .offset:         64
        .size:           8
        .value_kind:     global_buffer
      - .actual_access:  read_only
        .address_space:  global
        .offset:         72
        .size:           8
        .value_kind:     global_buffer
      - .actual_access:  read_only
        .address_space:  global
        .offset:         80
        .size:           8
        .value_kind:     global_buffer
      - .offset:         88
        .size:           8
        .value_kind:     by_value
      - .address_space:  global
        .offset:         96
        .size:           8
        .value_kind:     global_buffer
      - .offset:         104
        .size:           4
        .value_kind:     by_value
      - .offset:         108
        .size:           1
        .value_kind:     by_value
    .group_segment_fixed_size: 0
    .kernarg_segment_align: 8
    .kernarg_segment_size: 112
    .language:       OpenCL C
    .language_version:
      - 2
      - 0
    .max_flat_workgroup_size: 256
    .name:           _ZN9rocsparseL41csrmvn_lrb_medium_rows_warp_reduce_kernelILj256ELj64EllDF16_DF16_ffEEvbT1_lPT2_S3_jNS_24const_host_device_scalarIT6_EEPKS1_PKS2_PKT3_PKT4_S6_PT5_21rocsparse_index_base_b
    .private_segment_fixed_size: 0
    .sgpr_count:     24
    .sgpr_spill_count: 0
    .symbol:         _ZN9rocsparseL41csrmvn_lrb_medium_rows_warp_reduce_kernelILj256ELj64EllDF16_DF16_ffEEvbT1_lPT2_S3_jNS_24const_host_device_scalarIT6_EEPKS1_PKS2_PKT3_PKT4_S6_PT5_21rocsparse_index_base_b.kd
    .uniform_work_group_size: 1
    .uses_dynamic_stack: false
    .vgpr_count:     17
    .vgpr_spill_count: 0
    .wavefront_size: 64
  - .agpr_count:     0
    .args:
      - .offset:         0
        .size:           1
        .value_kind:     by_value
      - .offset:         8
        .size:           8
        .value_kind:     by_value
      - .actual_access:  read_only
        .address_space:  global
        .offset:         16
        .size:           8
        .value_kind:     global_buffer
      - .actual_access:  read_only
        .address_space:  global
        .offset:         24
        .size:           8
        .value_kind:     global_buffer
      - .offset:         32
        .size:           4
        .value_kind:     by_value
      - .offset:         40
        .size:           8
        .value_kind:     by_value
      - .actual_access:  read_only
        .address_space:  global
        .offset:         48
        .size:           8
        .value_kind:     global_buffer
      - .actual_access:  read_only
        .address_space:  global
        .offset:         56
        .size:           8
        .value_kind:     global_buffer
      - .actual_access:  read_only
        .address_space:  global
        .offset:         64
        .size:           8
        .value_kind:     global_buffer
      - .actual_access:  read_only
        .address_space:  global
        .offset:         72
        .size:           8
        .value_kind:     global_buffer
      - .offset:         80
        .size:           8
        .value_kind:     by_value
      - .address_space:  global
        .offset:         88
        .size:           8
        .value_kind:     global_buffer
      - .offset:         96
        .size:           4
        .value_kind:     by_value
      - .offset:         100
        .size:           1
        .value_kind:     by_value
    .group_segment_fixed_size: 1024
    .kernarg_segment_align: 8
    .kernarg_segment_size: 104
    .language:       OpenCL C
    .language_version:
      - 2
      - 0
    .max_flat_workgroup_size: 256
    .name:           _ZN9rocsparseL29csrmvn_lrb_medium_rows_kernelILj256EllDF16_DF16_ffEEvbT0_PT1_S3_jNS_24const_host_device_scalarIT5_EEPKS1_PKS2_PKT2_PKT3_S6_PT4_21rocsparse_index_base_b
    .private_segment_fixed_size: 0
    .sgpr_count:     28
    .sgpr_spill_count: 0
    .symbol:         _ZN9rocsparseL29csrmvn_lrb_medium_rows_kernelILj256EllDF16_DF16_ffEEvbT0_PT1_S3_jNS_24const_host_device_scalarIT5_EEPKS1_PKS2_PKT2_PKT3_S6_PT4_21rocsparse_index_base_b.kd
    .uniform_work_group_size: 1
    .uses_dynamic_stack: false
    .vgpr_count:     13
    .vgpr_spill_count: 0
    .wavefront_size: 64
  - .agpr_count:     0
    .args:
      - .offset:         0
        .size:           1
        .value_kind:     by_value
      - .offset:         8
        .size:           8
        .value_kind:     by_value
      - .address_space:  global
        .offset:         16
        .size:           8
        .value_kind:     global_buffer
      - .actual_access:  read_only
        .address_space:  global
        .offset:         24
        .size:           8
        .value_kind:     global_buffer
      - .actual_access:  read_only
        .address_space:  global
        .offset:         32
        .size:           8
        .value_kind:     global_buffer
      - .offset:         40
        .size:           4
        .value_kind:     by_value
      - .offset:         48
        .size:           8
        .value_kind:     by_value
      - .actual_access:  read_only
        .address_space:  global
        .offset:         56
        .size:           8
        .value_kind:     global_buffer
      - .actual_access:  read_only
        .address_space:  global
        .offset:         64
        .size:           8
        .value_kind:     global_buffer
      - .actual_access:  read_only
        .address_space:  global
        .offset:         72
        .size:           8
        .value_kind:     global_buffer
      - .actual_access:  read_only
        .address_space:  global
        .offset:         80
        .size:           8
        .value_kind:     global_buffer
      - .offset:         88
        .size:           8
        .value_kind:     by_value
      - .address_space:  global
        .offset:         96
        .size:           8
        .value_kind:     global_buffer
      - .offset:         104
        .size:           4
        .value_kind:     by_value
      - .offset:         108
        .size:           1
        .value_kind:     by_value
    .group_segment_fixed_size: 1024
    .kernarg_segment_align: 8
    .kernarg_segment_size: 112
    .language:       OpenCL C
    .language_version:
      - 2
      - 0
    .max_flat_workgroup_size: 256
    .name:           _ZN9rocsparseL27csrmvn_lrb_long_rows_kernelIllDF16_DF16_ffEEvbT_PjPT0_S4_jNS_24const_host_device_scalarIT4_EEPKS1_PKS3_PKT1_PKT2_S7_PT3_21rocsparse_index_base_b
    .private_segment_fixed_size: 0
    .sgpr_count:     36
    .sgpr_spill_count: 0
    .symbol:         _ZN9rocsparseL27csrmvn_lrb_long_rows_kernelIllDF16_DF16_ffEEvbT_PjPT0_S4_jNS_24const_host_device_scalarIT4_EEPKS1_PKS3_PKT1_PKT2_S7_PT3_21rocsparse_index_base_b.kd
    .uniform_work_group_size: 1
    .uses_dynamic_stack: false
    .vgpr_count:     13
    .vgpr_spill_count: 0
    .wavefront_size: 64
  - .agpr_count:     0
    .args:
      - .offset:         0
        .size:           1
        .value_kind:     by_value
      - .offset:         4
        .size:           4
        .value_kind:     by_value
      - .actual_access:  read_only
        .address_space:  global
        .offset:         8
        .size:           8
        .value_kind:     global_buffer
      - .actual_access:  read_only
        .address_space:  global
        .offset:         16
        .size:           8
        .value_kind:     global_buffer
      - .offset:         24
        .size:           4
        .value_kind:     by_value
      - .offset:         32
        .size:           8
        .value_kind:     by_value
      - .actual_access:  read_only
        .address_space:  global
        .offset:         40
        .size:           8
        .value_kind:     global_buffer
      - .actual_access:  read_only
        .address_space:  global
        .offset:         48
        .size:           8
        .value_kind:     global_buffer
      - .actual_access:  read_only
        .address_space:  global
        .offset:         56
        .size:           8
        .value_kind:     global_buffer
      - .actual_access:  read_only
        .address_space:  global
        .offset:         64
        .size:           8
        .value_kind:     global_buffer
      - .offset:         72
        .size:           8
        .value_kind:     by_value
      - .address_space:  global
        .offset:         80
        .size:           8
        .value_kind:     global_buffer
      - .offset:         88
        .size:           4
        .value_kind:     by_value
      - .offset:         92
        .size:           1
        .value_kind:     by_value
    .group_segment_fixed_size: 0
    .kernarg_segment_align: 8
    .kernarg_segment_size: 96
    .language:       OpenCL C
    .language_version:
      - 2
      - 0
    .max_flat_workgroup_size: 256
    .name:           _ZN9rocsparseL28csrmvn_lrb_short_rows_kernelIii18rocsparse_bfloat16S1_ffEEvbT_PT0_S4_jNS_24const_host_device_scalarIT4_EEPKS2_PKS3_PKT1_PKT2_S7_PT3_21rocsparse_index_base_b
    .private_segment_fixed_size: 0
    .sgpr_count:     29
    .sgpr_spill_count: 0
    .symbol:         _ZN9rocsparseL28csrmvn_lrb_short_rows_kernelIii18rocsparse_bfloat16S1_ffEEvbT_PT0_S4_jNS_24const_host_device_scalarIT4_EEPKS2_PKS3_PKT1_PKT2_S7_PT3_21rocsparse_index_base_b.kd
    .uniform_work_group_size: 1
    .uses_dynamic_stack: false
    .vgpr_count:     11
    .vgpr_spill_count: 0
    .wavefront_size: 64
  - .agpr_count:     0
    .args:
      - .offset:         0
        .size:           1
        .value_kind:     by_value
      - .offset:         4
        .size:           4
        .value_kind:     by_value
      - .actual_access:  read_only
        .address_space:  global
        .offset:         8
        .size:           8
        .value_kind:     global_buffer
      - .actual_access:  read_only
        .address_space:  global
        .offset:         16
        .size:           8
        .value_kind:     global_buffer
      - .offset:         24
        .size:           4
        .value_kind:     by_value
      - .offset:         32
        .size:           8
        .value_kind:     by_value
      - .actual_access:  read_only
        .address_space:  global
        .offset:         40
        .size:           8
        .value_kind:     global_buffer
      - .actual_access:  read_only
        .address_space:  global
        .offset:         48
        .size:           8
        .value_kind:     global_buffer
      - .actual_access:  read_only
        .address_space:  global
        .offset:         56
        .size:           8
        .value_kind:     global_buffer
      - .actual_access:  read_only
        .address_space:  global
        .offset:         64
        .size:           8
        .value_kind:     global_buffer
      - .offset:         72
        .size:           8
        .value_kind:     by_value
      - .address_space:  global
        .offset:         80
        .size:           8
        .value_kind:     global_buffer
      - .offset:         88
        .size:           4
        .value_kind:     by_value
      - .offset:         92
        .size:           1
        .value_kind:     by_value
    .group_segment_fixed_size: 4096
    .kernarg_segment_align: 8
    .kernarg_segment_size: 96
    .language:       OpenCL C
    .language_version:
      - 2
      - 0
    .max_flat_workgroup_size: 256
    .name:           _ZN9rocsparseL30csrmvn_lrb_short_rows_2_kernelIii18rocsparse_bfloat16S1_ffEEvbT_PT0_S4_jNS_24const_host_device_scalarIT4_EEPKS2_PKS3_PKT1_PKT2_S7_PT3_21rocsparse_index_base_b
    .private_segment_fixed_size: 0
    .sgpr_count:     32
    .sgpr_spill_count: 0
    .symbol:         _ZN9rocsparseL30csrmvn_lrb_short_rows_2_kernelIii18rocsparse_bfloat16S1_ffEEvbT_PT0_S4_jNS_24const_host_device_scalarIT4_EEPKS2_PKS3_PKT1_PKT2_S7_PT3_21rocsparse_index_base_b.kd
    .uniform_work_group_size: 1
    .uses_dynamic_stack: false
    .vgpr_count:     8
    .vgpr_spill_count: 0
    .wavefront_size: 64
  - .agpr_count:     0
    .args:
      - .offset:         0
        .size:           1
        .value_kind:     by_value
      - .offset:         4
        .size:           4
        .value_kind:     by_value
      - .offset:         8
        .size:           8
        .value_kind:     by_value
      - .actual_access:  read_only
        .address_space:  global
        .offset:         16
        .size:           8
        .value_kind:     global_buffer
      - .actual_access:  read_only
        .address_space:  global
        .offset:         24
        .size:           8
        .value_kind:     global_buffer
      - .offset:         32
        .size:           4
        .value_kind:     by_value
      - .offset:         40
        .size:           8
        .value_kind:     by_value
      - .actual_access:  read_only
        .address_space:  global
        .offset:         48
        .size:           8
        .value_kind:     global_buffer
      - .actual_access:  read_only
        .address_space:  global
        .offset:         56
        .size:           8
        .value_kind:     global_buffer
      - .actual_access:  read_only
        .address_space:  global
        .offset:         64
        .size:           8
        .value_kind:     global_buffer
      - .actual_access:  read_only
        .address_space:  global
        .offset:         72
        .size:           8
        .value_kind:     global_buffer
      - .offset:         80
        .size:           8
        .value_kind:     by_value
      - .address_space:  global
        .offset:         88
        .size:           8
        .value_kind:     global_buffer
      - .offset:         96
        .size:           4
        .value_kind:     by_value
      - .offset:         100
        .size:           1
        .value_kind:     by_value
    .group_segment_fixed_size: 0
    .kernarg_segment_align: 8
    .kernarg_segment_size: 104
    .language:       OpenCL C
    .language_version:
      - 2
      - 0
    .max_flat_workgroup_size: 256
    .name:           _ZN9rocsparseL41csrmvn_lrb_medium_rows_warp_reduce_kernelILj256ELj32Eii18rocsparse_bfloat16S1_ffEEvbT1_lPT2_S4_jNS_24const_host_device_scalarIT6_EEPKS2_PKS3_PKT3_PKT4_S7_PT5_21rocsparse_index_base_b
    .private_segment_fixed_size: 0
    .sgpr_count:     22
    .sgpr_spill_count: 0
    .symbol:         _ZN9rocsparseL41csrmvn_lrb_medium_rows_warp_reduce_kernelILj256ELj32Eii18rocsparse_bfloat16S1_ffEEvbT1_lPT2_S4_jNS_24const_host_device_scalarIT6_EEPKS2_PKS3_PKT3_PKT4_S7_PT5_21rocsparse_index_base_b.kd
    .uniform_work_group_size: 1
    .uses_dynamic_stack: false
    .vgpr_count:     13
    .vgpr_spill_count: 0
    .wavefront_size: 64
  - .agpr_count:     0
    .args:
      - .offset:         0
        .size:           1
        .value_kind:     by_value
      - .offset:         4
        .size:           4
        .value_kind:     by_value
      - .offset:         8
        .size:           8
        .value_kind:     by_value
      - .actual_access:  read_only
        .address_space:  global
        .offset:         16
        .size:           8
        .value_kind:     global_buffer
      - .actual_access:  read_only
        .address_space:  global
        .offset:         24
        .size:           8
        .value_kind:     global_buffer
      - .offset:         32
        .size:           4
        .value_kind:     by_value
      - .offset:         40
        .size:           8
        .value_kind:     by_value
      - .actual_access:  read_only
        .address_space:  global
        .offset:         48
        .size:           8
        .value_kind:     global_buffer
      - .actual_access:  read_only
        .address_space:  global
        .offset:         56
        .size:           8
        .value_kind:     global_buffer
      - .actual_access:  read_only
        .address_space:  global
        .offset:         64
        .size:           8
        .value_kind:     global_buffer
      - .actual_access:  read_only
        .address_space:  global
        .offset:         72
        .size:           8
        .value_kind:     global_buffer
      - .offset:         80
        .size:           8
        .value_kind:     by_value
      - .address_space:  global
        .offset:         88
        .size:           8
        .value_kind:     global_buffer
      - .offset:         96
        .size:           4
        .value_kind:     by_value
      - .offset:         100
        .size:           1
        .value_kind:     by_value
    .group_segment_fixed_size: 0
    .kernarg_segment_align: 8
    .kernarg_segment_size: 104
    .language:       OpenCL C
    .language_version:
      - 2
      - 0
    .max_flat_workgroup_size: 256
    .name:           _ZN9rocsparseL41csrmvn_lrb_medium_rows_warp_reduce_kernelILj256ELj64Eii18rocsparse_bfloat16S1_ffEEvbT1_lPT2_S4_jNS_24const_host_device_scalarIT6_EEPKS2_PKS3_PKT3_PKT4_S7_PT5_21rocsparse_index_base_b
    .private_segment_fixed_size: 0
    .sgpr_count:     22
    .sgpr_spill_count: 0
    .symbol:         _ZN9rocsparseL41csrmvn_lrb_medium_rows_warp_reduce_kernelILj256ELj64Eii18rocsparse_bfloat16S1_ffEEvbT1_lPT2_S4_jNS_24const_host_device_scalarIT6_EEPKS2_PKS3_PKT3_PKT4_S7_PT5_21rocsparse_index_base_b.kd
    .uniform_work_group_size: 1
    .uses_dynamic_stack: false
    .vgpr_count:     13
    .vgpr_spill_count: 0
    .wavefront_size: 64
  - .agpr_count:     0
    .args:
      - .offset:         0
        .size:           1
        .value_kind:     by_value
      - .offset:         4
        .size:           4
        .value_kind:     by_value
      - .actual_access:  read_only
        .address_space:  global
        .offset:         8
        .size:           8
        .value_kind:     global_buffer
      - .actual_access:  read_only
        .address_space:  global
        .offset:         16
        .size:           8
        .value_kind:     global_buffer
      - .offset:         24
        .size:           4
        .value_kind:     by_value
      - .offset:         32
        .size:           8
        .value_kind:     by_value
      - .actual_access:  read_only
        .address_space:  global
        .offset:         40
        .size:           8
        .value_kind:     global_buffer
      - .actual_access:  read_only
        .address_space:  global
        .offset:         48
        .size:           8
        .value_kind:     global_buffer
      - .actual_access:  read_only
        .address_space:  global
        .offset:         56
        .size:           8
        .value_kind:     global_buffer
      - .actual_access:  read_only
        .address_space:  global
        .offset:         64
        .size:           8
        .value_kind:     global_buffer
      - .offset:         72
        .size:           8
        .value_kind:     by_value
      - .address_space:  global
        .offset:         80
        .size:           8
        .value_kind:     global_buffer
      - .offset:         88
        .size:           4
        .value_kind:     by_value
      - .offset:         92
        .size:           1
        .value_kind:     by_value
    .group_segment_fixed_size: 1024
    .kernarg_segment_align: 8
    .kernarg_segment_size: 96
    .language:       OpenCL C
    .language_version:
      - 2
      - 0
    .max_flat_workgroup_size: 256
    .name:           _ZN9rocsparseL29csrmvn_lrb_medium_rows_kernelILj256Eii18rocsparse_bfloat16S1_ffEEvbT0_PT1_S4_jNS_24const_host_device_scalarIT5_EEPKS2_PKS3_PKT2_PKT3_S7_PT4_21rocsparse_index_base_b
    .private_segment_fixed_size: 0
    .sgpr_count:     24
    .sgpr_spill_count: 0
    .symbol:         _ZN9rocsparseL29csrmvn_lrb_medium_rows_kernelILj256Eii18rocsparse_bfloat16S1_ffEEvbT0_PT1_S4_jNS_24const_host_device_scalarIT5_EEPKS2_PKS3_PKT2_PKT3_S7_PT4_21rocsparse_index_base_b.kd
    .uniform_work_group_size: 1
    .uses_dynamic_stack: false
    .vgpr_count:     10
    .vgpr_spill_count: 0
    .wavefront_size: 64
  - .agpr_count:     0
    .args:
      - .offset:         0
        .size:           1
        .value_kind:     by_value
      - .offset:         4
        .size:           4
        .value_kind:     by_value
      - .address_space:  global
        .offset:         8
        .size:           8
        .value_kind:     global_buffer
      - .actual_access:  read_only
        .address_space:  global
        .offset:         16
        .size:           8
        .value_kind:     global_buffer
      - .actual_access:  read_only
        .address_space:  global
        .offset:         24
        .size:           8
        .value_kind:     global_buffer
      - .offset:         32
        .size:           4
        .value_kind:     by_value
      - .offset:         40
        .size:           8
        .value_kind:     by_value
      - .actual_access:  read_only
        .address_space:  global
        .offset:         48
        .size:           8
        .value_kind:     global_buffer
      - .actual_access:  read_only
        .address_space:  global
        .offset:         56
        .size:           8
        .value_kind:     global_buffer
      - .actual_access:  read_only
        .address_space:  global
        .offset:         64
        .size:           8
        .value_kind:     global_buffer
      - .actual_access:  read_only
        .address_space:  global
        .offset:         72
        .size:           8
        .value_kind:     global_buffer
      - .offset:         80
        .size:           8
        .value_kind:     by_value
      - .address_space:  global
        .offset:         88
        .size:           8
        .value_kind:     global_buffer
      - .offset:         96
        .size:           4
        .value_kind:     by_value
      - .offset:         100
        .size:           1
        .value_kind:     by_value
    .group_segment_fixed_size: 1024
    .kernarg_segment_align: 8
    .kernarg_segment_size: 104
    .language:       OpenCL C
    .language_version:
      - 2
      - 0
    .max_flat_workgroup_size: 256
    .name:           _ZN9rocsparseL27csrmvn_lrb_long_rows_kernelIii18rocsparse_bfloat16S1_ffEEvbT_PjPT0_S5_jNS_24const_host_device_scalarIT4_EEPKS2_PKS4_PKT1_PKT2_S8_PT3_21rocsparse_index_base_b
    .private_segment_fixed_size: 0
    .sgpr_count:     32
    .sgpr_spill_count: 0
    .symbol:         _ZN9rocsparseL27csrmvn_lrb_long_rows_kernelIii18rocsparse_bfloat16S1_ffEEvbT_PjPT0_S5_jNS_24const_host_device_scalarIT4_EEPKS2_PKS4_PKT1_PKT2_S8_PT3_21rocsparse_index_base_b.kd
    .uniform_work_group_size: 1
    .uses_dynamic_stack: false
    .vgpr_count:     10
    .vgpr_spill_count: 0
    .wavefront_size: 64
  - .agpr_count:     0
    .args:
      - .offset:         0
        .size:           1
        .value_kind:     by_value
      - .offset:         8
        .size:           8
        .value_kind:     by_value
      - .actual_access:  read_only
        .address_space:  global
        .offset:         16
        .size:           8
        .value_kind:     global_buffer
      - .actual_access:  read_only
        .address_space:  global
        .offset:         24
        .size:           8
        .value_kind:     global_buffer
      - .offset:         32
        .size:           4
        .value_kind:     by_value
      - .offset:         40
        .size:           8
        .value_kind:     by_value
      - .actual_access:  read_only
        .address_space:  global
        .offset:         48
        .size:           8
        .value_kind:     global_buffer
      - .actual_access:  read_only
        .address_space:  global
        .offset:         56
        .size:           8
        .value_kind:     global_buffer
      - .actual_access:  read_only
        .address_space:  global
        .offset:         64
        .size:           8
        .value_kind:     global_buffer
      - .actual_access:  read_only
        .address_space:  global
        .offset:         72
        .size:           8
        .value_kind:     global_buffer
      - .offset:         80
        .size:           8
        .value_kind:     by_value
      - .address_space:  global
        .offset:         88
        .size:           8
        .value_kind:     global_buffer
      - .offset:         96
        .size:           4
        .value_kind:     by_value
      - .offset:         100
        .size:           1
        .value_kind:     by_value
    .group_segment_fixed_size: 0
    .kernarg_segment_align: 8
    .kernarg_segment_size: 104
    .language:       OpenCL C
    .language_version:
      - 2
      - 0
    .max_flat_workgroup_size: 256
    .name:           _ZN9rocsparseL28csrmvn_lrb_short_rows_kernelIli18rocsparse_bfloat16S1_ffEEvbT_PT0_S4_jNS_24const_host_device_scalarIT4_EEPKS2_PKS3_PKT1_PKT2_S7_PT3_21rocsparse_index_base_b
    .private_segment_fixed_size: 0
    .sgpr_count:     30
    .sgpr_spill_count: 0
    .symbol:         _ZN9rocsparseL28csrmvn_lrb_short_rows_kernelIli18rocsparse_bfloat16S1_ffEEvbT_PT0_S4_jNS_24const_host_device_scalarIT4_EEPKS2_PKS3_PKT1_PKT2_S7_PT3_21rocsparse_index_base_b.kd
    .uniform_work_group_size: 1
    .uses_dynamic_stack: false
    .vgpr_count:     10
    .vgpr_spill_count: 0
    .wavefront_size: 64
  - .agpr_count:     0
    .args:
      - .offset:         0
        .size:           1
        .value_kind:     by_value
      - .offset:         8
        .size:           8
        .value_kind:     by_value
      - .actual_access:  read_only
        .address_space:  global
        .offset:         16
        .size:           8
        .value_kind:     global_buffer
      - .actual_access:  read_only
        .address_space:  global
        .offset:         24
        .size:           8
        .value_kind:     global_buffer
      - .offset:         32
        .size:           4
        .value_kind:     by_value
      - .offset:         40
        .size:           8
        .value_kind:     by_value
      - .actual_access:  read_only
        .address_space:  global
        .offset:         48
        .size:           8
        .value_kind:     global_buffer
      - .actual_access:  read_only
        .address_space:  global
        .offset:         56
        .size:           8
        .value_kind:     global_buffer
      - .actual_access:  read_only
        .address_space:  global
        .offset:         64
        .size:           8
        .value_kind:     global_buffer
      - .actual_access:  read_only
        .address_space:  global
        .offset:         72
        .size:           8
        .value_kind:     global_buffer
      - .offset:         80
        .size:           8
        .value_kind:     by_value
      - .address_space:  global
        .offset:         88
        .size:           8
        .value_kind:     global_buffer
      - .offset:         96
        .size:           4
        .value_kind:     by_value
      - .offset:         100
        .size:           1
        .value_kind:     by_value
    .group_segment_fixed_size: 4096
    .kernarg_segment_align: 8
    .kernarg_segment_size: 104
    .language:       OpenCL C
    .language_version:
      - 2
      - 0
    .max_flat_workgroup_size: 256
    .name:           _ZN9rocsparseL30csrmvn_lrb_short_rows_2_kernelIli18rocsparse_bfloat16S1_ffEEvbT_PT0_S4_jNS_24const_host_device_scalarIT4_EEPKS2_PKS3_PKT1_PKT2_S7_PT3_21rocsparse_index_base_b
    .private_segment_fixed_size: 0
    .sgpr_count:     32
    .sgpr_spill_count: 0
    .symbol:         _ZN9rocsparseL30csrmvn_lrb_short_rows_2_kernelIli18rocsparse_bfloat16S1_ffEEvbT_PT0_S4_jNS_24const_host_device_scalarIT4_EEPKS2_PKS3_PKT1_PKT2_S7_PT3_21rocsparse_index_base_b.kd
    .uniform_work_group_size: 1
    .uses_dynamic_stack: false
    .vgpr_count:     10
    .vgpr_spill_count: 0
    .wavefront_size: 64
  - .agpr_count:     0
    .args:
      - .offset:         0
        .size:           1
        .value_kind:     by_value
      - .offset:         8
        .size:           8
        .value_kind:     by_value
      - .offset:         16
        .size:           8
        .value_kind:     by_value
      - .actual_access:  read_only
        .address_space:  global
        .offset:         24
        .size:           8
        .value_kind:     global_buffer
      - .actual_access:  read_only
        .address_space:  global
        .offset:         32
        .size:           8
        .value_kind:     global_buffer
      - .offset:         40
        .size:           4
        .value_kind:     by_value
      - .offset:         48
        .size:           8
        .value_kind:     by_value
      - .actual_access:  read_only
        .address_space:  global
        .offset:         56
        .size:           8
        .value_kind:     global_buffer
      - .actual_access:  read_only
        .address_space:  global
        .offset:         64
        .size:           8
        .value_kind:     global_buffer
      - .actual_access:  read_only
        .address_space:  global
        .offset:         72
        .size:           8
        .value_kind:     global_buffer
      - .actual_access:  read_only
        .address_space:  global
        .offset:         80
        .size:           8
        .value_kind:     global_buffer
      - .offset:         88
        .size:           8
        .value_kind:     by_value
      - .address_space:  global
        .offset:         96
        .size:           8
        .value_kind:     global_buffer
      - .offset:         104
        .size:           4
        .value_kind:     by_value
      - .offset:         108
        .size:           1
        .value_kind:     by_value
    .group_segment_fixed_size: 0
    .kernarg_segment_align: 8
    .kernarg_segment_size: 112
    .language:       OpenCL C
    .language_version:
      - 2
      - 0
    .max_flat_workgroup_size: 256
    .name:           _ZN9rocsparseL41csrmvn_lrb_medium_rows_warp_reduce_kernelILj256ELj32Eli18rocsparse_bfloat16S1_ffEEvbT1_lPT2_S4_jNS_24const_host_device_scalarIT6_EEPKS2_PKS3_PKT3_PKT4_S7_PT5_21rocsparse_index_base_b
    .private_segment_fixed_size: 0
    .sgpr_count:     24
    .sgpr_spill_count: 0
    .symbol:         _ZN9rocsparseL41csrmvn_lrb_medium_rows_warp_reduce_kernelILj256ELj32Eli18rocsparse_bfloat16S1_ffEEvbT1_lPT2_S4_jNS_24const_host_device_scalarIT6_EEPKS2_PKS3_PKT3_PKT4_S7_PT5_21rocsparse_index_base_b.kd
    .uniform_work_group_size: 1
    .uses_dynamic_stack: false
    .vgpr_count:     17
    .vgpr_spill_count: 0
    .wavefront_size: 64
  - .agpr_count:     0
    .args:
      - .offset:         0
        .size:           1
        .value_kind:     by_value
      - .offset:         8
        .size:           8
        .value_kind:     by_value
      - .offset:         16
        .size:           8
        .value_kind:     by_value
      - .actual_access:  read_only
        .address_space:  global
        .offset:         24
        .size:           8
        .value_kind:     global_buffer
      - .actual_access:  read_only
        .address_space:  global
        .offset:         32
        .size:           8
        .value_kind:     global_buffer
      - .offset:         40
        .size:           4
        .value_kind:     by_value
      - .offset:         48
        .size:           8
        .value_kind:     by_value
      - .actual_access:  read_only
        .address_space:  global
        .offset:         56
        .size:           8
        .value_kind:     global_buffer
      - .actual_access:  read_only
        .address_space:  global
        .offset:         64
        .size:           8
        .value_kind:     global_buffer
      - .actual_access:  read_only
        .address_space:  global
        .offset:         72
        .size:           8
        .value_kind:     global_buffer
      - .actual_access:  read_only
        .address_space:  global
        .offset:         80
        .size:           8
        .value_kind:     global_buffer
      - .offset:         88
        .size:           8
        .value_kind:     by_value
      - .address_space:  global
        .offset:         96
        .size:           8
        .value_kind:     global_buffer
      - .offset:         104
        .size:           4
        .value_kind:     by_value
      - .offset:         108
        .size:           1
        .value_kind:     by_value
    .group_segment_fixed_size: 0
    .kernarg_segment_align: 8
    .kernarg_segment_size: 112
    .language:       OpenCL C
    .language_version:
      - 2
      - 0
    .max_flat_workgroup_size: 256
    .name:           _ZN9rocsparseL41csrmvn_lrb_medium_rows_warp_reduce_kernelILj256ELj64Eli18rocsparse_bfloat16S1_ffEEvbT1_lPT2_S4_jNS_24const_host_device_scalarIT6_EEPKS2_PKS3_PKT3_PKT4_S7_PT5_21rocsparse_index_base_b
    .private_segment_fixed_size: 0
    .sgpr_count:     24
    .sgpr_spill_count: 0
    .symbol:         _ZN9rocsparseL41csrmvn_lrb_medium_rows_warp_reduce_kernelILj256ELj64Eli18rocsparse_bfloat16S1_ffEEvbT1_lPT2_S4_jNS_24const_host_device_scalarIT6_EEPKS2_PKS3_PKT3_PKT4_S7_PT5_21rocsparse_index_base_b.kd
    .uniform_work_group_size: 1
    .uses_dynamic_stack: false
    .vgpr_count:     17
    .vgpr_spill_count: 0
    .wavefront_size: 64
  - .agpr_count:     0
    .args:
      - .offset:         0
        .size:           1
        .value_kind:     by_value
      - .offset:         8
        .size:           8
        .value_kind:     by_value
      - .actual_access:  read_only
        .address_space:  global
        .offset:         16
        .size:           8
        .value_kind:     global_buffer
      - .actual_access:  read_only
        .address_space:  global
        .offset:         24
        .size:           8
        .value_kind:     global_buffer
      - .offset:         32
        .size:           4
        .value_kind:     by_value
      - .offset:         40
        .size:           8
        .value_kind:     by_value
      - .actual_access:  read_only
        .address_space:  global
        .offset:         48
        .size:           8
        .value_kind:     global_buffer
      - .actual_access:  read_only
        .address_space:  global
        .offset:         56
        .size:           8
        .value_kind:     global_buffer
      - .actual_access:  read_only
        .address_space:  global
        .offset:         64
        .size:           8
        .value_kind:     global_buffer
      - .actual_access:  read_only
        .address_space:  global
        .offset:         72
        .size:           8
        .value_kind:     global_buffer
      - .offset:         80
        .size:           8
        .value_kind:     by_value
      - .address_space:  global
        .offset:         88
        .size:           8
        .value_kind:     global_buffer
      - .offset:         96
        .size:           4
        .value_kind:     by_value
      - .offset:         100
        .size:           1
        .value_kind:     by_value
    .group_segment_fixed_size: 1024
    .kernarg_segment_align: 8
    .kernarg_segment_size: 104
    .language:       OpenCL C
    .language_version:
      - 2
      - 0
    .max_flat_workgroup_size: 256
    .name:           _ZN9rocsparseL29csrmvn_lrb_medium_rows_kernelILj256Eli18rocsparse_bfloat16S1_ffEEvbT0_PT1_S4_jNS_24const_host_device_scalarIT5_EEPKS2_PKS3_PKT2_PKT3_S7_PT4_21rocsparse_index_base_b
    .private_segment_fixed_size: 0
    .sgpr_count:     28
    .sgpr_spill_count: 0
    .symbol:         _ZN9rocsparseL29csrmvn_lrb_medium_rows_kernelILj256Eli18rocsparse_bfloat16S1_ffEEvbT0_PT1_S4_jNS_24const_host_device_scalarIT5_EEPKS2_PKS3_PKT2_PKT3_S7_PT4_21rocsparse_index_base_b.kd
    .uniform_work_group_size: 1
    .uses_dynamic_stack: false
    .vgpr_count:     13
    .vgpr_spill_count: 0
    .wavefront_size: 64
  - .agpr_count:     0
    .args:
      - .offset:         0
        .size:           1
        .value_kind:     by_value
      - .offset:         8
        .size:           8
        .value_kind:     by_value
      - .address_space:  global
        .offset:         16
        .size:           8
        .value_kind:     global_buffer
      - .actual_access:  read_only
        .address_space:  global
        .offset:         24
        .size:           8
        .value_kind:     global_buffer
      - .actual_access:  read_only
        .address_space:  global
        .offset:         32
        .size:           8
        .value_kind:     global_buffer
      - .offset:         40
        .size:           4
        .value_kind:     by_value
      - .offset:         48
        .size:           8
        .value_kind:     by_value
      - .actual_access:  read_only
        .address_space:  global
        .offset:         56
        .size:           8
        .value_kind:     global_buffer
      - .actual_access:  read_only
        .address_space:  global
        .offset:         64
        .size:           8
        .value_kind:     global_buffer
      - .actual_access:  read_only
        .address_space:  global
        .offset:         72
        .size:           8
        .value_kind:     global_buffer
      - .actual_access:  read_only
        .address_space:  global
        .offset:         80
        .size:           8
        .value_kind:     global_buffer
      - .offset:         88
        .size:           8
        .value_kind:     by_value
      - .address_space:  global
        .offset:         96
        .size:           8
        .value_kind:     global_buffer
      - .offset:         104
        .size:           4
        .value_kind:     by_value
      - .offset:         108
        .size:           1
        .value_kind:     by_value
    .group_segment_fixed_size: 1024
    .kernarg_segment_align: 8
    .kernarg_segment_size: 112
    .language:       OpenCL C
    .language_version:
      - 2
      - 0
    .max_flat_workgroup_size: 256
    .name:           _ZN9rocsparseL27csrmvn_lrb_long_rows_kernelIli18rocsparse_bfloat16S1_ffEEvbT_PjPT0_S5_jNS_24const_host_device_scalarIT4_EEPKS2_PKS4_PKT1_PKT2_S8_PT3_21rocsparse_index_base_b
    .private_segment_fixed_size: 0
    .sgpr_count:     34
    .sgpr_spill_count: 0
    .symbol:         _ZN9rocsparseL27csrmvn_lrb_long_rows_kernelIli18rocsparse_bfloat16S1_ffEEvbT_PjPT0_S5_jNS_24const_host_device_scalarIT4_EEPKS2_PKS4_PKT1_PKT2_S8_PT3_21rocsparse_index_base_b.kd
    .uniform_work_group_size: 1
    .uses_dynamic_stack: false
    .vgpr_count:     13
    .vgpr_spill_count: 0
    .wavefront_size: 64
  - .agpr_count:     0
    .args:
      - .offset:         0
        .size:           1
        .value_kind:     by_value
      - .offset:         8
        .size:           8
        .value_kind:     by_value
      - .actual_access:  read_only
        .address_space:  global
        .offset:         16
        .size:           8
        .value_kind:     global_buffer
      - .actual_access:  read_only
        .address_space:  global
        .offset:         24
        .size:           8
        .value_kind:     global_buffer
      - .offset:         32
        .size:           4
        .value_kind:     by_value
      - .offset:         40
        .size:           8
        .value_kind:     by_value
      - .actual_access:  read_only
        .address_space:  global
        .offset:         48
        .size:           8
        .value_kind:     global_buffer
      - .actual_access:  read_only
        .address_space:  global
        .offset:         56
        .size:           8
        .value_kind:     global_buffer
      - .actual_access:  read_only
        .address_space:  global
        .offset:         64
        .size:           8
        .value_kind:     global_buffer
      - .actual_access:  read_only
        .address_space:  global
        .offset:         72
        .size:           8
        .value_kind:     global_buffer
      - .offset:         80
        .size:           8
        .value_kind:     by_value
      - .address_space:  global
        .offset:         88
        .size:           8
        .value_kind:     global_buffer
      - .offset:         96
        .size:           4
        .value_kind:     by_value
      - .offset:         100
        .size:           1
        .value_kind:     by_value
    .group_segment_fixed_size: 0
    .kernarg_segment_align: 8
    .kernarg_segment_size: 104
    .language:       OpenCL C
    .language_version:
      - 2
      - 0
    .max_flat_workgroup_size: 256
    .name:           _ZN9rocsparseL28csrmvn_lrb_short_rows_kernelIll18rocsparse_bfloat16S1_ffEEvbT_PT0_S4_jNS_24const_host_device_scalarIT4_EEPKS2_PKS3_PKT1_PKT2_S7_PT3_21rocsparse_index_base_b
    .private_segment_fixed_size: 0
    .sgpr_count:     33
    .sgpr_spill_count: 0
    .symbol:         _ZN9rocsparseL28csrmvn_lrb_short_rows_kernelIll18rocsparse_bfloat16S1_ffEEvbT_PT0_S4_jNS_24const_host_device_scalarIT4_EEPKS2_PKS3_PKT1_PKT2_S7_PT3_21rocsparse_index_base_b.kd
    .uniform_work_group_size: 1
    .uses_dynamic_stack: false
    .vgpr_count:     12
    .vgpr_spill_count: 0
    .wavefront_size: 64
  - .agpr_count:     0
    .args:
      - .offset:         0
        .size:           1
        .value_kind:     by_value
      - .offset:         8
        .size:           8
        .value_kind:     by_value
      - .actual_access:  read_only
        .address_space:  global
        .offset:         16
        .size:           8
        .value_kind:     global_buffer
      - .actual_access:  read_only
        .address_space:  global
        .offset:         24
        .size:           8
        .value_kind:     global_buffer
      - .offset:         32
        .size:           4
        .value_kind:     by_value
      - .offset:         40
        .size:           8
        .value_kind:     by_value
      - .actual_access:  read_only
        .address_space:  global
        .offset:         48
        .size:           8
        .value_kind:     global_buffer
      - .actual_access:  read_only
        .address_space:  global
        .offset:         56
        .size:           8
        .value_kind:     global_buffer
      - .actual_access:  read_only
        .address_space:  global
        .offset:         64
        .size:           8
        .value_kind:     global_buffer
      - .actual_access:  read_only
        .address_space:  global
        .offset:         72
        .size:           8
        .value_kind:     global_buffer
      - .offset:         80
        .size:           8
        .value_kind:     by_value
      - .address_space:  global
        .offset:         88
        .size:           8
        .value_kind:     global_buffer
      - .offset:         96
        .size:           4
        .value_kind:     by_value
      - .offset:         100
        .size:           1
        .value_kind:     by_value
    .group_segment_fixed_size: 4096
    .kernarg_segment_align: 8
    .kernarg_segment_size: 104
    .language:       OpenCL C
    .language_version:
      - 2
      - 0
    .max_flat_workgroup_size: 256
    .name:           _ZN9rocsparseL30csrmvn_lrb_short_rows_2_kernelIll18rocsparse_bfloat16S1_ffEEvbT_PT0_S4_jNS_24const_host_device_scalarIT4_EEPKS2_PKS3_PKT1_PKT2_S7_PT3_21rocsparse_index_base_b
    .private_segment_fixed_size: 0
    .sgpr_count:     34
    .sgpr_spill_count: 0
    .symbol:         _ZN9rocsparseL30csrmvn_lrb_short_rows_2_kernelIll18rocsparse_bfloat16S1_ffEEvbT_PT0_S4_jNS_24const_host_device_scalarIT4_EEPKS2_PKS3_PKT1_PKT2_S7_PT3_21rocsparse_index_base_b.kd
    .uniform_work_group_size: 1
    .uses_dynamic_stack: false
    .vgpr_count:     10
    .vgpr_spill_count: 0
    .wavefront_size: 64
  - .agpr_count:     0
    .args:
      - .offset:         0
        .size:           1
        .value_kind:     by_value
      - .offset:         8
        .size:           8
        .value_kind:     by_value
      - .offset:         16
        .size:           8
        .value_kind:     by_value
      - .actual_access:  read_only
        .address_space:  global
        .offset:         24
        .size:           8
        .value_kind:     global_buffer
      - .actual_access:  read_only
        .address_space:  global
        .offset:         32
        .size:           8
        .value_kind:     global_buffer
      - .offset:         40
        .size:           4
        .value_kind:     by_value
      - .offset:         48
        .size:           8
        .value_kind:     by_value
      - .actual_access:  read_only
        .address_space:  global
        .offset:         56
        .size:           8
        .value_kind:     global_buffer
      - .actual_access:  read_only
        .address_space:  global
        .offset:         64
        .size:           8
        .value_kind:     global_buffer
      - .actual_access:  read_only
        .address_space:  global
        .offset:         72
        .size:           8
        .value_kind:     global_buffer
      - .actual_access:  read_only
        .address_space:  global
        .offset:         80
        .size:           8
        .value_kind:     global_buffer
      - .offset:         88
        .size:           8
        .value_kind:     by_value
      - .address_space:  global
        .offset:         96
        .size:           8
        .value_kind:     global_buffer
      - .offset:         104
        .size:           4
        .value_kind:     by_value
      - .offset:         108
        .size:           1
        .value_kind:     by_value
    .group_segment_fixed_size: 0
    .kernarg_segment_align: 8
    .kernarg_segment_size: 112
    .language:       OpenCL C
    .language_version:
      - 2
      - 0
    .max_flat_workgroup_size: 256
    .name:           _ZN9rocsparseL41csrmvn_lrb_medium_rows_warp_reduce_kernelILj256ELj32Ell18rocsparse_bfloat16S1_ffEEvbT1_lPT2_S4_jNS_24const_host_device_scalarIT6_EEPKS2_PKS3_PKT3_PKT4_S7_PT5_21rocsparse_index_base_b
    .private_segment_fixed_size: 0
    .sgpr_count:     24
    .sgpr_spill_count: 0
    .symbol:         _ZN9rocsparseL41csrmvn_lrb_medium_rows_warp_reduce_kernelILj256ELj32Ell18rocsparse_bfloat16S1_ffEEvbT1_lPT2_S4_jNS_24const_host_device_scalarIT6_EEPKS2_PKS3_PKT3_PKT4_S7_PT5_21rocsparse_index_base_b.kd
    .uniform_work_group_size: 1
    .uses_dynamic_stack: false
    .vgpr_count:     17
    .vgpr_spill_count: 0
    .wavefront_size: 64
  - .agpr_count:     0
    .args:
      - .offset:         0
        .size:           1
        .value_kind:     by_value
      - .offset:         8
        .size:           8
        .value_kind:     by_value
      - .offset:         16
        .size:           8
        .value_kind:     by_value
      - .actual_access:  read_only
        .address_space:  global
        .offset:         24
        .size:           8
        .value_kind:     global_buffer
      - .actual_access:  read_only
        .address_space:  global
        .offset:         32
        .size:           8
        .value_kind:     global_buffer
      - .offset:         40
        .size:           4
        .value_kind:     by_value
      - .offset:         48
        .size:           8
        .value_kind:     by_value
      - .actual_access:  read_only
        .address_space:  global
        .offset:         56
        .size:           8
        .value_kind:     global_buffer
      - .actual_access:  read_only
        .address_space:  global
        .offset:         64
        .size:           8
        .value_kind:     global_buffer
      - .actual_access:  read_only
        .address_space:  global
        .offset:         72
        .size:           8
        .value_kind:     global_buffer
      - .actual_access:  read_only
        .address_space:  global
        .offset:         80
        .size:           8
        .value_kind:     global_buffer
      - .offset:         88
        .size:           8
        .value_kind:     by_value
      - .address_space:  global
        .offset:         96
        .size:           8
        .value_kind:     global_buffer
      - .offset:         104
        .size:           4
        .value_kind:     by_value
      - .offset:         108
        .size:           1
        .value_kind:     by_value
    .group_segment_fixed_size: 0
    .kernarg_segment_align: 8
    .kernarg_segment_size: 112
    .language:       OpenCL C
    .language_version:
      - 2
      - 0
    .max_flat_workgroup_size: 256
    .name:           _ZN9rocsparseL41csrmvn_lrb_medium_rows_warp_reduce_kernelILj256ELj64Ell18rocsparse_bfloat16S1_ffEEvbT1_lPT2_S4_jNS_24const_host_device_scalarIT6_EEPKS2_PKS3_PKT3_PKT4_S7_PT5_21rocsparse_index_base_b
    .private_segment_fixed_size: 0
    .sgpr_count:     24
    .sgpr_spill_count: 0
    .symbol:         _ZN9rocsparseL41csrmvn_lrb_medium_rows_warp_reduce_kernelILj256ELj64Ell18rocsparse_bfloat16S1_ffEEvbT1_lPT2_S4_jNS_24const_host_device_scalarIT6_EEPKS2_PKS3_PKT3_PKT4_S7_PT5_21rocsparse_index_base_b.kd
    .uniform_work_group_size: 1
    .uses_dynamic_stack: false
    .vgpr_count:     17
    .vgpr_spill_count: 0
    .wavefront_size: 64
  - .agpr_count:     0
    .args:
      - .offset:         0
        .size:           1
        .value_kind:     by_value
      - .offset:         8
        .size:           8
        .value_kind:     by_value
      - .actual_access:  read_only
        .address_space:  global
        .offset:         16
        .size:           8
        .value_kind:     global_buffer
      - .actual_access:  read_only
        .address_space:  global
        .offset:         24
        .size:           8
        .value_kind:     global_buffer
      - .offset:         32
        .size:           4
        .value_kind:     by_value
      - .offset:         40
        .size:           8
        .value_kind:     by_value
      - .actual_access:  read_only
        .address_space:  global
        .offset:         48
        .size:           8
        .value_kind:     global_buffer
      - .actual_access:  read_only
        .address_space:  global
        .offset:         56
        .size:           8
        .value_kind:     global_buffer
      - .actual_access:  read_only
        .address_space:  global
        .offset:         64
        .size:           8
        .value_kind:     global_buffer
      - .actual_access:  read_only
        .address_space:  global
        .offset:         72
        .size:           8
        .value_kind:     global_buffer
      - .offset:         80
        .size:           8
        .value_kind:     by_value
      - .address_space:  global
        .offset:         88
        .size:           8
        .value_kind:     global_buffer
      - .offset:         96
        .size:           4
        .value_kind:     by_value
      - .offset:         100
        .size:           1
        .value_kind:     by_value
    .group_segment_fixed_size: 1024
    .kernarg_segment_align: 8
    .kernarg_segment_size: 104
    .language:       OpenCL C
    .language_version:
      - 2
      - 0
    .max_flat_workgroup_size: 256
    .name:           _ZN9rocsparseL29csrmvn_lrb_medium_rows_kernelILj256Ell18rocsparse_bfloat16S1_ffEEvbT0_PT1_S4_jNS_24const_host_device_scalarIT5_EEPKS2_PKS3_PKT2_PKT3_S7_PT4_21rocsparse_index_base_b
    .private_segment_fixed_size: 0
    .sgpr_count:     28
    .sgpr_spill_count: 0
    .symbol:         _ZN9rocsparseL29csrmvn_lrb_medium_rows_kernelILj256Ell18rocsparse_bfloat16S1_ffEEvbT0_PT1_S4_jNS_24const_host_device_scalarIT5_EEPKS2_PKS3_PKT2_PKT3_S7_PT4_21rocsparse_index_base_b.kd
    .uniform_work_group_size: 1
    .uses_dynamic_stack: false
    .vgpr_count:     13
    .vgpr_spill_count: 0
    .wavefront_size: 64
  - .agpr_count:     0
    .args:
      - .offset:         0
        .size:           1
        .value_kind:     by_value
      - .offset:         8
        .size:           8
        .value_kind:     by_value
      - .address_space:  global
        .offset:         16
        .size:           8
        .value_kind:     global_buffer
      - .actual_access:  read_only
        .address_space:  global
        .offset:         24
        .size:           8
        .value_kind:     global_buffer
      - .actual_access:  read_only
        .address_space:  global
        .offset:         32
        .size:           8
        .value_kind:     global_buffer
      - .offset:         40
        .size:           4
        .value_kind:     by_value
      - .offset:         48
        .size:           8
        .value_kind:     by_value
      - .actual_access:  read_only
        .address_space:  global
        .offset:         56
        .size:           8
        .value_kind:     global_buffer
      - .actual_access:  read_only
        .address_space:  global
        .offset:         64
        .size:           8
        .value_kind:     global_buffer
      - .actual_access:  read_only
        .address_space:  global
        .offset:         72
        .size:           8
        .value_kind:     global_buffer
      - .actual_access:  read_only
        .address_space:  global
        .offset:         80
        .size:           8
        .value_kind:     global_buffer
      - .offset:         88
        .size:           8
        .value_kind:     by_value
      - .address_space:  global
        .offset:         96
        .size:           8
        .value_kind:     global_buffer
      - .offset:         104
        .size:           4
        .value_kind:     by_value
      - .offset:         108
        .size:           1
        .value_kind:     by_value
    .group_segment_fixed_size: 1024
    .kernarg_segment_align: 8
    .kernarg_segment_size: 112
    .language:       OpenCL C
    .language_version:
      - 2
      - 0
    .max_flat_workgroup_size: 256
    .name:           _ZN9rocsparseL27csrmvn_lrb_long_rows_kernelIll18rocsparse_bfloat16S1_ffEEvbT_PjPT0_S5_jNS_24const_host_device_scalarIT4_EEPKS2_PKS4_PKT1_PKT2_S8_PT3_21rocsparse_index_base_b
    .private_segment_fixed_size: 0
    .sgpr_count:     36
    .sgpr_spill_count: 0
    .symbol:         _ZN9rocsparseL27csrmvn_lrb_long_rows_kernelIll18rocsparse_bfloat16S1_ffEEvbT_PjPT0_S5_jNS_24const_host_device_scalarIT4_EEPKS2_PKS4_PKT1_PKT2_S8_PT3_21rocsparse_index_base_b.kd
    .uniform_work_group_size: 1
    .uses_dynamic_stack: false
    .vgpr_count:     13
    .vgpr_spill_count: 0
    .wavefront_size: 64
  - .agpr_count:     0
    .args:
      - .offset:         0
        .size:           1
        .value_kind:     by_value
      - .offset:         4
        .size:           4
        .value_kind:     by_value
      - .actual_access:  read_only
        .address_space:  global
        .offset:         8
        .size:           8
        .value_kind:     global_buffer
      - .actual_access:  read_only
        .address_space:  global
        .offset:         16
        .size:           8
        .value_kind:     global_buffer
      - .offset:         24
        .size:           4
        .value_kind:     by_value
      - .offset:         32
        .size:           8
        .value_kind:     by_value
      - .actual_access:  read_only
        .address_space:  global
        .offset:         40
        .size:           8
        .value_kind:     global_buffer
      - .actual_access:  read_only
        .address_space:  global
        .offset:         48
        .size:           8
        .value_kind:     global_buffer
      - .actual_access:  read_only
        .address_space:  global
        .offset:         56
        .size:           8
        .value_kind:     global_buffer
      - .actual_access:  read_only
        .address_space:  global
        .offset:         64
        .size:           8
        .value_kind:     global_buffer
      - .offset:         72
        .size:           8
        .value_kind:     by_value
      - .address_space:  global
        .offset:         80
        .size:           8
        .value_kind:     global_buffer
      - .offset:         88
        .size:           4
        .value_kind:     by_value
      - .offset:         92
        .size:           1
        .value_kind:     by_value
    .group_segment_fixed_size: 0
    .kernarg_segment_align: 8
    .kernarg_segment_size: 96
    .language:       OpenCL C
    .language_version:
      - 2
      - 0
    .max_flat_workgroup_size: 256
    .name:           _ZN9rocsparseL28csrmvn_lrb_short_rows_kernelIiif21rocsparse_complex_numIfES2_S2_EEvbT_PT0_S5_jNS_24const_host_device_scalarIT4_EEPKS3_PKS4_PKT1_PKT2_S8_PT3_21rocsparse_index_base_b
    .private_segment_fixed_size: 0
    .sgpr_count:     27
    .sgpr_spill_count: 0
    .symbol:         _ZN9rocsparseL28csrmvn_lrb_short_rows_kernelIiif21rocsparse_complex_numIfES2_S2_EEvbT_PT0_S5_jNS_24const_host_device_scalarIT4_EEPKS3_PKS4_PKT1_PKT2_S8_PT3_21rocsparse_index_base_b.kd
    .uniform_work_group_size: 1
    .uses_dynamic_stack: false
    .vgpr_count:     18
    .vgpr_spill_count: 0
    .wavefront_size: 64
  - .agpr_count:     0
    .args:
      - .offset:         0
        .size:           1
        .value_kind:     by_value
      - .offset:         4
        .size:           4
        .value_kind:     by_value
      - .actual_access:  read_only
        .address_space:  global
        .offset:         8
        .size:           8
        .value_kind:     global_buffer
      - .actual_access:  read_only
        .address_space:  global
        .offset:         16
        .size:           8
        .value_kind:     global_buffer
      - .offset:         24
        .size:           4
        .value_kind:     by_value
      - .offset:         32
        .size:           8
        .value_kind:     by_value
      - .actual_access:  read_only
        .address_space:  global
        .offset:         40
        .size:           8
        .value_kind:     global_buffer
      - .actual_access:  read_only
        .address_space:  global
        .offset:         48
        .size:           8
        .value_kind:     global_buffer
      - .actual_access:  read_only
        .address_space:  global
        .offset:         56
        .size:           8
        .value_kind:     global_buffer
      - .actual_access:  read_only
        .address_space:  global
        .offset:         64
        .size:           8
        .value_kind:     global_buffer
      - .offset:         72
        .size:           8
        .value_kind:     by_value
      - .address_space:  global
        .offset:         80
        .size:           8
        .value_kind:     global_buffer
      - .offset:         88
        .size:           4
        .value_kind:     by_value
      - .offset:         92
        .size:           1
        .value_kind:     by_value
    .group_segment_fixed_size: 8192
    .kernarg_segment_align: 8
    .kernarg_segment_size: 96
    .language:       OpenCL C
    .language_version:
      - 2
      - 0
    .max_flat_workgroup_size: 256
    .name:           _ZN9rocsparseL30csrmvn_lrb_short_rows_2_kernelIiif21rocsparse_complex_numIfES2_S2_EEvbT_PT0_S5_jNS_24const_host_device_scalarIT4_EEPKS3_PKS4_PKT1_PKT2_S8_PT3_21rocsparse_index_base_b
    .private_segment_fixed_size: 0
    .sgpr_count:     28
    .sgpr_spill_count: 0
    .symbol:         _ZN9rocsparseL30csrmvn_lrb_short_rows_2_kernelIiif21rocsparse_complex_numIfES2_S2_EEvbT_PT0_S5_jNS_24const_host_device_scalarIT4_EEPKS3_PKS4_PKT1_PKT2_S8_PT3_21rocsparse_index_base_b.kd
    .uniform_work_group_size: 1
    .uses_dynamic_stack: false
    .vgpr_count:     16
    .vgpr_spill_count: 0
    .wavefront_size: 64
  - .agpr_count:     0
    .args:
      - .offset:         0
        .size:           1
        .value_kind:     by_value
      - .offset:         4
        .size:           4
        .value_kind:     by_value
      - .offset:         8
        .size:           8
        .value_kind:     by_value
      - .actual_access:  read_only
        .address_space:  global
        .offset:         16
        .size:           8
        .value_kind:     global_buffer
      - .actual_access:  read_only
        .address_space:  global
        .offset:         24
        .size:           8
        .value_kind:     global_buffer
      - .offset:         32
        .size:           4
        .value_kind:     by_value
      - .offset:         40
        .size:           8
        .value_kind:     by_value
      - .actual_access:  read_only
        .address_space:  global
        .offset:         48
        .size:           8
        .value_kind:     global_buffer
      - .actual_access:  read_only
        .address_space:  global
        .offset:         56
        .size:           8
        .value_kind:     global_buffer
      - .actual_access:  read_only
        .address_space:  global
        .offset:         64
        .size:           8
        .value_kind:     global_buffer
      - .actual_access:  read_only
        .address_space:  global
        .offset:         72
        .size:           8
        .value_kind:     global_buffer
      - .offset:         80
        .size:           8
        .value_kind:     by_value
      - .address_space:  global
        .offset:         88
        .size:           8
        .value_kind:     global_buffer
      - .offset:         96
        .size:           4
        .value_kind:     by_value
      - .offset:         100
        .size:           1
        .value_kind:     by_value
    .group_segment_fixed_size: 0
    .kernarg_segment_align: 8
    .kernarg_segment_size: 104
    .language:       OpenCL C
    .language_version:
      - 2
      - 0
    .max_flat_workgroup_size: 256
    .name:           _ZN9rocsparseL41csrmvn_lrb_medium_rows_warp_reduce_kernelILj256ELj32Eiif21rocsparse_complex_numIfES2_S2_EEvbT1_lPT2_S5_jNS_24const_host_device_scalarIT6_EEPKS3_PKS4_PKT3_PKT4_S8_PT5_21rocsparse_index_base_b
    .private_segment_fixed_size: 0
    .sgpr_count:     20
    .sgpr_spill_count: 0
    .symbol:         _ZN9rocsparseL41csrmvn_lrb_medium_rows_warp_reduce_kernelILj256ELj32Eiif21rocsparse_complex_numIfES2_S2_EEvbT1_lPT2_S5_jNS_24const_host_device_scalarIT6_EEPKS3_PKS4_PKT3_PKT4_S8_PT5_21rocsparse_index_base_b.kd
    .uniform_work_group_size: 1
    .uses_dynamic_stack: false
    .vgpr_count:     22
    .vgpr_spill_count: 0
    .wavefront_size: 64
  - .agpr_count:     0
    .args:
      - .offset:         0
        .size:           1
        .value_kind:     by_value
      - .offset:         4
        .size:           4
        .value_kind:     by_value
      - .offset:         8
        .size:           8
        .value_kind:     by_value
      - .actual_access:  read_only
        .address_space:  global
        .offset:         16
        .size:           8
        .value_kind:     global_buffer
      - .actual_access:  read_only
        .address_space:  global
        .offset:         24
        .size:           8
        .value_kind:     global_buffer
      - .offset:         32
        .size:           4
        .value_kind:     by_value
      - .offset:         40
        .size:           8
        .value_kind:     by_value
      - .actual_access:  read_only
        .address_space:  global
        .offset:         48
        .size:           8
        .value_kind:     global_buffer
      - .actual_access:  read_only
        .address_space:  global
        .offset:         56
        .size:           8
        .value_kind:     global_buffer
      - .actual_access:  read_only
        .address_space:  global
        .offset:         64
        .size:           8
        .value_kind:     global_buffer
      - .actual_access:  read_only
        .address_space:  global
        .offset:         72
        .size:           8
        .value_kind:     global_buffer
      - .offset:         80
        .size:           8
        .value_kind:     by_value
      - .address_space:  global
        .offset:         88
        .size:           8
        .value_kind:     global_buffer
      - .offset:         96
        .size:           4
        .value_kind:     by_value
      - .offset:         100
        .size:           1
        .value_kind:     by_value
    .group_segment_fixed_size: 0
    .kernarg_segment_align: 8
    .kernarg_segment_size: 104
    .language:       OpenCL C
    .language_version:
      - 2
      - 0
    .max_flat_workgroup_size: 256
    .name:           _ZN9rocsparseL41csrmvn_lrb_medium_rows_warp_reduce_kernelILj256ELj64Eiif21rocsparse_complex_numIfES2_S2_EEvbT1_lPT2_S5_jNS_24const_host_device_scalarIT6_EEPKS3_PKS4_PKT3_PKT4_S8_PT5_21rocsparse_index_base_b
    .private_segment_fixed_size: 0
    .sgpr_count:     20
    .sgpr_spill_count: 0
    .symbol:         _ZN9rocsparseL41csrmvn_lrb_medium_rows_warp_reduce_kernelILj256ELj64Eiif21rocsparse_complex_numIfES2_S2_EEvbT1_lPT2_S5_jNS_24const_host_device_scalarIT6_EEPKS3_PKS4_PKT3_PKT4_S8_PT5_21rocsparse_index_base_b.kd
    .uniform_work_group_size: 1
    .uses_dynamic_stack: false
    .vgpr_count:     22
    .vgpr_spill_count: 0
    .wavefront_size: 64
  - .agpr_count:     0
    .args:
      - .offset:         0
        .size:           1
        .value_kind:     by_value
      - .offset:         4
        .size:           4
        .value_kind:     by_value
      - .actual_access:  read_only
        .address_space:  global
        .offset:         8
        .size:           8
        .value_kind:     global_buffer
      - .actual_access:  read_only
        .address_space:  global
        .offset:         16
        .size:           8
        .value_kind:     global_buffer
      - .offset:         24
        .size:           4
        .value_kind:     by_value
      - .offset:         32
        .size:           8
        .value_kind:     by_value
      - .actual_access:  read_only
        .address_space:  global
        .offset:         40
        .size:           8
        .value_kind:     global_buffer
      - .actual_access:  read_only
        .address_space:  global
        .offset:         48
        .size:           8
        .value_kind:     global_buffer
      - .actual_access:  read_only
        .address_space:  global
        .offset:         56
        .size:           8
        .value_kind:     global_buffer
      - .actual_access:  read_only
        .address_space:  global
        .offset:         64
        .size:           8
        .value_kind:     global_buffer
      - .offset:         72
        .size:           8
        .value_kind:     by_value
      - .address_space:  global
        .offset:         80
        .size:           8
        .value_kind:     global_buffer
      - .offset:         88
        .size:           4
        .value_kind:     by_value
      - .offset:         92
        .size:           1
        .value_kind:     by_value
    .group_segment_fixed_size: 2048
    .kernarg_segment_align: 8
    .kernarg_segment_size: 96
    .language:       OpenCL C
    .language_version:
      - 2
      - 0
    .max_flat_workgroup_size: 256
    .name:           _ZN9rocsparseL29csrmvn_lrb_medium_rows_kernelILj256Eiif21rocsparse_complex_numIfES2_S2_EEvbT0_PT1_S5_jNS_24const_host_device_scalarIT5_EEPKS3_PKS4_PKT2_PKT3_S8_PT4_21rocsparse_index_base_b
    .private_segment_fixed_size: 0
    .sgpr_count:     22
    .sgpr_spill_count: 0
    .symbol:         _ZN9rocsparseL29csrmvn_lrb_medium_rows_kernelILj256Eiif21rocsparse_complex_numIfES2_S2_EEvbT0_PT1_S5_jNS_24const_host_device_scalarIT5_EEPKS3_PKS4_PKT2_PKT3_S8_PT4_21rocsparse_index_base_b.kd
    .uniform_work_group_size: 1
    .uses_dynamic_stack: false
    .vgpr_count:     18
    .vgpr_spill_count: 0
    .wavefront_size: 64
  - .agpr_count:     0
    .args:
      - .offset:         0
        .size:           1
        .value_kind:     by_value
      - .offset:         4
        .size:           4
        .value_kind:     by_value
      - .address_space:  global
        .offset:         8
        .size:           8
        .value_kind:     global_buffer
      - .actual_access:  read_only
        .address_space:  global
        .offset:         16
        .size:           8
        .value_kind:     global_buffer
      - .actual_access:  read_only
        .address_space:  global
        .offset:         24
        .size:           8
        .value_kind:     global_buffer
      - .offset:         32
        .size:           4
        .value_kind:     by_value
      - .offset:         40
        .size:           8
        .value_kind:     by_value
      - .actual_access:  read_only
        .address_space:  global
        .offset:         48
        .size:           8
        .value_kind:     global_buffer
      - .actual_access:  read_only
        .address_space:  global
        .offset:         56
        .size:           8
        .value_kind:     global_buffer
      - .actual_access:  read_only
        .address_space:  global
        .offset:         64
        .size:           8
        .value_kind:     global_buffer
      - .actual_access:  read_only
        .address_space:  global
        .offset:         72
        .size:           8
        .value_kind:     global_buffer
      - .offset:         80
        .size:           8
        .value_kind:     by_value
      - .address_space:  global
        .offset:         88
        .size:           8
        .value_kind:     global_buffer
      - .offset:         96
        .size:           4
        .value_kind:     by_value
      - .offset:         100
        .size:           1
        .value_kind:     by_value
    .group_segment_fixed_size: 2048
    .kernarg_segment_align: 8
    .kernarg_segment_size: 104
    .language:       OpenCL C
    .language_version:
      - 2
      - 0
    .max_flat_workgroup_size: 256
    .name:           _ZN9rocsparseL27csrmvn_lrb_long_rows_kernelIiif21rocsparse_complex_numIfES2_S2_EEvbT_PjPT0_S6_jNS_24const_host_device_scalarIT4_EEPKS3_PKS5_PKT1_PKT2_S9_PT3_21rocsparse_index_base_b
    .private_segment_fixed_size: 0
    .sgpr_count:     32
    .sgpr_spill_count: 0
    .symbol:         _ZN9rocsparseL27csrmvn_lrb_long_rows_kernelIiif21rocsparse_complex_numIfES2_S2_EEvbT_PjPT0_S6_jNS_24const_host_device_scalarIT4_EEPKS3_PKS5_PKT1_PKT2_S9_PT3_21rocsparse_index_base_b.kd
    .uniform_work_group_size: 1
    .uses_dynamic_stack: false
    .vgpr_count:     16
    .vgpr_spill_count: 0
    .wavefront_size: 64
  - .agpr_count:     0
    .args:
      - .offset:         0
        .size:           1
        .value_kind:     by_value
      - .offset:         8
        .size:           8
        .value_kind:     by_value
      - .actual_access:  read_only
        .address_space:  global
        .offset:         16
        .size:           8
        .value_kind:     global_buffer
      - .actual_access:  read_only
        .address_space:  global
        .offset:         24
        .size:           8
        .value_kind:     global_buffer
      - .offset:         32
        .size:           4
        .value_kind:     by_value
      - .offset:         40
        .size:           8
        .value_kind:     by_value
      - .actual_access:  read_only
        .address_space:  global
        .offset:         48
        .size:           8
        .value_kind:     global_buffer
      - .actual_access:  read_only
        .address_space:  global
        .offset:         56
        .size:           8
        .value_kind:     global_buffer
      - .actual_access:  read_only
        .address_space:  global
        .offset:         64
        .size:           8
        .value_kind:     global_buffer
      - .actual_access:  read_only
        .address_space:  global
        .offset:         72
        .size:           8
        .value_kind:     global_buffer
      - .offset:         80
        .size:           8
        .value_kind:     by_value
      - .address_space:  global
        .offset:         88
        .size:           8
        .value_kind:     global_buffer
      - .offset:         96
        .size:           4
        .value_kind:     by_value
      - .offset:         100
        .size:           1
        .value_kind:     by_value
    .group_segment_fixed_size: 0
    .kernarg_segment_align: 8
    .kernarg_segment_size: 104
    .language:       OpenCL C
    .language_version:
      - 2
      - 0
    .max_flat_workgroup_size: 256
    .name:           _ZN9rocsparseL28csrmvn_lrb_short_rows_kernelIlif21rocsparse_complex_numIfES2_S2_EEvbT_PT0_S5_jNS_24const_host_device_scalarIT4_EEPKS3_PKS4_PKT1_PKT2_S8_PT3_21rocsparse_index_base_b
    .private_segment_fixed_size: 0
    .sgpr_count:     28
    .sgpr_spill_count: 0
    .symbol:         _ZN9rocsparseL28csrmvn_lrb_short_rows_kernelIlif21rocsparse_complex_numIfES2_S2_EEvbT_PT0_S5_jNS_24const_host_device_scalarIT4_EEPKS3_PKS4_PKT1_PKT2_S8_PT3_21rocsparse_index_base_b.kd
    .uniform_work_group_size: 1
    .uses_dynamic_stack: false
    .vgpr_count:     18
    .vgpr_spill_count: 0
    .wavefront_size: 64
  - .agpr_count:     0
    .args:
      - .offset:         0
        .size:           1
        .value_kind:     by_value
      - .offset:         8
        .size:           8
        .value_kind:     by_value
      - .actual_access:  read_only
        .address_space:  global
        .offset:         16
        .size:           8
        .value_kind:     global_buffer
      - .actual_access:  read_only
        .address_space:  global
        .offset:         24
        .size:           8
        .value_kind:     global_buffer
      - .offset:         32
        .size:           4
        .value_kind:     by_value
      - .offset:         40
        .size:           8
        .value_kind:     by_value
      - .actual_access:  read_only
        .address_space:  global
        .offset:         48
        .size:           8
        .value_kind:     global_buffer
      - .actual_access:  read_only
        .address_space:  global
        .offset:         56
        .size:           8
        .value_kind:     global_buffer
      - .actual_access:  read_only
        .address_space:  global
        .offset:         64
        .size:           8
        .value_kind:     global_buffer
      - .actual_access:  read_only
        .address_space:  global
        .offset:         72
        .size:           8
        .value_kind:     global_buffer
      - .offset:         80
        .size:           8
        .value_kind:     by_value
      - .address_space:  global
        .offset:         88
        .size:           8
        .value_kind:     global_buffer
      - .offset:         96
        .size:           4
        .value_kind:     by_value
      - .offset:         100
        .size:           1
        .value_kind:     by_value
    .group_segment_fixed_size: 8192
    .kernarg_segment_align: 8
    .kernarg_segment_size: 104
    .language:       OpenCL C
    .language_version:
      - 2
      - 0
    .max_flat_workgroup_size: 256
    .name:           _ZN9rocsparseL30csrmvn_lrb_short_rows_2_kernelIlif21rocsparse_complex_numIfES2_S2_EEvbT_PT0_S5_jNS_24const_host_device_scalarIT4_EEPKS3_PKS4_PKT1_PKT2_S8_PT3_21rocsparse_index_base_b
    .private_segment_fixed_size: 0
    .sgpr_count:     28
    .sgpr_spill_count: 0
    .symbol:         _ZN9rocsparseL30csrmvn_lrb_short_rows_2_kernelIlif21rocsparse_complex_numIfES2_S2_EEvbT_PT0_S5_jNS_24const_host_device_scalarIT4_EEPKS3_PKS4_PKT1_PKT2_S8_PT3_21rocsparse_index_base_b.kd
    .uniform_work_group_size: 1
    .uses_dynamic_stack: false
    .vgpr_count:     16
    .vgpr_spill_count: 0
    .wavefront_size: 64
  - .agpr_count:     0
    .args:
      - .offset:         0
        .size:           1
        .value_kind:     by_value
      - .offset:         8
        .size:           8
        .value_kind:     by_value
      - .offset:         16
        .size:           8
        .value_kind:     by_value
      - .actual_access:  read_only
        .address_space:  global
        .offset:         24
        .size:           8
        .value_kind:     global_buffer
      - .actual_access:  read_only
        .address_space:  global
        .offset:         32
        .size:           8
        .value_kind:     global_buffer
      - .offset:         40
        .size:           4
        .value_kind:     by_value
      - .offset:         48
        .size:           8
        .value_kind:     by_value
      - .actual_access:  read_only
        .address_space:  global
        .offset:         56
        .size:           8
        .value_kind:     global_buffer
      - .actual_access:  read_only
        .address_space:  global
        .offset:         64
        .size:           8
        .value_kind:     global_buffer
      - .actual_access:  read_only
        .address_space:  global
        .offset:         72
        .size:           8
        .value_kind:     global_buffer
      - .actual_access:  read_only
        .address_space:  global
        .offset:         80
        .size:           8
        .value_kind:     global_buffer
      - .offset:         88
        .size:           8
        .value_kind:     by_value
      - .address_space:  global
        .offset:         96
        .size:           8
        .value_kind:     global_buffer
      - .offset:         104
        .size:           4
        .value_kind:     by_value
      - .offset:         108
        .size:           1
        .value_kind:     by_value
    .group_segment_fixed_size: 0
    .kernarg_segment_align: 8
    .kernarg_segment_size: 112
    .language:       OpenCL C
    .language_version:
      - 2
      - 0
    .max_flat_workgroup_size: 256
    .name:           _ZN9rocsparseL41csrmvn_lrb_medium_rows_warp_reduce_kernelILj256ELj32Elif21rocsparse_complex_numIfES2_S2_EEvbT1_lPT2_S5_jNS_24const_host_device_scalarIT6_EEPKS3_PKS4_PKT3_PKT4_S8_PT5_21rocsparse_index_base_b
    .private_segment_fixed_size: 0
    .sgpr_count:     20
    .sgpr_spill_count: 0
    .symbol:         _ZN9rocsparseL41csrmvn_lrb_medium_rows_warp_reduce_kernelILj256ELj32Elif21rocsparse_complex_numIfES2_S2_EEvbT1_lPT2_S5_jNS_24const_host_device_scalarIT6_EEPKS3_PKS4_PKT3_PKT4_S8_PT5_21rocsparse_index_base_b.kd
    .uniform_work_group_size: 1
    .uses_dynamic_stack: false
    .vgpr_count:     24
    .vgpr_spill_count: 0
    .wavefront_size: 64
  - .agpr_count:     0
    .args:
      - .offset:         0
        .size:           1
        .value_kind:     by_value
      - .offset:         8
        .size:           8
        .value_kind:     by_value
      - .offset:         16
        .size:           8
        .value_kind:     by_value
      - .actual_access:  read_only
        .address_space:  global
        .offset:         24
        .size:           8
        .value_kind:     global_buffer
      - .actual_access:  read_only
        .address_space:  global
        .offset:         32
        .size:           8
        .value_kind:     global_buffer
      - .offset:         40
        .size:           4
        .value_kind:     by_value
      - .offset:         48
        .size:           8
        .value_kind:     by_value
      - .actual_access:  read_only
        .address_space:  global
        .offset:         56
        .size:           8
        .value_kind:     global_buffer
      - .actual_access:  read_only
        .address_space:  global
        .offset:         64
        .size:           8
        .value_kind:     global_buffer
      - .actual_access:  read_only
        .address_space:  global
        .offset:         72
        .size:           8
        .value_kind:     global_buffer
      - .actual_access:  read_only
        .address_space:  global
        .offset:         80
        .size:           8
        .value_kind:     global_buffer
      - .offset:         88
        .size:           8
        .value_kind:     by_value
      - .address_space:  global
        .offset:         96
        .size:           8
        .value_kind:     global_buffer
      - .offset:         104
        .size:           4
        .value_kind:     by_value
      - .offset:         108
        .size:           1
        .value_kind:     by_value
    .group_segment_fixed_size: 0
    .kernarg_segment_align: 8
    .kernarg_segment_size: 112
    .language:       OpenCL C
    .language_version:
      - 2
      - 0
    .max_flat_workgroup_size: 256
    .name:           _ZN9rocsparseL41csrmvn_lrb_medium_rows_warp_reduce_kernelILj256ELj64Elif21rocsparse_complex_numIfES2_S2_EEvbT1_lPT2_S5_jNS_24const_host_device_scalarIT6_EEPKS3_PKS4_PKT3_PKT4_S8_PT5_21rocsparse_index_base_b
    .private_segment_fixed_size: 0
    .sgpr_count:     20
    .sgpr_spill_count: 0
    .symbol:         _ZN9rocsparseL41csrmvn_lrb_medium_rows_warp_reduce_kernelILj256ELj64Elif21rocsparse_complex_numIfES2_S2_EEvbT1_lPT2_S5_jNS_24const_host_device_scalarIT6_EEPKS3_PKS4_PKT3_PKT4_S8_PT5_21rocsparse_index_base_b.kd
    .uniform_work_group_size: 1
    .uses_dynamic_stack: false
    .vgpr_count:     24
    .vgpr_spill_count: 0
    .wavefront_size: 64
  - .agpr_count:     0
    .args:
      - .offset:         0
        .size:           1
        .value_kind:     by_value
      - .offset:         8
        .size:           8
        .value_kind:     by_value
      - .actual_access:  read_only
        .address_space:  global
        .offset:         16
        .size:           8
        .value_kind:     global_buffer
      - .actual_access:  read_only
        .address_space:  global
        .offset:         24
        .size:           8
        .value_kind:     global_buffer
      - .offset:         32
        .size:           4
        .value_kind:     by_value
      - .offset:         40
        .size:           8
        .value_kind:     by_value
      - .actual_access:  read_only
        .address_space:  global
        .offset:         48
        .size:           8
        .value_kind:     global_buffer
      - .actual_access:  read_only
        .address_space:  global
        .offset:         56
        .size:           8
        .value_kind:     global_buffer
      - .actual_access:  read_only
        .address_space:  global
        .offset:         64
        .size:           8
        .value_kind:     global_buffer
      - .actual_access:  read_only
        .address_space:  global
        .offset:         72
        .size:           8
        .value_kind:     global_buffer
      - .offset:         80
        .size:           8
        .value_kind:     by_value
      - .address_space:  global
        .offset:         88
        .size:           8
        .value_kind:     global_buffer
      - .offset:         96
        .size:           4
        .value_kind:     by_value
      - .offset:         100
        .size:           1
        .value_kind:     by_value
    .group_segment_fixed_size: 2048
    .kernarg_segment_align: 8
    .kernarg_segment_size: 104
    .language:       OpenCL C
    .language_version:
      - 2
      - 0
    .max_flat_workgroup_size: 256
    .name:           _ZN9rocsparseL29csrmvn_lrb_medium_rows_kernelILj256Elif21rocsparse_complex_numIfES2_S2_EEvbT0_PT1_S5_jNS_24const_host_device_scalarIT5_EEPKS3_PKS4_PKT2_PKT3_S8_PT4_21rocsparse_index_base_b
    .private_segment_fixed_size: 0
    .sgpr_count:     24
    .sgpr_spill_count: 0
    .symbol:         _ZN9rocsparseL29csrmvn_lrb_medium_rows_kernelILj256Elif21rocsparse_complex_numIfES2_S2_EEvbT0_PT1_S5_jNS_24const_host_device_scalarIT5_EEPKS3_PKS4_PKT2_PKT3_S8_PT4_21rocsparse_index_base_b.kd
    .uniform_work_group_size: 1
    .uses_dynamic_stack: false
    .vgpr_count:     20
    .vgpr_spill_count: 0
    .wavefront_size: 64
  - .agpr_count:     0
    .args:
      - .offset:         0
        .size:           1
        .value_kind:     by_value
      - .offset:         8
        .size:           8
        .value_kind:     by_value
      - .address_space:  global
        .offset:         16
        .size:           8
        .value_kind:     global_buffer
      - .actual_access:  read_only
        .address_space:  global
        .offset:         24
        .size:           8
        .value_kind:     global_buffer
      - .actual_access:  read_only
        .address_space:  global
        .offset:         32
        .size:           8
        .value_kind:     global_buffer
      - .offset:         40
        .size:           4
        .value_kind:     by_value
      - .offset:         48
        .size:           8
        .value_kind:     by_value
      - .actual_access:  read_only
        .address_space:  global
        .offset:         56
        .size:           8
        .value_kind:     global_buffer
      - .actual_access:  read_only
        .address_space:  global
        .offset:         64
        .size:           8
        .value_kind:     global_buffer
      - .actual_access:  read_only
        .address_space:  global
        .offset:         72
        .size:           8
        .value_kind:     global_buffer
      - .actual_access:  read_only
        .address_space:  global
        .offset:         80
        .size:           8
        .value_kind:     global_buffer
      - .offset:         88
        .size:           8
        .value_kind:     by_value
      - .address_space:  global
        .offset:         96
        .size:           8
        .value_kind:     global_buffer
      - .offset:         104
        .size:           4
        .value_kind:     by_value
      - .offset:         108
        .size:           1
        .value_kind:     by_value
    .group_segment_fixed_size: 2048
    .kernarg_segment_align: 8
    .kernarg_segment_size: 112
    .language:       OpenCL C
    .language_version:
      - 2
      - 0
    .max_flat_workgroup_size: 256
    .name:           _ZN9rocsparseL27csrmvn_lrb_long_rows_kernelIlif21rocsparse_complex_numIfES2_S2_EEvbT_PjPT0_S6_jNS_24const_host_device_scalarIT4_EEPKS3_PKS5_PKT1_PKT2_S9_PT3_21rocsparse_index_base_b
    .private_segment_fixed_size: 0
    .sgpr_count:     36
    .sgpr_spill_count: 0
    .symbol:         _ZN9rocsparseL27csrmvn_lrb_long_rows_kernelIlif21rocsparse_complex_numIfES2_S2_EEvbT_PjPT0_S6_jNS_24const_host_device_scalarIT4_EEPKS3_PKS5_PKT1_PKT2_S9_PT3_21rocsparse_index_base_b.kd
    .uniform_work_group_size: 1
    .uses_dynamic_stack: false
    .vgpr_count:     18
    .vgpr_spill_count: 0
    .wavefront_size: 64
  - .agpr_count:     0
    .args:
      - .offset:         0
        .size:           1
        .value_kind:     by_value
      - .offset:         8
        .size:           8
        .value_kind:     by_value
      - .actual_access:  read_only
        .address_space:  global
        .offset:         16
        .size:           8
        .value_kind:     global_buffer
      - .actual_access:  read_only
        .address_space:  global
        .offset:         24
        .size:           8
        .value_kind:     global_buffer
      - .offset:         32
        .size:           4
        .value_kind:     by_value
      - .offset:         40
        .size:           8
        .value_kind:     by_value
      - .actual_access:  read_only
        .address_space:  global
        .offset:         48
        .size:           8
        .value_kind:     global_buffer
      - .actual_access:  read_only
        .address_space:  global
        .offset:         56
        .size:           8
        .value_kind:     global_buffer
      - .actual_access:  read_only
        .address_space:  global
        .offset:         64
        .size:           8
        .value_kind:     global_buffer
      - .actual_access:  read_only
        .address_space:  global
        .offset:         72
        .size:           8
        .value_kind:     global_buffer
      - .offset:         80
        .size:           8
        .value_kind:     by_value
      - .address_space:  global
        .offset:         88
        .size:           8
        .value_kind:     global_buffer
      - .offset:         96
        .size:           4
        .value_kind:     by_value
      - .offset:         100
        .size:           1
        .value_kind:     by_value
    .group_segment_fixed_size: 0
    .kernarg_segment_align: 8
    .kernarg_segment_size: 104
    .language:       OpenCL C
    .language_version:
      - 2
      - 0
    .max_flat_workgroup_size: 256
    .name:           _ZN9rocsparseL28csrmvn_lrb_short_rows_kernelIllf21rocsparse_complex_numIfES2_S2_EEvbT_PT0_S5_jNS_24const_host_device_scalarIT4_EEPKS3_PKS4_PKT1_PKT2_S8_PT3_21rocsparse_index_base_b
    .private_segment_fixed_size: 0
    .sgpr_count:     31
    .sgpr_spill_count: 0
    .symbol:         _ZN9rocsparseL28csrmvn_lrb_short_rows_kernelIllf21rocsparse_complex_numIfES2_S2_EEvbT_PT0_S5_jNS_24const_host_device_scalarIT4_EEPKS3_PKS4_PKT1_PKT2_S8_PT3_21rocsparse_index_base_b.kd
    .uniform_work_group_size: 1
    .uses_dynamic_stack: false
    .vgpr_count:     18
    .vgpr_spill_count: 0
    .wavefront_size: 64
  - .agpr_count:     0
    .args:
      - .offset:         0
        .size:           1
        .value_kind:     by_value
      - .offset:         8
        .size:           8
        .value_kind:     by_value
      - .actual_access:  read_only
        .address_space:  global
        .offset:         16
        .size:           8
        .value_kind:     global_buffer
      - .actual_access:  read_only
        .address_space:  global
        .offset:         24
        .size:           8
        .value_kind:     global_buffer
      - .offset:         32
        .size:           4
        .value_kind:     by_value
      - .offset:         40
        .size:           8
        .value_kind:     by_value
      - .actual_access:  read_only
        .address_space:  global
        .offset:         48
        .size:           8
        .value_kind:     global_buffer
      - .actual_access:  read_only
        .address_space:  global
        .offset:         56
        .size:           8
        .value_kind:     global_buffer
      - .actual_access:  read_only
        .address_space:  global
        .offset:         64
        .size:           8
        .value_kind:     global_buffer
      - .actual_access:  read_only
        .address_space:  global
        .offset:         72
        .size:           8
        .value_kind:     global_buffer
      - .offset:         80
        .size:           8
        .value_kind:     by_value
      - .address_space:  global
        .offset:         88
        .size:           8
        .value_kind:     global_buffer
      - .offset:         96
        .size:           4
        .value_kind:     by_value
      - .offset:         100
        .size:           1
        .value_kind:     by_value
    .group_segment_fixed_size: 8192
    .kernarg_segment_align: 8
    .kernarg_segment_size: 104
    .language:       OpenCL C
    .language_version:
      - 2
      - 0
    .max_flat_workgroup_size: 256
    .name:           _ZN9rocsparseL30csrmvn_lrb_short_rows_2_kernelIllf21rocsparse_complex_numIfES2_S2_EEvbT_PT0_S5_jNS_24const_host_device_scalarIT4_EEPKS3_PKS4_PKT1_PKT2_S8_PT3_21rocsparse_index_base_b
    .private_segment_fixed_size: 0
    .sgpr_count:     28
    .sgpr_spill_count: 0
    .symbol:         _ZN9rocsparseL30csrmvn_lrb_short_rows_2_kernelIllf21rocsparse_complex_numIfES2_S2_EEvbT_PT0_S5_jNS_24const_host_device_scalarIT4_EEPKS3_PKS4_PKT1_PKT2_S8_PT3_21rocsparse_index_base_b.kd
    .uniform_work_group_size: 1
    .uses_dynamic_stack: false
    .vgpr_count:     16
    .vgpr_spill_count: 0
    .wavefront_size: 64
  - .agpr_count:     0
    .args:
      - .offset:         0
        .size:           1
        .value_kind:     by_value
      - .offset:         8
        .size:           8
        .value_kind:     by_value
      - .offset:         16
        .size:           8
        .value_kind:     by_value
      - .actual_access:  read_only
        .address_space:  global
        .offset:         24
        .size:           8
        .value_kind:     global_buffer
      - .actual_access:  read_only
        .address_space:  global
        .offset:         32
        .size:           8
        .value_kind:     global_buffer
      - .offset:         40
        .size:           4
        .value_kind:     by_value
      - .offset:         48
        .size:           8
        .value_kind:     by_value
      - .actual_access:  read_only
        .address_space:  global
        .offset:         56
        .size:           8
        .value_kind:     global_buffer
      - .actual_access:  read_only
        .address_space:  global
        .offset:         64
        .size:           8
        .value_kind:     global_buffer
      - .actual_access:  read_only
        .address_space:  global
        .offset:         72
        .size:           8
        .value_kind:     global_buffer
      - .actual_access:  read_only
        .address_space:  global
        .offset:         80
        .size:           8
        .value_kind:     global_buffer
      - .offset:         88
        .size:           8
        .value_kind:     by_value
      - .address_space:  global
        .offset:         96
        .size:           8
        .value_kind:     global_buffer
      - .offset:         104
        .size:           4
        .value_kind:     by_value
      - .offset:         108
        .size:           1
        .value_kind:     by_value
    .group_segment_fixed_size: 0
    .kernarg_segment_align: 8
    .kernarg_segment_size: 112
    .language:       OpenCL C
    .language_version:
      - 2
      - 0
    .max_flat_workgroup_size: 256
    .name:           _ZN9rocsparseL41csrmvn_lrb_medium_rows_warp_reduce_kernelILj256ELj32Ellf21rocsparse_complex_numIfES2_S2_EEvbT1_lPT2_S5_jNS_24const_host_device_scalarIT6_EEPKS3_PKS4_PKT3_PKT4_S8_PT5_21rocsparse_index_base_b
    .private_segment_fixed_size: 0
    .sgpr_count:     20
    .sgpr_spill_count: 0
    .symbol:         _ZN9rocsparseL41csrmvn_lrb_medium_rows_warp_reduce_kernelILj256ELj32Ellf21rocsparse_complex_numIfES2_S2_EEvbT1_lPT2_S5_jNS_24const_host_device_scalarIT6_EEPKS3_PKS4_PKT3_PKT4_S8_PT5_21rocsparse_index_base_b.kd
    .uniform_work_group_size: 1
    .uses_dynamic_stack: false
    .vgpr_count:     26
    .vgpr_spill_count: 0
    .wavefront_size: 64
  - .agpr_count:     0
    .args:
      - .offset:         0
        .size:           1
        .value_kind:     by_value
      - .offset:         8
        .size:           8
        .value_kind:     by_value
      - .offset:         16
        .size:           8
        .value_kind:     by_value
      - .actual_access:  read_only
        .address_space:  global
        .offset:         24
        .size:           8
        .value_kind:     global_buffer
      - .actual_access:  read_only
        .address_space:  global
        .offset:         32
        .size:           8
        .value_kind:     global_buffer
      - .offset:         40
        .size:           4
        .value_kind:     by_value
      - .offset:         48
        .size:           8
        .value_kind:     by_value
      - .actual_access:  read_only
        .address_space:  global
        .offset:         56
        .size:           8
        .value_kind:     global_buffer
      - .actual_access:  read_only
        .address_space:  global
        .offset:         64
        .size:           8
        .value_kind:     global_buffer
      - .actual_access:  read_only
        .address_space:  global
        .offset:         72
        .size:           8
        .value_kind:     global_buffer
      - .actual_access:  read_only
        .address_space:  global
        .offset:         80
        .size:           8
        .value_kind:     global_buffer
      - .offset:         88
        .size:           8
        .value_kind:     by_value
      - .address_space:  global
        .offset:         96
        .size:           8
        .value_kind:     global_buffer
      - .offset:         104
        .size:           4
        .value_kind:     by_value
      - .offset:         108
        .size:           1
        .value_kind:     by_value
    .group_segment_fixed_size: 0
    .kernarg_segment_align: 8
    .kernarg_segment_size: 112
    .language:       OpenCL C
    .language_version:
      - 2
      - 0
    .max_flat_workgroup_size: 256
    .name:           _ZN9rocsparseL41csrmvn_lrb_medium_rows_warp_reduce_kernelILj256ELj64Ellf21rocsparse_complex_numIfES2_S2_EEvbT1_lPT2_S5_jNS_24const_host_device_scalarIT6_EEPKS3_PKS4_PKT3_PKT4_S8_PT5_21rocsparse_index_base_b
    .private_segment_fixed_size: 0
    .sgpr_count:     20
    .sgpr_spill_count: 0
    .symbol:         _ZN9rocsparseL41csrmvn_lrb_medium_rows_warp_reduce_kernelILj256ELj64Ellf21rocsparse_complex_numIfES2_S2_EEvbT1_lPT2_S5_jNS_24const_host_device_scalarIT6_EEPKS3_PKS4_PKT3_PKT4_S8_PT5_21rocsparse_index_base_b.kd
    .uniform_work_group_size: 1
    .uses_dynamic_stack: false
    .vgpr_count:     26
    .vgpr_spill_count: 0
    .wavefront_size: 64
  - .agpr_count:     0
    .args:
      - .offset:         0
        .size:           1
        .value_kind:     by_value
      - .offset:         8
        .size:           8
        .value_kind:     by_value
      - .actual_access:  read_only
        .address_space:  global
        .offset:         16
        .size:           8
        .value_kind:     global_buffer
      - .actual_access:  read_only
        .address_space:  global
        .offset:         24
        .size:           8
        .value_kind:     global_buffer
      - .offset:         32
        .size:           4
        .value_kind:     by_value
      - .offset:         40
        .size:           8
        .value_kind:     by_value
      - .actual_access:  read_only
        .address_space:  global
        .offset:         48
        .size:           8
        .value_kind:     global_buffer
      - .actual_access:  read_only
        .address_space:  global
        .offset:         56
        .size:           8
        .value_kind:     global_buffer
      - .actual_access:  read_only
        .address_space:  global
        .offset:         64
        .size:           8
        .value_kind:     global_buffer
      - .actual_access:  read_only
        .address_space:  global
        .offset:         72
        .size:           8
        .value_kind:     global_buffer
      - .offset:         80
        .size:           8
        .value_kind:     by_value
      - .address_space:  global
        .offset:         88
        .size:           8
        .value_kind:     global_buffer
      - .offset:         96
        .size:           4
        .value_kind:     by_value
      - .offset:         100
        .size:           1
        .value_kind:     by_value
    .group_segment_fixed_size: 2048
    .kernarg_segment_align: 8
    .kernarg_segment_size: 104
    .language:       OpenCL C
    .language_version:
      - 2
      - 0
    .max_flat_workgroup_size: 256
    .name:           _ZN9rocsparseL29csrmvn_lrb_medium_rows_kernelILj256Ellf21rocsparse_complex_numIfES2_S2_EEvbT0_PT1_S5_jNS_24const_host_device_scalarIT5_EEPKS3_PKS4_PKT2_PKT3_S8_PT4_21rocsparse_index_base_b
    .private_segment_fixed_size: 0
    .sgpr_count:     24
    .sgpr_spill_count: 0
    .symbol:         _ZN9rocsparseL29csrmvn_lrb_medium_rows_kernelILj256Ellf21rocsparse_complex_numIfES2_S2_EEvbT0_PT1_S5_jNS_24const_host_device_scalarIT5_EEPKS3_PKS4_PKT2_PKT3_S8_PT4_21rocsparse_index_base_b.kd
    .uniform_work_group_size: 1
    .uses_dynamic_stack: false
    .vgpr_count:     22
    .vgpr_spill_count: 0
    .wavefront_size: 64
  - .agpr_count:     0
    .args:
      - .offset:         0
        .size:           1
        .value_kind:     by_value
      - .offset:         8
        .size:           8
        .value_kind:     by_value
      - .address_space:  global
        .offset:         16
        .size:           8
        .value_kind:     global_buffer
      - .actual_access:  read_only
        .address_space:  global
        .offset:         24
        .size:           8
        .value_kind:     global_buffer
      - .actual_access:  read_only
        .address_space:  global
        .offset:         32
        .size:           8
        .value_kind:     global_buffer
      - .offset:         40
        .size:           4
        .value_kind:     by_value
      - .offset:         48
        .size:           8
        .value_kind:     by_value
      - .actual_access:  read_only
        .address_space:  global
        .offset:         56
        .size:           8
        .value_kind:     global_buffer
      - .actual_access:  read_only
        .address_space:  global
        .offset:         64
        .size:           8
        .value_kind:     global_buffer
      - .actual_access:  read_only
        .address_space:  global
        .offset:         72
        .size:           8
        .value_kind:     global_buffer
      - .actual_access:  read_only
        .address_space:  global
        .offset:         80
        .size:           8
        .value_kind:     global_buffer
      - .offset:         88
        .size:           8
        .value_kind:     by_value
      - .address_space:  global
        .offset:         96
        .size:           8
        .value_kind:     global_buffer
      - .offset:         104
        .size:           4
        .value_kind:     by_value
      - .offset:         108
        .size:           1
        .value_kind:     by_value
    .group_segment_fixed_size: 2048
    .kernarg_segment_align: 8
    .kernarg_segment_size: 112
    .language:       OpenCL C
    .language_version:
      - 2
      - 0
    .max_flat_workgroup_size: 256
    .name:           _ZN9rocsparseL27csrmvn_lrb_long_rows_kernelIllf21rocsparse_complex_numIfES2_S2_EEvbT_PjPT0_S6_jNS_24const_host_device_scalarIT4_EEPKS3_PKS5_PKT1_PKT2_S9_PT3_21rocsparse_index_base_b
    .private_segment_fixed_size: 0
    .sgpr_count:     36
    .sgpr_spill_count: 0
    .symbol:         _ZN9rocsparseL27csrmvn_lrb_long_rows_kernelIllf21rocsparse_complex_numIfES2_S2_EEvbT_PjPT0_S6_jNS_24const_host_device_scalarIT4_EEPKS3_PKS5_PKT1_PKT2_S9_PT3_21rocsparse_index_base_b.kd
    .uniform_work_group_size: 1
    .uses_dynamic_stack: false
    .vgpr_count:     20
    .vgpr_spill_count: 0
    .wavefront_size: 64
  - .agpr_count:     0
    .args:
      - .offset:         0
        .size:           1
        .value_kind:     by_value
      - .offset:         4
        .size:           4
        .value_kind:     by_value
      - .actual_access:  read_only
        .address_space:  global
        .offset:         8
        .size:           8
        .value_kind:     global_buffer
      - .actual_access:  read_only
        .address_space:  global
        .offset:         16
        .size:           8
        .value_kind:     global_buffer
      - .offset:         24
        .size:           4
        .value_kind:     by_value
      - .offset:         32
        .size:           8
        .value_kind:     by_value
      - .actual_access:  read_only
        .address_space:  global
        .offset:         40
        .size:           8
        .value_kind:     global_buffer
      - .actual_access:  read_only
        .address_space:  global
        .offset:         48
        .size:           8
        .value_kind:     global_buffer
      - .actual_access:  read_only
        .address_space:  global
        .offset:         56
        .size:           8
        .value_kind:     global_buffer
      - .actual_access:  read_only
        .address_space:  global
        .offset:         64
        .size:           8
        .value_kind:     global_buffer
      - .offset:         72
        .size:           8
        .value_kind:     by_value
      - .address_space:  global
        .offset:         80
        .size:           8
        .value_kind:     global_buffer
      - .offset:         88
        .size:           4
        .value_kind:     by_value
      - .offset:         92
        .size:           1
        .value_kind:     by_value
    .group_segment_fixed_size: 0
    .kernarg_segment_align: 8
    .kernarg_segment_size: 96
    .language:       OpenCL C
    .language_version:
      - 2
      - 0
    .max_flat_workgroup_size: 256
    .name:           _ZN9rocsparseL28csrmvn_lrb_short_rows_kernelIiifdddEEvbT_PT0_S3_jNS_24const_host_device_scalarIT4_EEPKS1_PKS2_PKT1_PKT2_S6_PT3_21rocsparse_index_base_b
    .private_segment_fixed_size: 0
    .sgpr_count:     27
    .sgpr_spill_count: 0
    .symbol:         _ZN9rocsparseL28csrmvn_lrb_short_rows_kernelIiifdddEEvbT_PT0_S3_jNS_24const_host_device_scalarIT4_EEPKS1_PKS2_PKT1_PKT2_S6_PT3_21rocsparse_index_base_b.kd
    .uniform_work_group_size: 1
    .uses_dynamic_stack: false
    .vgpr_count:     14
    .vgpr_spill_count: 0
    .wavefront_size: 64
  - .agpr_count:     0
    .args:
      - .offset:         0
        .size:           1
        .value_kind:     by_value
      - .offset:         4
        .size:           4
        .value_kind:     by_value
      - .actual_access:  read_only
        .address_space:  global
        .offset:         8
        .size:           8
        .value_kind:     global_buffer
      - .actual_access:  read_only
        .address_space:  global
        .offset:         16
        .size:           8
        .value_kind:     global_buffer
      - .offset:         24
        .size:           4
        .value_kind:     by_value
      - .offset:         32
        .size:           8
        .value_kind:     by_value
      - .actual_access:  read_only
        .address_space:  global
        .offset:         40
        .size:           8
        .value_kind:     global_buffer
      - .actual_access:  read_only
        .address_space:  global
        .offset:         48
        .size:           8
        .value_kind:     global_buffer
      - .actual_access:  read_only
        .address_space:  global
        .offset:         56
        .size:           8
        .value_kind:     global_buffer
      - .actual_access:  read_only
        .address_space:  global
        .offset:         64
        .size:           8
        .value_kind:     global_buffer
      - .offset:         72
        .size:           8
        .value_kind:     by_value
      - .address_space:  global
        .offset:         80
        .size:           8
        .value_kind:     global_buffer
      - .offset:         88
        .size:           4
        .value_kind:     by_value
      - .offset:         92
        .size:           1
        .value_kind:     by_value
    .group_segment_fixed_size: 8192
    .kernarg_segment_align: 8
    .kernarg_segment_size: 96
    .language:       OpenCL C
    .language_version:
      - 2
      - 0
    .max_flat_workgroup_size: 256
    .name:           _ZN9rocsparseL30csrmvn_lrb_short_rows_2_kernelIiifdddEEvbT_PT0_S3_jNS_24const_host_device_scalarIT4_EEPKS1_PKS2_PKT1_PKT2_S6_PT3_21rocsparse_index_base_b
    .private_segment_fixed_size: 0
    .sgpr_count:     28
    .sgpr_spill_count: 0
    .symbol:         _ZN9rocsparseL30csrmvn_lrb_short_rows_2_kernelIiifdddEEvbT_PT0_S3_jNS_24const_host_device_scalarIT4_EEPKS1_PKS2_PKT1_PKT2_S6_PT3_21rocsparse_index_base_b.kd
    .uniform_work_group_size: 1
    .uses_dynamic_stack: false
    .vgpr_count:     13
    .vgpr_spill_count: 0
    .wavefront_size: 64
  - .agpr_count:     0
    .args:
      - .offset:         0
        .size:           1
        .value_kind:     by_value
      - .offset:         4
        .size:           4
        .value_kind:     by_value
      - .offset:         8
        .size:           8
        .value_kind:     by_value
      - .actual_access:  read_only
        .address_space:  global
        .offset:         16
        .size:           8
        .value_kind:     global_buffer
      - .actual_access:  read_only
        .address_space:  global
        .offset:         24
        .size:           8
        .value_kind:     global_buffer
      - .offset:         32
        .size:           4
        .value_kind:     by_value
      - .offset:         40
        .size:           8
        .value_kind:     by_value
      - .actual_access:  read_only
        .address_space:  global
        .offset:         48
        .size:           8
        .value_kind:     global_buffer
      - .actual_access:  read_only
        .address_space:  global
        .offset:         56
        .size:           8
        .value_kind:     global_buffer
      - .actual_access:  read_only
        .address_space:  global
        .offset:         64
        .size:           8
        .value_kind:     global_buffer
      - .actual_access:  read_only
        .address_space:  global
        .offset:         72
        .size:           8
        .value_kind:     global_buffer
      - .offset:         80
        .size:           8
        .value_kind:     by_value
      - .address_space:  global
        .offset:         88
        .size:           8
        .value_kind:     global_buffer
      - .offset:         96
        .size:           4
        .value_kind:     by_value
      - .offset:         100
        .size:           1
        .value_kind:     by_value
    .group_segment_fixed_size: 0
    .kernarg_segment_align: 8
    .kernarg_segment_size: 104
    .language:       OpenCL C
    .language_version:
      - 2
      - 0
    .max_flat_workgroup_size: 256
    .name:           _ZN9rocsparseL41csrmvn_lrb_medium_rows_warp_reduce_kernelILj256ELj32EiifdddEEvbT1_lPT2_S3_jNS_24const_host_device_scalarIT6_EEPKS1_PKS2_PKT3_PKT4_S6_PT5_21rocsparse_index_base_b
    .private_segment_fixed_size: 0
    .sgpr_count:     18
    .sgpr_spill_count: 0
    .symbol:         _ZN9rocsparseL41csrmvn_lrb_medium_rows_warp_reduce_kernelILj256ELj32EiifdddEEvbT1_lPT2_S3_jNS_24const_host_device_scalarIT6_EEPKS1_PKS2_PKT3_PKT4_S6_PT5_21rocsparse_index_base_b.kd
    .uniform_work_group_size: 1
    .uses_dynamic_stack: false
    .vgpr_count:     20
    .vgpr_spill_count: 0
    .wavefront_size: 64
  - .agpr_count:     0
    .args:
      - .offset:         0
        .size:           1
        .value_kind:     by_value
      - .offset:         4
        .size:           4
        .value_kind:     by_value
      - .offset:         8
        .size:           8
        .value_kind:     by_value
      - .actual_access:  read_only
        .address_space:  global
        .offset:         16
        .size:           8
        .value_kind:     global_buffer
      - .actual_access:  read_only
        .address_space:  global
        .offset:         24
        .size:           8
        .value_kind:     global_buffer
      - .offset:         32
        .size:           4
        .value_kind:     by_value
      - .offset:         40
        .size:           8
        .value_kind:     by_value
      - .actual_access:  read_only
        .address_space:  global
        .offset:         48
        .size:           8
        .value_kind:     global_buffer
      - .actual_access:  read_only
        .address_space:  global
        .offset:         56
        .size:           8
        .value_kind:     global_buffer
      - .actual_access:  read_only
        .address_space:  global
        .offset:         64
        .size:           8
        .value_kind:     global_buffer
      - .actual_access:  read_only
        .address_space:  global
        .offset:         72
        .size:           8
        .value_kind:     global_buffer
      - .offset:         80
        .size:           8
        .value_kind:     by_value
      - .address_space:  global
        .offset:         88
        .size:           8
        .value_kind:     global_buffer
      - .offset:         96
        .size:           4
        .value_kind:     by_value
      - .offset:         100
        .size:           1
        .value_kind:     by_value
    .group_segment_fixed_size: 0
    .kernarg_segment_align: 8
    .kernarg_segment_size: 104
    .language:       OpenCL C
    .language_version:
      - 2
      - 0
    .max_flat_workgroup_size: 256
    .name:           _ZN9rocsparseL41csrmvn_lrb_medium_rows_warp_reduce_kernelILj256ELj64EiifdddEEvbT1_lPT2_S3_jNS_24const_host_device_scalarIT6_EEPKS1_PKS2_PKT3_PKT4_S6_PT5_21rocsparse_index_base_b
    .private_segment_fixed_size: 0
    .sgpr_count:     18
    .sgpr_spill_count: 0
    .symbol:         _ZN9rocsparseL41csrmvn_lrb_medium_rows_warp_reduce_kernelILj256ELj64EiifdddEEvbT1_lPT2_S3_jNS_24const_host_device_scalarIT6_EEPKS1_PKS2_PKT3_PKT4_S6_PT5_21rocsparse_index_base_b.kd
    .uniform_work_group_size: 1
    .uses_dynamic_stack: false
    .vgpr_count:     20
    .vgpr_spill_count: 0
    .wavefront_size: 64
  - .agpr_count:     0
    .args:
      - .offset:         0
        .size:           1
        .value_kind:     by_value
      - .offset:         4
        .size:           4
        .value_kind:     by_value
      - .actual_access:  read_only
        .address_space:  global
        .offset:         8
        .size:           8
        .value_kind:     global_buffer
      - .actual_access:  read_only
        .address_space:  global
        .offset:         16
        .size:           8
        .value_kind:     global_buffer
      - .offset:         24
        .size:           4
        .value_kind:     by_value
      - .offset:         32
        .size:           8
        .value_kind:     by_value
      - .actual_access:  read_only
        .address_space:  global
        .offset:         40
        .size:           8
        .value_kind:     global_buffer
      - .actual_access:  read_only
        .address_space:  global
        .offset:         48
        .size:           8
        .value_kind:     global_buffer
      - .actual_access:  read_only
        .address_space:  global
        .offset:         56
        .size:           8
        .value_kind:     global_buffer
      - .actual_access:  read_only
        .address_space:  global
        .offset:         64
        .size:           8
        .value_kind:     global_buffer
      - .offset:         72
        .size:           8
        .value_kind:     by_value
      - .address_space:  global
        .offset:         80
        .size:           8
        .value_kind:     global_buffer
      - .offset:         88
        .size:           4
        .value_kind:     by_value
      - .offset:         92
        .size:           1
        .value_kind:     by_value
    .group_segment_fixed_size: 2048
    .kernarg_segment_align: 8
    .kernarg_segment_size: 96
    .language:       OpenCL C
    .language_version:
      - 2
      - 0
    .max_flat_workgroup_size: 256
    .name:           _ZN9rocsparseL29csrmvn_lrb_medium_rows_kernelILj256EiifdddEEvbT0_PT1_S3_jNS_24const_host_device_scalarIT5_EEPKS1_PKS2_PKT2_PKT3_S6_PT4_21rocsparse_index_base_b
    .private_segment_fixed_size: 0
    .sgpr_count:     20
    .sgpr_spill_count: 0
    .symbol:         _ZN9rocsparseL29csrmvn_lrb_medium_rows_kernelILj256EiifdddEEvbT0_PT1_S3_jNS_24const_host_device_scalarIT5_EEPKS1_PKS2_PKT2_PKT3_S6_PT4_21rocsparse_index_base_b.kd
    .uniform_work_group_size: 1
    .uses_dynamic_stack: false
    .vgpr_count:     16
    .vgpr_spill_count: 0
    .wavefront_size: 64
  - .agpr_count:     0
    .args:
      - .offset:         0
        .size:           1
        .value_kind:     by_value
      - .offset:         4
        .size:           4
        .value_kind:     by_value
      - .address_space:  global
        .offset:         8
        .size:           8
        .value_kind:     global_buffer
      - .actual_access:  read_only
        .address_space:  global
        .offset:         16
        .size:           8
        .value_kind:     global_buffer
      - .actual_access:  read_only
        .address_space:  global
        .offset:         24
        .size:           8
        .value_kind:     global_buffer
      - .offset:         32
        .size:           4
        .value_kind:     by_value
      - .offset:         40
        .size:           8
        .value_kind:     by_value
      - .actual_access:  read_only
        .address_space:  global
        .offset:         48
        .size:           8
        .value_kind:     global_buffer
      - .actual_access:  read_only
        .address_space:  global
        .offset:         56
        .size:           8
        .value_kind:     global_buffer
      - .actual_access:  read_only
        .address_space:  global
        .offset:         64
        .size:           8
        .value_kind:     global_buffer
      - .actual_access:  read_only
        .address_space:  global
        .offset:         72
        .size:           8
        .value_kind:     global_buffer
      - .offset:         80
        .size:           8
        .value_kind:     by_value
      - .address_space:  global
        .offset:         88
        .size:           8
        .value_kind:     global_buffer
      - .offset:         96
        .size:           4
        .value_kind:     by_value
      - .offset:         100
        .size:           1
        .value_kind:     by_value
    .group_segment_fixed_size: 2048
    .kernarg_segment_align: 8
    .kernarg_segment_size: 104
    .language:       OpenCL C
    .language_version:
      - 2
      - 0
    .max_flat_workgroup_size: 256
    .name:           _ZN9rocsparseL27csrmvn_lrb_long_rows_kernelIiifdddEEvbT_PjPT0_S4_jNS_24const_host_device_scalarIT4_EEPKS1_PKS3_PKT1_PKT2_S7_PT3_21rocsparse_index_base_b
    .private_segment_fixed_size: 0
    .sgpr_count:     32
    .sgpr_spill_count: 0
    .symbol:         _ZN9rocsparseL27csrmvn_lrb_long_rows_kernelIiifdddEEvbT_PjPT0_S4_jNS_24const_host_device_scalarIT4_EEPKS1_PKS3_PKT1_PKT2_S7_PT3_21rocsparse_index_base_b.kd
    .uniform_work_group_size: 1
    .uses_dynamic_stack: false
    .vgpr_count:     14
    .vgpr_spill_count: 0
    .wavefront_size: 64
  - .agpr_count:     0
    .args:
      - .offset:         0
        .size:           1
        .value_kind:     by_value
      - .offset:         8
        .size:           8
        .value_kind:     by_value
      - .actual_access:  read_only
        .address_space:  global
        .offset:         16
        .size:           8
        .value_kind:     global_buffer
      - .actual_access:  read_only
        .address_space:  global
        .offset:         24
        .size:           8
        .value_kind:     global_buffer
      - .offset:         32
        .size:           4
        .value_kind:     by_value
      - .offset:         40
        .size:           8
        .value_kind:     by_value
      - .actual_access:  read_only
        .address_space:  global
        .offset:         48
        .size:           8
        .value_kind:     global_buffer
      - .actual_access:  read_only
        .address_space:  global
        .offset:         56
        .size:           8
        .value_kind:     global_buffer
      - .actual_access:  read_only
        .address_space:  global
        .offset:         64
        .size:           8
        .value_kind:     global_buffer
      - .actual_access:  read_only
        .address_space:  global
        .offset:         72
        .size:           8
        .value_kind:     global_buffer
      - .offset:         80
        .size:           8
        .value_kind:     by_value
      - .address_space:  global
        .offset:         88
        .size:           8
        .value_kind:     global_buffer
      - .offset:         96
        .size:           4
        .value_kind:     by_value
      - .offset:         100
        .size:           1
        .value_kind:     by_value
    .group_segment_fixed_size: 0
    .kernarg_segment_align: 8
    .kernarg_segment_size: 104
    .language:       OpenCL C
    .language_version:
      - 2
      - 0
    .max_flat_workgroup_size: 256
    .name:           _ZN9rocsparseL28csrmvn_lrb_short_rows_kernelIlifdddEEvbT_PT0_S3_jNS_24const_host_device_scalarIT4_EEPKS1_PKS2_PKT1_PKT2_S6_PT3_21rocsparse_index_base_b
    .private_segment_fixed_size: 0
    .sgpr_count:     28
    .sgpr_spill_count: 0
    .symbol:         _ZN9rocsparseL28csrmvn_lrb_short_rows_kernelIlifdddEEvbT_PT0_S3_jNS_24const_host_device_scalarIT4_EEPKS1_PKS2_PKT1_PKT2_S6_PT3_21rocsparse_index_base_b.kd
    .uniform_work_group_size: 1
    .uses_dynamic_stack: false
    .vgpr_count:     14
    .vgpr_spill_count: 0
    .wavefront_size: 64
  - .agpr_count:     0
    .args:
      - .offset:         0
        .size:           1
        .value_kind:     by_value
      - .offset:         8
        .size:           8
        .value_kind:     by_value
      - .actual_access:  read_only
        .address_space:  global
        .offset:         16
        .size:           8
        .value_kind:     global_buffer
      - .actual_access:  read_only
        .address_space:  global
        .offset:         24
        .size:           8
        .value_kind:     global_buffer
      - .offset:         32
        .size:           4
        .value_kind:     by_value
      - .offset:         40
        .size:           8
        .value_kind:     by_value
      - .actual_access:  read_only
        .address_space:  global
        .offset:         48
        .size:           8
        .value_kind:     global_buffer
      - .actual_access:  read_only
        .address_space:  global
        .offset:         56
        .size:           8
        .value_kind:     global_buffer
      - .actual_access:  read_only
        .address_space:  global
        .offset:         64
        .size:           8
        .value_kind:     global_buffer
      - .actual_access:  read_only
        .address_space:  global
        .offset:         72
        .size:           8
        .value_kind:     global_buffer
      - .offset:         80
        .size:           8
        .value_kind:     by_value
      - .address_space:  global
        .offset:         88
        .size:           8
        .value_kind:     global_buffer
      - .offset:         96
        .size:           4
        .value_kind:     by_value
      - .offset:         100
        .size:           1
        .value_kind:     by_value
    .group_segment_fixed_size: 8192
    .kernarg_segment_align: 8
    .kernarg_segment_size: 104
    .language:       OpenCL C
    .language_version:
      - 2
      - 0
    .max_flat_workgroup_size: 256
    .name:           _ZN9rocsparseL30csrmvn_lrb_short_rows_2_kernelIlifdddEEvbT_PT0_S3_jNS_24const_host_device_scalarIT4_EEPKS1_PKS2_PKT1_PKT2_S6_PT3_21rocsparse_index_base_b
    .private_segment_fixed_size: 0
    .sgpr_count:     28
    .sgpr_spill_count: 0
    .symbol:         _ZN9rocsparseL30csrmvn_lrb_short_rows_2_kernelIlifdddEEvbT_PT0_S3_jNS_24const_host_device_scalarIT4_EEPKS1_PKS2_PKT1_PKT2_S6_PT3_21rocsparse_index_base_b.kd
    .uniform_work_group_size: 1
    .uses_dynamic_stack: false
    .vgpr_count:     12
    .vgpr_spill_count: 0
    .wavefront_size: 64
  - .agpr_count:     0
    .args:
      - .offset:         0
        .size:           1
        .value_kind:     by_value
      - .offset:         8
        .size:           8
        .value_kind:     by_value
      - .offset:         16
        .size:           8
        .value_kind:     by_value
      - .actual_access:  read_only
        .address_space:  global
        .offset:         24
        .size:           8
        .value_kind:     global_buffer
      - .actual_access:  read_only
        .address_space:  global
        .offset:         32
        .size:           8
        .value_kind:     global_buffer
      - .offset:         40
        .size:           4
        .value_kind:     by_value
      - .offset:         48
        .size:           8
        .value_kind:     by_value
      - .actual_access:  read_only
        .address_space:  global
        .offset:         56
        .size:           8
        .value_kind:     global_buffer
      - .actual_access:  read_only
        .address_space:  global
        .offset:         64
        .size:           8
        .value_kind:     global_buffer
      - .actual_access:  read_only
        .address_space:  global
        .offset:         72
        .size:           8
        .value_kind:     global_buffer
      - .actual_access:  read_only
        .address_space:  global
        .offset:         80
        .size:           8
        .value_kind:     global_buffer
      - .offset:         88
        .size:           8
        .value_kind:     by_value
      - .address_space:  global
        .offset:         96
        .size:           8
        .value_kind:     global_buffer
      - .offset:         104
        .size:           4
        .value_kind:     by_value
      - .offset:         108
        .size:           1
        .value_kind:     by_value
    .group_segment_fixed_size: 0
    .kernarg_segment_align: 8
    .kernarg_segment_size: 112
    .language:       OpenCL C
    .language_version:
      - 2
      - 0
    .max_flat_workgroup_size: 256
    .name:           _ZN9rocsparseL41csrmvn_lrb_medium_rows_warp_reduce_kernelILj256ELj32ElifdddEEvbT1_lPT2_S3_jNS_24const_host_device_scalarIT6_EEPKS1_PKS2_PKT3_PKT4_S6_PT5_21rocsparse_index_base_b
    .private_segment_fixed_size: 0
    .sgpr_count:     20
    .sgpr_spill_count: 0
    .symbol:         _ZN9rocsparseL41csrmvn_lrb_medium_rows_warp_reduce_kernelILj256ELj32ElifdddEEvbT1_lPT2_S3_jNS_24const_host_device_scalarIT6_EEPKS1_PKS2_PKT3_PKT4_S6_PT5_21rocsparse_index_base_b.kd
    .uniform_work_group_size: 1
    .uses_dynamic_stack: false
    .vgpr_count:     22
    .vgpr_spill_count: 0
    .wavefront_size: 64
  - .agpr_count:     0
    .args:
      - .offset:         0
        .size:           1
        .value_kind:     by_value
      - .offset:         8
        .size:           8
        .value_kind:     by_value
      - .offset:         16
        .size:           8
        .value_kind:     by_value
      - .actual_access:  read_only
        .address_space:  global
        .offset:         24
        .size:           8
        .value_kind:     global_buffer
      - .actual_access:  read_only
        .address_space:  global
        .offset:         32
        .size:           8
        .value_kind:     global_buffer
      - .offset:         40
        .size:           4
        .value_kind:     by_value
      - .offset:         48
        .size:           8
        .value_kind:     by_value
      - .actual_access:  read_only
        .address_space:  global
        .offset:         56
        .size:           8
        .value_kind:     global_buffer
      - .actual_access:  read_only
        .address_space:  global
        .offset:         64
        .size:           8
        .value_kind:     global_buffer
      - .actual_access:  read_only
        .address_space:  global
        .offset:         72
        .size:           8
        .value_kind:     global_buffer
      - .actual_access:  read_only
        .address_space:  global
        .offset:         80
        .size:           8
        .value_kind:     global_buffer
      - .offset:         88
        .size:           8
        .value_kind:     by_value
      - .address_space:  global
        .offset:         96
        .size:           8
        .value_kind:     global_buffer
      - .offset:         104
        .size:           4
        .value_kind:     by_value
      - .offset:         108
        .size:           1
        .value_kind:     by_value
    .group_segment_fixed_size: 0
    .kernarg_segment_align: 8
    .kernarg_segment_size: 112
    .language:       OpenCL C
    .language_version:
      - 2
      - 0
    .max_flat_workgroup_size: 256
    .name:           _ZN9rocsparseL41csrmvn_lrb_medium_rows_warp_reduce_kernelILj256ELj64ElifdddEEvbT1_lPT2_S3_jNS_24const_host_device_scalarIT6_EEPKS1_PKS2_PKT3_PKT4_S6_PT5_21rocsparse_index_base_b
    .private_segment_fixed_size: 0
    .sgpr_count:     20
    .sgpr_spill_count: 0
    .symbol:         _ZN9rocsparseL41csrmvn_lrb_medium_rows_warp_reduce_kernelILj256ELj64ElifdddEEvbT1_lPT2_S3_jNS_24const_host_device_scalarIT6_EEPKS1_PKS2_PKT3_PKT4_S6_PT5_21rocsparse_index_base_b.kd
    .uniform_work_group_size: 1
    .uses_dynamic_stack: false
    .vgpr_count:     22
    .vgpr_spill_count: 0
    .wavefront_size: 64
  - .agpr_count:     0
    .args:
      - .offset:         0
        .size:           1
        .value_kind:     by_value
      - .offset:         8
        .size:           8
        .value_kind:     by_value
      - .actual_access:  read_only
        .address_space:  global
        .offset:         16
        .size:           8
        .value_kind:     global_buffer
      - .actual_access:  read_only
        .address_space:  global
        .offset:         24
        .size:           8
        .value_kind:     global_buffer
      - .offset:         32
        .size:           4
        .value_kind:     by_value
      - .offset:         40
        .size:           8
        .value_kind:     by_value
      - .actual_access:  read_only
        .address_space:  global
        .offset:         48
        .size:           8
        .value_kind:     global_buffer
      - .actual_access:  read_only
        .address_space:  global
        .offset:         56
        .size:           8
        .value_kind:     global_buffer
      - .actual_access:  read_only
        .address_space:  global
        .offset:         64
        .size:           8
        .value_kind:     global_buffer
      - .actual_access:  read_only
        .address_space:  global
        .offset:         72
        .size:           8
        .value_kind:     global_buffer
      - .offset:         80
        .size:           8
        .value_kind:     by_value
      - .address_space:  global
        .offset:         88
        .size:           8
        .value_kind:     global_buffer
      - .offset:         96
        .size:           4
        .value_kind:     by_value
      - .offset:         100
        .size:           1
        .value_kind:     by_value
    .group_segment_fixed_size: 2048
    .kernarg_segment_align: 8
    .kernarg_segment_size: 104
    .language:       OpenCL C
    .language_version:
      - 2
      - 0
    .max_flat_workgroup_size: 256
    .name:           _ZN9rocsparseL29csrmvn_lrb_medium_rows_kernelILj256ElifdddEEvbT0_PT1_S3_jNS_24const_host_device_scalarIT5_EEPKS1_PKS2_PKT2_PKT3_S6_PT4_21rocsparse_index_base_b
    .private_segment_fixed_size: 0
    .sgpr_count:     24
    .sgpr_spill_count: 0
    .symbol:         _ZN9rocsparseL29csrmvn_lrb_medium_rows_kernelILj256ElifdddEEvbT0_PT1_S3_jNS_24const_host_device_scalarIT5_EEPKS1_PKS2_PKT2_PKT3_S6_PT4_21rocsparse_index_base_b.kd
    .uniform_work_group_size: 1
    .uses_dynamic_stack: false
    .vgpr_count:     18
    .vgpr_spill_count: 0
    .wavefront_size: 64
  - .agpr_count:     0
    .args:
      - .offset:         0
        .size:           1
        .value_kind:     by_value
      - .offset:         8
        .size:           8
        .value_kind:     by_value
      - .address_space:  global
        .offset:         16
        .size:           8
        .value_kind:     global_buffer
      - .actual_access:  read_only
        .address_space:  global
        .offset:         24
        .size:           8
        .value_kind:     global_buffer
      - .actual_access:  read_only
        .address_space:  global
        .offset:         32
        .size:           8
        .value_kind:     global_buffer
      - .offset:         40
        .size:           4
        .value_kind:     by_value
      - .offset:         48
        .size:           8
        .value_kind:     by_value
      - .actual_access:  read_only
        .address_space:  global
        .offset:         56
        .size:           8
        .value_kind:     global_buffer
      - .actual_access:  read_only
        .address_space:  global
        .offset:         64
        .size:           8
        .value_kind:     global_buffer
      - .actual_access:  read_only
        .address_space:  global
        .offset:         72
        .size:           8
        .value_kind:     global_buffer
      - .actual_access:  read_only
        .address_space:  global
        .offset:         80
        .size:           8
        .value_kind:     global_buffer
      - .offset:         88
        .size:           8
        .value_kind:     by_value
      - .address_space:  global
        .offset:         96
        .size:           8
        .value_kind:     global_buffer
      - .offset:         104
        .size:           4
        .value_kind:     by_value
      - .offset:         108
        .size:           1
        .value_kind:     by_value
    .group_segment_fixed_size: 2048
    .kernarg_segment_align: 8
    .kernarg_segment_size: 112
    .language:       OpenCL C
    .language_version:
      - 2
      - 0
    .max_flat_workgroup_size: 256
    .name:           _ZN9rocsparseL27csrmvn_lrb_long_rows_kernelIlifdddEEvbT_PjPT0_S4_jNS_24const_host_device_scalarIT4_EEPKS1_PKS3_PKT1_PKT2_S7_PT3_21rocsparse_index_base_b
    .private_segment_fixed_size: 0
    .sgpr_count:     36
    .sgpr_spill_count: 0
    .symbol:         _ZN9rocsparseL27csrmvn_lrb_long_rows_kernelIlifdddEEvbT_PjPT0_S4_jNS_24const_host_device_scalarIT4_EEPKS1_PKS3_PKT1_PKT2_S7_PT3_21rocsparse_index_base_b.kd
    .uniform_work_group_size: 1
    .uses_dynamic_stack: false
    .vgpr_count:     16
    .vgpr_spill_count: 0
    .wavefront_size: 64
  - .agpr_count:     0
    .args:
      - .offset:         0
        .size:           1
        .value_kind:     by_value
      - .offset:         8
        .size:           8
        .value_kind:     by_value
      - .actual_access:  read_only
        .address_space:  global
        .offset:         16
        .size:           8
        .value_kind:     global_buffer
      - .actual_access:  read_only
        .address_space:  global
        .offset:         24
        .size:           8
        .value_kind:     global_buffer
      - .offset:         32
        .size:           4
        .value_kind:     by_value
      - .offset:         40
        .size:           8
        .value_kind:     by_value
      - .actual_access:  read_only
        .address_space:  global
        .offset:         48
        .size:           8
        .value_kind:     global_buffer
      - .actual_access:  read_only
        .address_space:  global
        .offset:         56
        .size:           8
        .value_kind:     global_buffer
      - .actual_access:  read_only
        .address_space:  global
        .offset:         64
        .size:           8
        .value_kind:     global_buffer
      - .actual_access:  read_only
        .address_space:  global
        .offset:         72
        .size:           8
        .value_kind:     global_buffer
      - .offset:         80
        .size:           8
        .value_kind:     by_value
      - .address_space:  global
        .offset:         88
        .size:           8
        .value_kind:     global_buffer
      - .offset:         96
        .size:           4
        .value_kind:     by_value
      - .offset:         100
        .size:           1
        .value_kind:     by_value
    .group_segment_fixed_size: 0
    .kernarg_segment_align: 8
    .kernarg_segment_size: 104
    .language:       OpenCL C
    .language_version:
      - 2
      - 0
    .max_flat_workgroup_size: 256
    .name:           _ZN9rocsparseL28csrmvn_lrb_short_rows_kernelIllfdddEEvbT_PT0_S3_jNS_24const_host_device_scalarIT4_EEPKS1_PKS2_PKT1_PKT2_S6_PT3_21rocsparse_index_base_b
    .private_segment_fixed_size: 0
    .sgpr_count:     31
    .sgpr_spill_count: 0
    .symbol:         _ZN9rocsparseL28csrmvn_lrb_short_rows_kernelIllfdddEEvbT_PT0_S3_jNS_24const_host_device_scalarIT4_EEPKS1_PKS2_PKT1_PKT2_S6_PT3_21rocsparse_index_base_b.kd
    .uniform_work_group_size: 1
    .uses_dynamic_stack: false
    .vgpr_count:     16
    .vgpr_spill_count: 0
    .wavefront_size: 64
  - .agpr_count:     0
    .args:
      - .offset:         0
        .size:           1
        .value_kind:     by_value
      - .offset:         8
        .size:           8
        .value_kind:     by_value
      - .actual_access:  read_only
        .address_space:  global
        .offset:         16
        .size:           8
        .value_kind:     global_buffer
      - .actual_access:  read_only
        .address_space:  global
        .offset:         24
        .size:           8
        .value_kind:     global_buffer
      - .offset:         32
        .size:           4
        .value_kind:     by_value
      - .offset:         40
        .size:           8
        .value_kind:     by_value
      - .actual_access:  read_only
        .address_space:  global
        .offset:         48
        .size:           8
        .value_kind:     global_buffer
      - .actual_access:  read_only
        .address_space:  global
        .offset:         56
        .size:           8
        .value_kind:     global_buffer
      - .actual_access:  read_only
        .address_space:  global
        .offset:         64
        .size:           8
        .value_kind:     global_buffer
      - .actual_access:  read_only
        .address_space:  global
        .offset:         72
        .size:           8
        .value_kind:     global_buffer
      - .offset:         80
        .size:           8
        .value_kind:     by_value
      - .address_space:  global
        .offset:         88
        .size:           8
        .value_kind:     global_buffer
      - .offset:         96
        .size:           4
        .value_kind:     by_value
      - .offset:         100
        .size:           1
        .value_kind:     by_value
    .group_segment_fixed_size: 8192
    .kernarg_segment_align: 8
    .kernarg_segment_size: 104
    .language:       OpenCL C
    .language_version:
      - 2
      - 0
    .max_flat_workgroup_size: 256
    .name:           _ZN9rocsparseL30csrmvn_lrb_short_rows_2_kernelIllfdddEEvbT_PT0_S3_jNS_24const_host_device_scalarIT4_EEPKS1_PKS2_PKT1_PKT2_S6_PT3_21rocsparse_index_base_b
    .private_segment_fixed_size: 0
    .sgpr_count:     30
    .sgpr_spill_count: 0
    .symbol:         _ZN9rocsparseL30csrmvn_lrb_short_rows_2_kernelIllfdddEEvbT_PT0_S3_jNS_24const_host_device_scalarIT4_EEPKS1_PKS2_PKT1_PKT2_S6_PT3_21rocsparse_index_base_b.kd
    .uniform_work_group_size: 1
    .uses_dynamic_stack: false
    .vgpr_count:     13
    .vgpr_spill_count: 0
    .wavefront_size: 64
  - .agpr_count:     0
    .args:
      - .offset:         0
        .size:           1
        .value_kind:     by_value
      - .offset:         8
        .size:           8
        .value_kind:     by_value
      - .offset:         16
        .size:           8
        .value_kind:     by_value
      - .actual_access:  read_only
        .address_space:  global
        .offset:         24
        .size:           8
        .value_kind:     global_buffer
      - .actual_access:  read_only
        .address_space:  global
        .offset:         32
        .size:           8
        .value_kind:     global_buffer
      - .offset:         40
        .size:           4
        .value_kind:     by_value
      - .offset:         48
        .size:           8
        .value_kind:     by_value
      - .actual_access:  read_only
        .address_space:  global
        .offset:         56
        .size:           8
        .value_kind:     global_buffer
      - .actual_access:  read_only
        .address_space:  global
        .offset:         64
        .size:           8
        .value_kind:     global_buffer
      - .actual_access:  read_only
        .address_space:  global
        .offset:         72
        .size:           8
        .value_kind:     global_buffer
      - .actual_access:  read_only
        .address_space:  global
        .offset:         80
        .size:           8
        .value_kind:     global_buffer
      - .offset:         88
        .size:           8
        .value_kind:     by_value
      - .address_space:  global
        .offset:         96
        .size:           8
        .value_kind:     global_buffer
      - .offset:         104
        .size:           4
        .value_kind:     by_value
      - .offset:         108
        .size:           1
        .value_kind:     by_value
    .group_segment_fixed_size: 0
    .kernarg_segment_align: 8
    .kernarg_segment_size: 112
    .language:       OpenCL C
    .language_version:
      - 2
      - 0
    .max_flat_workgroup_size: 256
    .name:           _ZN9rocsparseL41csrmvn_lrb_medium_rows_warp_reduce_kernelILj256ELj32EllfdddEEvbT1_lPT2_S3_jNS_24const_host_device_scalarIT6_EEPKS1_PKS2_PKT3_PKT4_S6_PT5_21rocsparse_index_base_b
    .private_segment_fixed_size: 0
    .sgpr_count:     20
    .sgpr_spill_count: 0
    .symbol:         _ZN9rocsparseL41csrmvn_lrb_medium_rows_warp_reduce_kernelILj256ELj32EllfdddEEvbT1_lPT2_S3_jNS_24const_host_device_scalarIT6_EEPKS1_PKS2_PKT3_PKT4_S6_PT5_21rocsparse_index_base_b.kd
    .uniform_work_group_size: 1
    .uses_dynamic_stack: false
    .vgpr_count:     24
    .vgpr_spill_count: 0
    .wavefront_size: 64
  - .agpr_count:     0
    .args:
      - .offset:         0
        .size:           1
        .value_kind:     by_value
      - .offset:         8
        .size:           8
        .value_kind:     by_value
      - .offset:         16
        .size:           8
        .value_kind:     by_value
      - .actual_access:  read_only
        .address_space:  global
        .offset:         24
        .size:           8
        .value_kind:     global_buffer
      - .actual_access:  read_only
        .address_space:  global
        .offset:         32
        .size:           8
        .value_kind:     global_buffer
      - .offset:         40
        .size:           4
        .value_kind:     by_value
      - .offset:         48
        .size:           8
        .value_kind:     by_value
      - .actual_access:  read_only
        .address_space:  global
        .offset:         56
        .size:           8
        .value_kind:     global_buffer
      - .actual_access:  read_only
        .address_space:  global
        .offset:         64
        .size:           8
        .value_kind:     global_buffer
      - .actual_access:  read_only
        .address_space:  global
        .offset:         72
        .size:           8
        .value_kind:     global_buffer
      - .actual_access:  read_only
        .address_space:  global
        .offset:         80
        .size:           8
        .value_kind:     global_buffer
      - .offset:         88
        .size:           8
        .value_kind:     by_value
      - .address_space:  global
        .offset:         96
        .size:           8
        .value_kind:     global_buffer
      - .offset:         104
        .size:           4
        .value_kind:     by_value
      - .offset:         108
        .size:           1
        .value_kind:     by_value
    .group_segment_fixed_size: 0
    .kernarg_segment_align: 8
    .kernarg_segment_size: 112
    .language:       OpenCL C
    .language_version:
      - 2
      - 0
    .max_flat_workgroup_size: 256
    .name:           _ZN9rocsparseL41csrmvn_lrb_medium_rows_warp_reduce_kernelILj256ELj64EllfdddEEvbT1_lPT2_S3_jNS_24const_host_device_scalarIT6_EEPKS1_PKS2_PKT3_PKT4_S6_PT5_21rocsparse_index_base_b
    .private_segment_fixed_size: 0
    .sgpr_count:     20
    .sgpr_spill_count: 0
    .symbol:         _ZN9rocsparseL41csrmvn_lrb_medium_rows_warp_reduce_kernelILj256ELj64EllfdddEEvbT1_lPT2_S3_jNS_24const_host_device_scalarIT6_EEPKS1_PKS2_PKT3_PKT4_S6_PT5_21rocsparse_index_base_b.kd
    .uniform_work_group_size: 1
    .uses_dynamic_stack: false
    .vgpr_count:     24
    .vgpr_spill_count: 0
    .wavefront_size: 64
  - .agpr_count:     0
    .args:
      - .offset:         0
        .size:           1
        .value_kind:     by_value
      - .offset:         8
        .size:           8
        .value_kind:     by_value
      - .actual_access:  read_only
        .address_space:  global
        .offset:         16
        .size:           8
        .value_kind:     global_buffer
      - .actual_access:  read_only
        .address_space:  global
        .offset:         24
        .size:           8
        .value_kind:     global_buffer
      - .offset:         32
        .size:           4
        .value_kind:     by_value
      - .offset:         40
        .size:           8
        .value_kind:     by_value
      - .actual_access:  read_only
        .address_space:  global
        .offset:         48
        .size:           8
        .value_kind:     global_buffer
      - .actual_access:  read_only
        .address_space:  global
        .offset:         56
        .size:           8
        .value_kind:     global_buffer
      - .actual_access:  read_only
        .address_space:  global
        .offset:         64
        .size:           8
        .value_kind:     global_buffer
      - .actual_access:  read_only
        .address_space:  global
        .offset:         72
        .size:           8
        .value_kind:     global_buffer
      - .offset:         80
        .size:           8
        .value_kind:     by_value
      - .address_space:  global
        .offset:         88
        .size:           8
        .value_kind:     global_buffer
      - .offset:         96
        .size:           4
        .value_kind:     by_value
      - .offset:         100
        .size:           1
        .value_kind:     by_value
    .group_segment_fixed_size: 2048
    .kernarg_segment_align: 8
    .kernarg_segment_size: 104
    .language:       OpenCL C
    .language_version:
      - 2
      - 0
    .max_flat_workgroup_size: 256
    .name:           _ZN9rocsparseL29csrmvn_lrb_medium_rows_kernelILj256EllfdddEEvbT0_PT1_S3_jNS_24const_host_device_scalarIT5_EEPKS1_PKS2_PKT2_PKT3_S6_PT4_21rocsparse_index_base_b
    .private_segment_fixed_size: 0
    .sgpr_count:     24
    .sgpr_spill_count: 0
    .symbol:         _ZN9rocsparseL29csrmvn_lrb_medium_rows_kernelILj256EllfdddEEvbT0_PT1_S3_jNS_24const_host_device_scalarIT5_EEPKS1_PKS2_PKT2_PKT3_S6_PT4_21rocsparse_index_base_b.kd
    .uniform_work_group_size: 1
    .uses_dynamic_stack: false
    .vgpr_count:     20
    .vgpr_spill_count: 0
    .wavefront_size: 64
  - .agpr_count:     0
    .args:
      - .offset:         0
        .size:           1
        .value_kind:     by_value
      - .offset:         8
        .size:           8
        .value_kind:     by_value
      - .address_space:  global
        .offset:         16
        .size:           8
        .value_kind:     global_buffer
      - .actual_access:  read_only
        .address_space:  global
        .offset:         24
        .size:           8
        .value_kind:     global_buffer
      - .actual_access:  read_only
        .address_space:  global
        .offset:         32
        .size:           8
        .value_kind:     global_buffer
      - .offset:         40
        .size:           4
        .value_kind:     by_value
      - .offset:         48
        .size:           8
        .value_kind:     by_value
      - .actual_access:  read_only
        .address_space:  global
        .offset:         56
        .size:           8
        .value_kind:     global_buffer
      - .actual_access:  read_only
        .address_space:  global
        .offset:         64
        .size:           8
        .value_kind:     global_buffer
      - .actual_access:  read_only
        .address_space:  global
        .offset:         72
        .size:           8
        .value_kind:     global_buffer
      - .actual_access:  read_only
        .address_space:  global
        .offset:         80
        .size:           8
        .value_kind:     global_buffer
      - .offset:         88
        .size:           8
        .value_kind:     by_value
      - .address_space:  global
        .offset:         96
        .size:           8
        .value_kind:     global_buffer
      - .offset:         104
        .size:           4
        .value_kind:     by_value
      - .offset:         108
        .size:           1
        .value_kind:     by_value
    .group_segment_fixed_size: 2048
    .kernarg_segment_align: 8
    .kernarg_segment_size: 112
    .language:       OpenCL C
    .language_version:
      - 2
      - 0
    .max_flat_workgroup_size: 256
    .name:           _ZN9rocsparseL27csrmvn_lrb_long_rows_kernelIllfdddEEvbT_PjPT0_S4_jNS_24const_host_device_scalarIT4_EEPKS1_PKS3_PKT1_PKT2_S7_PT3_21rocsparse_index_base_b
    .private_segment_fixed_size: 0
    .sgpr_count:     36
    .sgpr_spill_count: 0
    .symbol:         _ZN9rocsparseL27csrmvn_lrb_long_rows_kernelIllfdddEEvbT_PjPT0_S4_jNS_24const_host_device_scalarIT4_EEPKS1_PKS3_PKT1_PKT2_S7_PT3_21rocsparse_index_base_b.kd
    .uniform_work_group_size: 1
    .uses_dynamic_stack: false
    .vgpr_count:     18
    .vgpr_spill_count: 0
    .wavefront_size: 64
  - .agpr_count:     0
    .args:
      - .offset:         0
        .size:           1
        .value_kind:     by_value
      - .offset:         4
        .size:           4
        .value_kind:     by_value
      - .actual_access:  read_only
        .address_space:  global
        .offset:         8
        .size:           8
        .value_kind:     global_buffer
      - .actual_access:  read_only
        .address_space:  global
        .offset:         16
        .size:           8
        .value_kind:     global_buffer
      - .offset:         24
        .size:           4
        .value_kind:     by_value
      - .offset:         32
        .size:           16
        .value_kind:     by_value
      - .actual_access:  read_only
        .address_space:  global
        .offset:         48
        .size:           8
        .value_kind:     global_buffer
      - .actual_access:  read_only
        .address_space:  global
        .offset:         56
        .size:           8
        .value_kind:     global_buffer
      - .actual_access:  read_only
        .address_space:  global
        .offset:         64
        .size:           8
        .value_kind:     global_buffer
      - .actual_access:  read_only
        .address_space:  global
        .offset:         72
        .size:           8
        .value_kind:     global_buffer
      - .offset:         80
        .size:           16
        .value_kind:     by_value
      - .address_space:  global
        .offset:         96
        .size:           8
        .value_kind:     global_buffer
      - .offset:         104
        .size:           4
        .value_kind:     by_value
      - .offset:         108
        .size:           1
        .value_kind:     by_value
    .group_segment_fixed_size: 0
    .kernarg_segment_align: 8
    .kernarg_segment_size: 112
    .language:       OpenCL C
    .language_version:
      - 2
      - 0
    .max_flat_workgroup_size: 256
    .name:           _ZN9rocsparseL28csrmvn_lrb_short_rows_kernelIiid21rocsparse_complex_numIdES2_S2_EEvbT_PT0_S5_jNS_24const_host_device_scalarIT4_EEPKS3_PKS4_PKT1_PKT2_S8_PT3_21rocsparse_index_base_b
    .private_segment_fixed_size: 24
    .sgpr_count:     33
    .sgpr_spill_count: 0
    .symbol:         _ZN9rocsparseL28csrmvn_lrb_short_rows_kernelIiid21rocsparse_complex_numIdES2_S2_EEvbT_PT0_S5_jNS_24const_host_device_scalarIT4_EEPKS3_PKS4_PKT1_PKT2_S8_PT3_21rocsparse_index_base_b.kd
    .uniform_work_group_size: 1
    .uses_dynamic_stack: false
    .vgpr_count:     30
    .vgpr_spill_count: 0
    .wavefront_size: 64
  - .agpr_count:     0
    .args:
      - .offset:         0
        .size:           1
        .value_kind:     by_value
      - .offset:         4
        .size:           4
        .value_kind:     by_value
      - .actual_access:  read_only
        .address_space:  global
        .offset:         8
        .size:           8
        .value_kind:     global_buffer
      - .actual_access:  read_only
        .address_space:  global
        .offset:         16
        .size:           8
        .value_kind:     global_buffer
      - .offset:         24
        .size:           4
        .value_kind:     by_value
      - .offset:         32
        .size:           16
        .value_kind:     by_value
      - .actual_access:  read_only
        .address_space:  global
        .offset:         48
        .size:           8
        .value_kind:     global_buffer
      - .actual_access:  read_only
        .address_space:  global
        .offset:         56
        .size:           8
        .value_kind:     global_buffer
      - .actual_access:  read_only
        .address_space:  global
        .offset:         64
        .size:           8
        .value_kind:     global_buffer
      - .actual_access:  read_only
        .address_space:  global
        .offset:         72
        .size:           8
        .value_kind:     global_buffer
      - .offset:         80
        .size:           16
        .value_kind:     by_value
      - .address_space:  global
        .offset:         96
        .size:           8
        .value_kind:     global_buffer
      - .offset:         104
        .size:           4
        .value_kind:     by_value
      - .offset:         108
        .size:           1
        .value_kind:     by_value
    .group_segment_fixed_size: 16384
    .kernarg_segment_align: 8
    .kernarg_segment_size: 112
    .language:       OpenCL C
    .language_version:
      - 2
      - 0
    .max_flat_workgroup_size: 256
    .name:           _ZN9rocsparseL30csrmvn_lrb_short_rows_2_kernelIiid21rocsparse_complex_numIdES2_S2_EEvbT_PT0_S5_jNS_24const_host_device_scalarIT4_EEPKS3_PKS4_PKT1_PKT2_S8_PT3_21rocsparse_index_base_b
    .private_segment_fixed_size: 24
    .sgpr_count:     36
    .sgpr_spill_count: 0
    .symbol:         _ZN9rocsparseL30csrmvn_lrb_short_rows_2_kernelIiid21rocsparse_complex_numIdES2_S2_EEvbT_PT0_S5_jNS_24const_host_device_scalarIT4_EEPKS3_PKS4_PKT1_PKT2_S8_PT3_21rocsparse_index_base_b.kd
    .uniform_work_group_size: 1
    .uses_dynamic_stack: false
    .vgpr_count:     28
    .vgpr_spill_count: 0
    .wavefront_size: 64
  - .agpr_count:     0
    .args:
      - .offset:         0
        .size:           1
        .value_kind:     by_value
      - .offset:         4
        .size:           4
        .value_kind:     by_value
      - .offset:         8
        .size:           8
        .value_kind:     by_value
      - .actual_access:  read_only
        .address_space:  global
        .offset:         16
        .size:           8
        .value_kind:     global_buffer
      - .actual_access:  read_only
        .address_space:  global
        .offset:         24
        .size:           8
        .value_kind:     global_buffer
      - .offset:         32
        .size:           4
        .value_kind:     by_value
      - .offset:         40
        .size:           16
        .value_kind:     by_value
      - .actual_access:  read_only
        .address_space:  global
        .offset:         56
        .size:           8
        .value_kind:     global_buffer
      - .actual_access:  read_only
        .address_space:  global
        .offset:         64
        .size:           8
        .value_kind:     global_buffer
      - .actual_access:  read_only
        .address_space:  global
        .offset:         72
        .size:           8
        .value_kind:     global_buffer
      - .actual_access:  read_only
        .address_space:  global
        .offset:         80
        .size:           8
        .value_kind:     global_buffer
      - .offset:         88
        .size:           16
        .value_kind:     by_value
      - .address_space:  global
        .offset:         104
        .size:           8
        .value_kind:     global_buffer
      - .offset:         112
        .size:           4
        .value_kind:     by_value
      - .offset:         116
        .size:           1
        .value_kind:     by_value
    .group_segment_fixed_size: 4096
    .kernarg_segment_align: 8
    .kernarg_segment_size: 120
    .language:       OpenCL C
    .language_version:
      - 2
      - 0
    .max_flat_workgroup_size: 256
    .name:           _ZN9rocsparseL41csrmvn_lrb_medium_rows_warp_reduce_kernelILj256ELj32Eiid21rocsparse_complex_numIdES2_S2_EEvbT1_lPT2_S5_jNS_24const_host_device_scalarIT6_EEPKS3_PKS4_PKT3_PKT4_S8_PT5_21rocsparse_index_base_b
    .private_segment_fixed_size: 0
    .sgpr_count:     26
    .sgpr_spill_count: 0
    .symbol:         _ZN9rocsparseL41csrmvn_lrb_medium_rows_warp_reduce_kernelILj256ELj32Eiid21rocsparse_complex_numIdES2_S2_EEvbT1_lPT2_S5_jNS_24const_host_device_scalarIT6_EEPKS3_PKS4_PKT3_PKT4_S8_PT5_21rocsparse_index_base_b.kd
    .uniform_work_group_size: 1
    .uses_dynamic_stack: false
    .vgpr_count:     34
    .vgpr_spill_count: 0
    .wavefront_size: 64
  - .agpr_count:     0
    .args:
      - .offset:         0
        .size:           1
        .value_kind:     by_value
      - .offset:         4
        .size:           4
        .value_kind:     by_value
      - .offset:         8
        .size:           8
        .value_kind:     by_value
      - .actual_access:  read_only
        .address_space:  global
        .offset:         16
        .size:           8
        .value_kind:     global_buffer
      - .actual_access:  read_only
        .address_space:  global
        .offset:         24
        .size:           8
        .value_kind:     global_buffer
      - .offset:         32
        .size:           4
        .value_kind:     by_value
      - .offset:         40
        .size:           16
        .value_kind:     by_value
      - .actual_access:  read_only
        .address_space:  global
        .offset:         56
        .size:           8
        .value_kind:     global_buffer
      - .actual_access:  read_only
        .address_space:  global
        .offset:         64
        .size:           8
        .value_kind:     global_buffer
      - .actual_access:  read_only
        .address_space:  global
        .offset:         72
        .size:           8
        .value_kind:     global_buffer
      - .actual_access:  read_only
        .address_space:  global
        .offset:         80
        .size:           8
        .value_kind:     global_buffer
      - .offset:         88
        .size:           16
        .value_kind:     by_value
      - .address_space:  global
        .offset:         104
        .size:           8
        .value_kind:     global_buffer
      - .offset:         112
        .size:           4
        .value_kind:     by_value
      - .offset:         116
        .size:           1
        .value_kind:     by_value
    .group_segment_fixed_size: 4096
    .kernarg_segment_align: 8
    .kernarg_segment_size: 120
    .language:       OpenCL C
    .language_version:
      - 2
      - 0
    .max_flat_workgroup_size: 256
    .name:           _ZN9rocsparseL41csrmvn_lrb_medium_rows_warp_reduce_kernelILj256ELj64Eiid21rocsparse_complex_numIdES2_S2_EEvbT1_lPT2_S5_jNS_24const_host_device_scalarIT6_EEPKS3_PKS4_PKT3_PKT4_S8_PT5_21rocsparse_index_base_b
    .private_segment_fixed_size: 0
    .sgpr_count:     26
    .sgpr_spill_count: 0
    .symbol:         _ZN9rocsparseL41csrmvn_lrb_medium_rows_warp_reduce_kernelILj256ELj64Eiid21rocsparse_complex_numIdES2_S2_EEvbT1_lPT2_S5_jNS_24const_host_device_scalarIT6_EEPKS3_PKS4_PKT3_PKT4_S8_PT5_21rocsparse_index_base_b.kd
    .uniform_work_group_size: 1
    .uses_dynamic_stack: false
    .vgpr_count:     34
    .vgpr_spill_count: 0
    .wavefront_size: 64
  - .agpr_count:     0
    .args:
      - .offset:         0
        .size:           1
        .value_kind:     by_value
      - .offset:         4
        .size:           4
        .value_kind:     by_value
      - .actual_access:  read_only
        .address_space:  global
        .offset:         8
        .size:           8
        .value_kind:     global_buffer
      - .actual_access:  read_only
        .address_space:  global
        .offset:         16
        .size:           8
        .value_kind:     global_buffer
      - .offset:         24
        .size:           4
        .value_kind:     by_value
      - .offset:         32
        .size:           16
        .value_kind:     by_value
      - .actual_access:  read_only
        .address_space:  global
        .offset:         48
        .size:           8
        .value_kind:     global_buffer
      - .actual_access:  read_only
        .address_space:  global
        .offset:         56
        .size:           8
        .value_kind:     global_buffer
      - .actual_access:  read_only
        .address_space:  global
        .offset:         64
        .size:           8
        .value_kind:     global_buffer
      - .actual_access:  read_only
        .address_space:  global
        .offset:         72
        .size:           8
        .value_kind:     global_buffer
      - .offset:         80
        .size:           16
        .value_kind:     by_value
      - .address_space:  global
        .offset:         96
        .size:           8
        .value_kind:     global_buffer
      - .offset:         104
        .size:           4
        .value_kind:     by_value
      - .offset:         108
        .size:           1
        .value_kind:     by_value
    .group_segment_fixed_size: 8192
    .kernarg_segment_align: 8
    .kernarg_segment_size: 112
    .language:       OpenCL C
    .language_version:
      - 2
      - 0
    .max_flat_workgroup_size: 256
    .name:           _ZN9rocsparseL29csrmvn_lrb_medium_rows_kernelILj256Eiid21rocsparse_complex_numIdES2_S2_EEvbT0_PT1_S5_jNS_24const_host_device_scalarIT5_EEPKS3_PKS4_PKT2_PKT3_S8_PT4_21rocsparse_index_base_b
    .private_segment_fixed_size: 0
    .sgpr_count:     26
    .sgpr_spill_count: 0
    .symbol:         _ZN9rocsparseL29csrmvn_lrb_medium_rows_kernelILj256Eiid21rocsparse_complex_numIdES2_S2_EEvbT0_PT1_S5_jNS_24const_host_device_scalarIT5_EEPKS3_PKS4_PKT2_PKT3_S8_PT4_21rocsparse_index_base_b.kd
    .uniform_work_group_size: 1
    .uses_dynamic_stack: false
    .vgpr_count:     30
    .vgpr_spill_count: 0
    .wavefront_size: 64
  - .agpr_count:     0
    .args:
      - .offset:         0
        .size:           1
        .value_kind:     by_value
      - .offset:         4
        .size:           4
        .value_kind:     by_value
      - .address_space:  global
        .offset:         8
        .size:           8
        .value_kind:     global_buffer
      - .actual_access:  read_only
        .address_space:  global
        .offset:         16
        .size:           8
        .value_kind:     global_buffer
      - .actual_access:  read_only
        .address_space:  global
        .offset:         24
        .size:           8
        .value_kind:     global_buffer
      - .offset:         32
        .size:           4
        .value_kind:     by_value
      - .offset:         40
        .size:           16
        .value_kind:     by_value
      - .actual_access:  read_only
        .address_space:  global
        .offset:         56
        .size:           8
        .value_kind:     global_buffer
      - .actual_access:  read_only
        .address_space:  global
        .offset:         64
        .size:           8
        .value_kind:     global_buffer
      - .actual_access:  read_only
        .address_space:  global
        .offset:         72
        .size:           8
        .value_kind:     global_buffer
      - .actual_access:  read_only
        .address_space:  global
        .offset:         80
        .size:           8
        .value_kind:     global_buffer
      - .offset:         88
        .size:           16
        .value_kind:     by_value
      - .address_space:  global
        .offset:         104
        .size:           8
        .value_kind:     global_buffer
      - .offset:         112
        .size:           4
        .value_kind:     by_value
      - .offset:         116
        .size:           1
        .value_kind:     by_value
    .group_segment_fixed_size: 8192
    .kernarg_segment_align: 8
    .kernarg_segment_size: 120
    .language:       OpenCL C
    .language_version:
      - 2
      - 0
    .max_flat_workgroup_size: 256
    .name:           _ZN9rocsparseL27csrmvn_lrb_long_rows_kernelIiid21rocsparse_complex_numIdES2_S2_EEvbT_PjPT0_S6_jNS_24const_host_device_scalarIT4_EEPKS3_PKS5_PKT1_PKT2_S9_PT3_21rocsparse_index_base_b
    .private_segment_fixed_size: 0
    .sgpr_count:     32
    .sgpr_spill_count: 0
    .symbol:         _ZN9rocsparseL27csrmvn_lrb_long_rows_kernelIiid21rocsparse_complex_numIdES2_S2_EEvbT_PjPT0_S6_jNS_24const_host_device_scalarIT4_EEPKS3_PKS5_PKT1_PKT2_S9_PT3_21rocsparse_index_base_b.kd
    .uniform_work_group_size: 1
    .uses_dynamic_stack: false
    .vgpr_count:     26
    .vgpr_spill_count: 0
    .wavefront_size: 64
  - .agpr_count:     0
    .args:
      - .offset:         0
        .size:           1
        .value_kind:     by_value
      - .offset:         8
        .size:           8
        .value_kind:     by_value
      - .actual_access:  read_only
        .address_space:  global
        .offset:         16
        .size:           8
        .value_kind:     global_buffer
      - .actual_access:  read_only
        .address_space:  global
        .offset:         24
        .size:           8
        .value_kind:     global_buffer
      - .offset:         32
        .size:           4
        .value_kind:     by_value
      - .offset:         40
        .size:           16
        .value_kind:     by_value
      - .actual_access:  read_only
        .address_space:  global
        .offset:         56
        .size:           8
        .value_kind:     global_buffer
      - .actual_access:  read_only
        .address_space:  global
        .offset:         64
        .size:           8
        .value_kind:     global_buffer
      - .actual_access:  read_only
        .address_space:  global
        .offset:         72
        .size:           8
        .value_kind:     global_buffer
      - .actual_access:  read_only
        .address_space:  global
        .offset:         80
        .size:           8
        .value_kind:     global_buffer
      - .offset:         88
        .size:           16
        .value_kind:     by_value
      - .address_space:  global
        .offset:         104
        .size:           8
        .value_kind:     global_buffer
      - .offset:         112
        .size:           4
        .value_kind:     by_value
      - .offset:         116
        .size:           1
        .value_kind:     by_value
    .group_segment_fixed_size: 0
    .kernarg_segment_align: 8
    .kernarg_segment_size: 120
    .language:       OpenCL C
    .language_version:
      - 2
      - 0
    .max_flat_workgroup_size: 256
    .name:           _ZN9rocsparseL28csrmvn_lrb_short_rows_kernelIlid21rocsparse_complex_numIdES2_S2_EEvbT_PT0_S5_jNS_24const_host_device_scalarIT4_EEPKS3_PKS4_PKT1_PKT2_S8_PT3_21rocsparse_index_base_b
    .private_segment_fixed_size: 24
    .sgpr_count:     34
    .sgpr_spill_count: 0
    .symbol:         _ZN9rocsparseL28csrmvn_lrb_short_rows_kernelIlid21rocsparse_complex_numIdES2_S2_EEvbT_PT0_S5_jNS_24const_host_device_scalarIT4_EEPKS3_PKS4_PKT1_PKT2_S8_PT3_21rocsparse_index_base_b.kd
    .uniform_work_group_size: 1
    .uses_dynamic_stack: false
    .vgpr_count:     28
    .vgpr_spill_count: 0
    .wavefront_size: 64
  - .agpr_count:     0
    .args:
      - .offset:         0
        .size:           1
        .value_kind:     by_value
      - .offset:         8
        .size:           8
        .value_kind:     by_value
      - .actual_access:  read_only
        .address_space:  global
        .offset:         16
        .size:           8
        .value_kind:     global_buffer
      - .actual_access:  read_only
        .address_space:  global
        .offset:         24
        .size:           8
        .value_kind:     global_buffer
      - .offset:         32
        .size:           4
        .value_kind:     by_value
      - .offset:         40
        .size:           16
        .value_kind:     by_value
      - .actual_access:  read_only
        .address_space:  global
        .offset:         56
        .size:           8
        .value_kind:     global_buffer
      - .actual_access:  read_only
        .address_space:  global
        .offset:         64
        .size:           8
        .value_kind:     global_buffer
      - .actual_access:  read_only
        .address_space:  global
        .offset:         72
        .size:           8
        .value_kind:     global_buffer
      - .actual_access:  read_only
        .address_space:  global
        .offset:         80
        .size:           8
        .value_kind:     global_buffer
      - .offset:         88
        .size:           16
        .value_kind:     by_value
      - .address_space:  global
        .offset:         104
        .size:           8
        .value_kind:     global_buffer
      - .offset:         112
        .size:           4
        .value_kind:     by_value
      - .offset:         116
        .size:           1
        .value_kind:     by_value
    .group_segment_fixed_size: 16384
    .kernarg_segment_align: 8
    .kernarg_segment_size: 120
    .language:       OpenCL C
    .language_version:
      - 2
      - 0
    .max_flat_workgroup_size: 256
    .name:           _ZN9rocsparseL30csrmvn_lrb_short_rows_2_kernelIlid21rocsparse_complex_numIdES2_S2_EEvbT_PT0_S5_jNS_24const_host_device_scalarIT4_EEPKS3_PKS4_PKT1_PKT2_S8_PT3_21rocsparse_index_base_b
    .private_segment_fixed_size: 24
    .sgpr_count:     36
    .sgpr_spill_count: 0
    .symbol:         _ZN9rocsparseL30csrmvn_lrb_short_rows_2_kernelIlid21rocsparse_complex_numIdES2_S2_EEvbT_PT0_S5_jNS_24const_host_device_scalarIT4_EEPKS3_PKS4_PKT1_PKT2_S8_PT3_21rocsparse_index_base_b.kd
    .uniform_work_group_size: 1
    .uses_dynamic_stack: false
    .vgpr_count:     28
    .vgpr_spill_count: 0
    .wavefront_size: 64
  - .agpr_count:     0
    .args:
      - .offset:         0
        .size:           1
        .value_kind:     by_value
      - .offset:         8
        .size:           8
        .value_kind:     by_value
      - .offset:         16
        .size:           8
        .value_kind:     by_value
      - .actual_access:  read_only
        .address_space:  global
        .offset:         24
        .size:           8
        .value_kind:     global_buffer
      - .actual_access:  read_only
        .address_space:  global
        .offset:         32
        .size:           8
        .value_kind:     global_buffer
      - .offset:         40
        .size:           4
        .value_kind:     by_value
      - .offset:         48
        .size:           16
        .value_kind:     by_value
      - .actual_access:  read_only
        .address_space:  global
        .offset:         64
        .size:           8
        .value_kind:     global_buffer
      - .actual_access:  read_only
        .address_space:  global
        .offset:         72
        .size:           8
        .value_kind:     global_buffer
      - .actual_access:  read_only
        .address_space:  global
        .offset:         80
        .size:           8
        .value_kind:     global_buffer
      - .actual_access:  read_only
        .address_space:  global
        .offset:         88
        .size:           8
        .value_kind:     global_buffer
      - .offset:         96
        .size:           16
        .value_kind:     by_value
      - .address_space:  global
        .offset:         112
        .size:           8
        .value_kind:     global_buffer
      - .offset:         120
        .size:           4
        .value_kind:     by_value
      - .offset:         124
        .size:           1
        .value_kind:     by_value
    .group_segment_fixed_size: 4096
    .kernarg_segment_align: 8
    .kernarg_segment_size: 128
    .language:       OpenCL C
    .language_version:
      - 2
      - 0
    .max_flat_workgroup_size: 256
    .name:           _ZN9rocsparseL41csrmvn_lrb_medium_rows_warp_reduce_kernelILj256ELj32Elid21rocsparse_complex_numIdES2_S2_EEvbT1_lPT2_S5_jNS_24const_host_device_scalarIT6_EEPKS3_PKS4_PKT3_PKT4_S8_PT5_21rocsparse_index_base_b
    .private_segment_fixed_size: 0
    .sgpr_count:     26
    .sgpr_spill_count: 0
    .symbol:         _ZN9rocsparseL41csrmvn_lrb_medium_rows_warp_reduce_kernelILj256ELj32Elid21rocsparse_complex_numIdES2_S2_EEvbT1_lPT2_S5_jNS_24const_host_device_scalarIT6_EEPKS3_PKS4_PKT3_PKT4_S8_PT5_21rocsparse_index_base_b.kd
    .uniform_work_group_size: 1
    .uses_dynamic_stack: false
    .vgpr_count:     36
    .vgpr_spill_count: 0
    .wavefront_size: 64
  - .agpr_count:     0
    .args:
      - .offset:         0
        .size:           1
        .value_kind:     by_value
      - .offset:         8
        .size:           8
        .value_kind:     by_value
      - .offset:         16
        .size:           8
        .value_kind:     by_value
      - .actual_access:  read_only
        .address_space:  global
        .offset:         24
        .size:           8
        .value_kind:     global_buffer
      - .actual_access:  read_only
        .address_space:  global
        .offset:         32
        .size:           8
        .value_kind:     global_buffer
      - .offset:         40
        .size:           4
        .value_kind:     by_value
      - .offset:         48
        .size:           16
        .value_kind:     by_value
      - .actual_access:  read_only
        .address_space:  global
        .offset:         64
        .size:           8
        .value_kind:     global_buffer
      - .actual_access:  read_only
        .address_space:  global
        .offset:         72
        .size:           8
        .value_kind:     global_buffer
      - .actual_access:  read_only
        .address_space:  global
        .offset:         80
        .size:           8
        .value_kind:     global_buffer
      - .actual_access:  read_only
        .address_space:  global
        .offset:         88
        .size:           8
        .value_kind:     global_buffer
      - .offset:         96
        .size:           16
        .value_kind:     by_value
      - .address_space:  global
        .offset:         112
        .size:           8
        .value_kind:     global_buffer
      - .offset:         120
        .size:           4
        .value_kind:     by_value
      - .offset:         124
        .size:           1
        .value_kind:     by_value
    .group_segment_fixed_size: 4096
    .kernarg_segment_align: 8
    .kernarg_segment_size: 128
    .language:       OpenCL C
    .language_version:
      - 2
      - 0
    .max_flat_workgroup_size: 256
    .name:           _ZN9rocsparseL41csrmvn_lrb_medium_rows_warp_reduce_kernelILj256ELj64Elid21rocsparse_complex_numIdES2_S2_EEvbT1_lPT2_S5_jNS_24const_host_device_scalarIT6_EEPKS3_PKS4_PKT3_PKT4_S8_PT5_21rocsparse_index_base_b
    .private_segment_fixed_size: 0
    .sgpr_count:     26
    .sgpr_spill_count: 0
    .symbol:         _ZN9rocsparseL41csrmvn_lrb_medium_rows_warp_reduce_kernelILj256ELj64Elid21rocsparse_complex_numIdES2_S2_EEvbT1_lPT2_S5_jNS_24const_host_device_scalarIT6_EEPKS3_PKS4_PKT3_PKT4_S8_PT5_21rocsparse_index_base_b.kd
    .uniform_work_group_size: 1
    .uses_dynamic_stack: false
    .vgpr_count:     36
    .vgpr_spill_count: 0
    .wavefront_size: 64
  - .agpr_count:     0
    .args:
      - .offset:         0
        .size:           1
        .value_kind:     by_value
      - .offset:         8
        .size:           8
        .value_kind:     by_value
      - .actual_access:  read_only
        .address_space:  global
        .offset:         16
        .size:           8
        .value_kind:     global_buffer
      - .actual_access:  read_only
        .address_space:  global
        .offset:         24
        .size:           8
        .value_kind:     global_buffer
      - .offset:         32
        .size:           4
        .value_kind:     by_value
      - .offset:         40
        .size:           16
        .value_kind:     by_value
      - .actual_access:  read_only
        .address_space:  global
        .offset:         56
        .size:           8
        .value_kind:     global_buffer
      - .actual_access:  read_only
        .address_space:  global
        .offset:         64
        .size:           8
        .value_kind:     global_buffer
      - .actual_access:  read_only
        .address_space:  global
        .offset:         72
        .size:           8
        .value_kind:     global_buffer
      - .actual_access:  read_only
        .address_space:  global
        .offset:         80
        .size:           8
        .value_kind:     global_buffer
      - .offset:         88
        .size:           16
        .value_kind:     by_value
      - .address_space:  global
        .offset:         104
        .size:           8
        .value_kind:     global_buffer
      - .offset:         112
        .size:           4
        .value_kind:     by_value
      - .offset:         116
        .size:           1
        .value_kind:     by_value
    .group_segment_fixed_size: 8192
    .kernarg_segment_align: 8
    .kernarg_segment_size: 120
    .language:       OpenCL C
    .language_version:
      - 2
      - 0
    .max_flat_workgroup_size: 256
    .name:           _ZN9rocsparseL29csrmvn_lrb_medium_rows_kernelILj256Elid21rocsparse_complex_numIdES2_S2_EEvbT0_PT1_S5_jNS_24const_host_device_scalarIT5_EEPKS3_PKS4_PKT2_PKT3_S8_PT4_21rocsparse_index_base_b
    .private_segment_fixed_size: 0
    .sgpr_count:     28
    .sgpr_spill_count: 0
    .symbol:         _ZN9rocsparseL29csrmvn_lrb_medium_rows_kernelILj256Elid21rocsparse_complex_numIdES2_S2_EEvbT0_PT1_S5_jNS_24const_host_device_scalarIT5_EEPKS3_PKS4_PKT2_PKT3_S8_PT4_21rocsparse_index_base_b.kd
    .uniform_work_group_size: 1
    .uses_dynamic_stack: false
    .vgpr_count:     32
    .vgpr_spill_count: 0
    .wavefront_size: 64
  - .agpr_count:     0
    .args:
      - .offset:         0
        .size:           1
        .value_kind:     by_value
      - .offset:         8
        .size:           8
        .value_kind:     by_value
      - .address_space:  global
        .offset:         16
        .size:           8
        .value_kind:     global_buffer
      - .actual_access:  read_only
        .address_space:  global
        .offset:         24
        .size:           8
        .value_kind:     global_buffer
      - .actual_access:  read_only
        .address_space:  global
        .offset:         32
        .size:           8
        .value_kind:     global_buffer
      - .offset:         40
        .size:           4
        .value_kind:     by_value
      - .offset:         48
        .size:           16
        .value_kind:     by_value
      - .actual_access:  read_only
        .address_space:  global
        .offset:         64
        .size:           8
        .value_kind:     global_buffer
      - .actual_access:  read_only
        .address_space:  global
        .offset:         72
        .size:           8
        .value_kind:     global_buffer
      - .actual_access:  read_only
        .address_space:  global
        .offset:         80
        .size:           8
        .value_kind:     global_buffer
      - .actual_access:  read_only
        .address_space:  global
        .offset:         88
        .size:           8
        .value_kind:     global_buffer
      - .offset:         96
        .size:           16
        .value_kind:     by_value
      - .address_space:  global
        .offset:         112
        .size:           8
        .value_kind:     global_buffer
      - .offset:         120
        .size:           4
        .value_kind:     by_value
      - .offset:         124
        .size:           1
        .value_kind:     by_value
    .group_segment_fixed_size: 8192
    .kernarg_segment_align: 8
    .kernarg_segment_size: 128
    .language:       OpenCL C
    .language_version:
      - 2
      - 0
    .max_flat_workgroup_size: 256
    .name:           _ZN9rocsparseL27csrmvn_lrb_long_rows_kernelIlid21rocsparse_complex_numIdES2_S2_EEvbT_PjPT0_S6_jNS_24const_host_device_scalarIT4_EEPKS3_PKS5_PKT1_PKT2_S9_PT3_21rocsparse_index_base_b
    .private_segment_fixed_size: 0
    .sgpr_count:     36
    .sgpr_spill_count: 0
    .symbol:         _ZN9rocsparseL27csrmvn_lrb_long_rows_kernelIlid21rocsparse_complex_numIdES2_S2_EEvbT_PjPT0_S6_jNS_24const_host_device_scalarIT4_EEPKS3_PKS5_PKT1_PKT2_S9_PT3_21rocsparse_index_base_b.kd
    .uniform_work_group_size: 1
    .uses_dynamic_stack: false
    .vgpr_count:     28
    .vgpr_spill_count: 0
    .wavefront_size: 64
  - .agpr_count:     0
    .args:
      - .offset:         0
        .size:           1
        .value_kind:     by_value
      - .offset:         8
        .size:           8
        .value_kind:     by_value
      - .actual_access:  read_only
        .address_space:  global
        .offset:         16
        .size:           8
        .value_kind:     global_buffer
      - .actual_access:  read_only
        .address_space:  global
        .offset:         24
        .size:           8
        .value_kind:     global_buffer
      - .offset:         32
        .size:           4
        .value_kind:     by_value
      - .offset:         40
        .size:           16
        .value_kind:     by_value
      - .actual_access:  read_only
        .address_space:  global
        .offset:         56
        .size:           8
        .value_kind:     global_buffer
      - .actual_access:  read_only
        .address_space:  global
        .offset:         64
        .size:           8
        .value_kind:     global_buffer
      - .actual_access:  read_only
        .address_space:  global
        .offset:         72
        .size:           8
        .value_kind:     global_buffer
      - .actual_access:  read_only
        .address_space:  global
        .offset:         80
        .size:           8
        .value_kind:     global_buffer
      - .offset:         88
        .size:           16
        .value_kind:     by_value
      - .address_space:  global
        .offset:         104
        .size:           8
        .value_kind:     global_buffer
      - .offset:         112
        .size:           4
        .value_kind:     by_value
      - .offset:         116
        .size:           1
        .value_kind:     by_value
    .group_segment_fixed_size: 0
    .kernarg_segment_align: 8
    .kernarg_segment_size: 120
    .language:       OpenCL C
    .language_version:
      - 2
      - 0
    .max_flat_workgroup_size: 256
    .name:           _ZN9rocsparseL28csrmvn_lrb_short_rows_kernelIlld21rocsparse_complex_numIdES2_S2_EEvbT_PT0_S5_jNS_24const_host_device_scalarIT4_EEPKS3_PKS4_PKT1_PKT2_S8_PT3_21rocsparse_index_base_b
    .private_segment_fixed_size: 24
    .sgpr_count:     37
    .sgpr_spill_count: 0
    .symbol:         _ZN9rocsparseL28csrmvn_lrb_short_rows_kernelIlld21rocsparse_complex_numIdES2_S2_EEvbT_PT0_S5_jNS_24const_host_device_scalarIT4_EEPKS3_PKS4_PKT1_PKT2_S8_PT3_21rocsparse_index_base_b.kd
    .uniform_work_group_size: 1
    .uses_dynamic_stack: false
    .vgpr_count:     28
    .vgpr_spill_count: 0
    .wavefront_size: 64
  - .agpr_count:     0
    .args:
      - .offset:         0
        .size:           1
        .value_kind:     by_value
      - .offset:         8
        .size:           8
        .value_kind:     by_value
      - .actual_access:  read_only
        .address_space:  global
        .offset:         16
        .size:           8
        .value_kind:     global_buffer
      - .actual_access:  read_only
        .address_space:  global
        .offset:         24
        .size:           8
        .value_kind:     global_buffer
      - .offset:         32
        .size:           4
        .value_kind:     by_value
      - .offset:         40
        .size:           16
        .value_kind:     by_value
      - .actual_access:  read_only
        .address_space:  global
        .offset:         56
        .size:           8
        .value_kind:     global_buffer
      - .actual_access:  read_only
        .address_space:  global
        .offset:         64
        .size:           8
        .value_kind:     global_buffer
      - .actual_access:  read_only
        .address_space:  global
        .offset:         72
        .size:           8
        .value_kind:     global_buffer
      - .actual_access:  read_only
        .address_space:  global
        .offset:         80
        .size:           8
        .value_kind:     global_buffer
      - .offset:         88
        .size:           16
        .value_kind:     by_value
      - .address_space:  global
        .offset:         104
        .size:           8
        .value_kind:     global_buffer
      - .offset:         112
        .size:           4
        .value_kind:     by_value
      - .offset:         116
        .size:           1
        .value_kind:     by_value
    .group_segment_fixed_size: 16384
    .kernarg_segment_align: 8
    .kernarg_segment_size: 120
    .language:       OpenCL C
    .language_version:
      - 2
      - 0
    .max_flat_workgroup_size: 256
    .name:           _ZN9rocsparseL30csrmvn_lrb_short_rows_2_kernelIlld21rocsparse_complex_numIdES2_S2_EEvbT_PT0_S5_jNS_24const_host_device_scalarIT4_EEPKS3_PKS4_PKT1_PKT2_S8_PT3_21rocsparse_index_base_b
    .private_segment_fixed_size: 24
    .sgpr_count:     36
    .sgpr_spill_count: 0
    .symbol:         _ZN9rocsparseL30csrmvn_lrb_short_rows_2_kernelIlld21rocsparse_complex_numIdES2_S2_EEvbT_PT0_S5_jNS_24const_host_device_scalarIT4_EEPKS3_PKS4_PKT1_PKT2_S8_PT3_21rocsparse_index_base_b.kd
    .uniform_work_group_size: 1
    .uses_dynamic_stack: false
    .vgpr_count:     28
    .vgpr_spill_count: 0
    .wavefront_size: 64
  - .agpr_count:     0
    .args:
      - .offset:         0
        .size:           1
        .value_kind:     by_value
      - .offset:         8
        .size:           8
        .value_kind:     by_value
      - .offset:         16
        .size:           8
        .value_kind:     by_value
      - .actual_access:  read_only
        .address_space:  global
        .offset:         24
        .size:           8
        .value_kind:     global_buffer
      - .actual_access:  read_only
        .address_space:  global
        .offset:         32
        .size:           8
        .value_kind:     global_buffer
      - .offset:         40
        .size:           4
        .value_kind:     by_value
      - .offset:         48
        .size:           16
        .value_kind:     by_value
      - .actual_access:  read_only
        .address_space:  global
        .offset:         64
        .size:           8
        .value_kind:     global_buffer
      - .actual_access:  read_only
        .address_space:  global
        .offset:         72
        .size:           8
        .value_kind:     global_buffer
      - .actual_access:  read_only
        .address_space:  global
        .offset:         80
        .size:           8
        .value_kind:     global_buffer
      - .actual_access:  read_only
        .address_space:  global
        .offset:         88
        .size:           8
        .value_kind:     global_buffer
      - .offset:         96
        .size:           16
        .value_kind:     by_value
      - .address_space:  global
        .offset:         112
        .size:           8
        .value_kind:     global_buffer
      - .offset:         120
        .size:           4
        .value_kind:     by_value
      - .offset:         124
        .size:           1
        .value_kind:     by_value
    .group_segment_fixed_size: 4096
    .kernarg_segment_align: 8
    .kernarg_segment_size: 128
    .language:       OpenCL C
    .language_version:
      - 2
      - 0
    .max_flat_workgroup_size: 256
    .name:           _ZN9rocsparseL41csrmvn_lrb_medium_rows_warp_reduce_kernelILj256ELj32Elld21rocsparse_complex_numIdES2_S2_EEvbT1_lPT2_S5_jNS_24const_host_device_scalarIT6_EEPKS3_PKS4_PKT3_PKT4_S8_PT5_21rocsparse_index_base_b
    .private_segment_fixed_size: 0
    .sgpr_count:     26
    .sgpr_spill_count: 0
    .symbol:         _ZN9rocsparseL41csrmvn_lrb_medium_rows_warp_reduce_kernelILj256ELj32Elld21rocsparse_complex_numIdES2_S2_EEvbT1_lPT2_S5_jNS_24const_host_device_scalarIT6_EEPKS3_PKS4_PKT3_PKT4_S8_PT5_21rocsparse_index_base_b.kd
    .uniform_work_group_size: 1
    .uses_dynamic_stack: false
    .vgpr_count:     38
    .vgpr_spill_count: 0
    .wavefront_size: 64
  - .agpr_count:     0
    .args:
      - .offset:         0
        .size:           1
        .value_kind:     by_value
      - .offset:         8
        .size:           8
        .value_kind:     by_value
      - .offset:         16
        .size:           8
        .value_kind:     by_value
      - .actual_access:  read_only
        .address_space:  global
        .offset:         24
        .size:           8
        .value_kind:     global_buffer
      - .actual_access:  read_only
        .address_space:  global
        .offset:         32
        .size:           8
        .value_kind:     global_buffer
      - .offset:         40
        .size:           4
        .value_kind:     by_value
      - .offset:         48
        .size:           16
        .value_kind:     by_value
      - .actual_access:  read_only
        .address_space:  global
        .offset:         64
        .size:           8
        .value_kind:     global_buffer
      - .actual_access:  read_only
        .address_space:  global
        .offset:         72
        .size:           8
        .value_kind:     global_buffer
      - .actual_access:  read_only
        .address_space:  global
        .offset:         80
        .size:           8
        .value_kind:     global_buffer
      - .actual_access:  read_only
        .address_space:  global
        .offset:         88
        .size:           8
        .value_kind:     global_buffer
      - .offset:         96
        .size:           16
        .value_kind:     by_value
      - .address_space:  global
        .offset:         112
        .size:           8
        .value_kind:     global_buffer
      - .offset:         120
        .size:           4
        .value_kind:     by_value
      - .offset:         124
        .size:           1
        .value_kind:     by_value
    .group_segment_fixed_size: 4096
    .kernarg_segment_align: 8
    .kernarg_segment_size: 128
    .language:       OpenCL C
    .language_version:
      - 2
      - 0
    .max_flat_workgroup_size: 256
    .name:           _ZN9rocsparseL41csrmvn_lrb_medium_rows_warp_reduce_kernelILj256ELj64Elld21rocsparse_complex_numIdES2_S2_EEvbT1_lPT2_S5_jNS_24const_host_device_scalarIT6_EEPKS3_PKS4_PKT3_PKT4_S8_PT5_21rocsparse_index_base_b
    .private_segment_fixed_size: 0
    .sgpr_count:     26
    .sgpr_spill_count: 0
    .symbol:         _ZN9rocsparseL41csrmvn_lrb_medium_rows_warp_reduce_kernelILj256ELj64Elld21rocsparse_complex_numIdES2_S2_EEvbT1_lPT2_S5_jNS_24const_host_device_scalarIT6_EEPKS3_PKS4_PKT3_PKT4_S8_PT5_21rocsparse_index_base_b.kd
    .uniform_work_group_size: 1
    .uses_dynamic_stack: false
    .vgpr_count:     38
    .vgpr_spill_count: 0
    .wavefront_size: 64
  - .agpr_count:     0
    .args:
      - .offset:         0
        .size:           1
        .value_kind:     by_value
      - .offset:         8
        .size:           8
        .value_kind:     by_value
      - .actual_access:  read_only
        .address_space:  global
        .offset:         16
        .size:           8
        .value_kind:     global_buffer
      - .actual_access:  read_only
        .address_space:  global
        .offset:         24
        .size:           8
        .value_kind:     global_buffer
      - .offset:         32
        .size:           4
        .value_kind:     by_value
      - .offset:         40
        .size:           16
        .value_kind:     by_value
      - .actual_access:  read_only
        .address_space:  global
        .offset:         56
        .size:           8
        .value_kind:     global_buffer
      - .actual_access:  read_only
        .address_space:  global
        .offset:         64
        .size:           8
        .value_kind:     global_buffer
      - .actual_access:  read_only
        .address_space:  global
        .offset:         72
        .size:           8
        .value_kind:     global_buffer
      - .actual_access:  read_only
        .address_space:  global
        .offset:         80
        .size:           8
        .value_kind:     global_buffer
      - .offset:         88
        .size:           16
        .value_kind:     by_value
      - .address_space:  global
        .offset:         104
        .size:           8
        .value_kind:     global_buffer
      - .offset:         112
        .size:           4
        .value_kind:     by_value
      - .offset:         116
        .size:           1
        .value_kind:     by_value
    .group_segment_fixed_size: 8192
    .kernarg_segment_align: 8
    .kernarg_segment_size: 120
    .language:       OpenCL C
    .language_version:
      - 2
      - 0
    .max_flat_workgroup_size: 256
    .name:           _ZN9rocsparseL29csrmvn_lrb_medium_rows_kernelILj256Elld21rocsparse_complex_numIdES2_S2_EEvbT0_PT1_S5_jNS_24const_host_device_scalarIT5_EEPKS3_PKS4_PKT2_PKT3_S8_PT4_21rocsparse_index_base_b
    .private_segment_fixed_size: 0
    .sgpr_count:     28
    .sgpr_spill_count: 0
    .symbol:         _ZN9rocsparseL29csrmvn_lrb_medium_rows_kernelILj256Elld21rocsparse_complex_numIdES2_S2_EEvbT0_PT1_S5_jNS_24const_host_device_scalarIT5_EEPKS3_PKS4_PKT2_PKT3_S8_PT4_21rocsparse_index_base_b.kd
    .uniform_work_group_size: 1
    .uses_dynamic_stack: false
    .vgpr_count:     34
    .vgpr_spill_count: 0
    .wavefront_size: 64
  - .agpr_count:     0
    .args:
      - .offset:         0
        .size:           1
        .value_kind:     by_value
      - .offset:         8
        .size:           8
        .value_kind:     by_value
      - .address_space:  global
        .offset:         16
        .size:           8
        .value_kind:     global_buffer
      - .actual_access:  read_only
        .address_space:  global
        .offset:         24
        .size:           8
        .value_kind:     global_buffer
      - .actual_access:  read_only
        .address_space:  global
        .offset:         32
        .size:           8
        .value_kind:     global_buffer
      - .offset:         40
        .size:           4
        .value_kind:     by_value
      - .offset:         48
        .size:           16
        .value_kind:     by_value
      - .actual_access:  read_only
        .address_space:  global
        .offset:         64
        .size:           8
        .value_kind:     global_buffer
      - .actual_access:  read_only
        .address_space:  global
        .offset:         72
        .size:           8
        .value_kind:     global_buffer
      - .actual_access:  read_only
        .address_space:  global
        .offset:         80
        .size:           8
        .value_kind:     global_buffer
      - .actual_access:  read_only
        .address_space:  global
        .offset:         88
        .size:           8
        .value_kind:     global_buffer
      - .offset:         96
        .size:           16
        .value_kind:     by_value
      - .address_space:  global
        .offset:         112
        .size:           8
        .value_kind:     global_buffer
      - .offset:         120
        .size:           4
        .value_kind:     by_value
      - .offset:         124
        .size:           1
        .value_kind:     by_value
    .group_segment_fixed_size: 8192
    .kernarg_segment_align: 8
    .kernarg_segment_size: 128
    .language:       OpenCL C
    .language_version:
      - 2
      - 0
    .max_flat_workgroup_size: 256
    .name:           _ZN9rocsparseL27csrmvn_lrb_long_rows_kernelIlld21rocsparse_complex_numIdES2_S2_EEvbT_PjPT0_S6_jNS_24const_host_device_scalarIT4_EEPKS3_PKS5_PKT1_PKT2_S9_PT3_21rocsparse_index_base_b
    .private_segment_fixed_size: 0
    .sgpr_count:     36
    .sgpr_spill_count: 0
    .symbol:         _ZN9rocsparseL27csrmvn_lrb_long_rows_kernelIlld21rocsparse_complex_numIdES2_S2_EEvbT_PjPT0_S6_jNS_24const_host_device_scalarIT4_EEPKS3_PKS5_PKT1_PKT2_S9_PT3_21rocsparse_index_base_b.kd
    .uniform_work_group_size: 1
    .uses_dynamic_stack: false
    .vgpr_count:     30
    .vgpr_spill_count: 0
    .wavefront_size: 64
  - .agpr_count:     0
    .args:
      - .offset:         0
        .size:           1
        .value_kind:     by_value
      - .offset:         4
        .size:           4
        .value_kind:     by_value
      - .actual_access:  read_only
        .address_space:  global
        .offset:         8
        .size:           8
        .value_kind:     global_buffer
      - .actual_access:  read_only
        .address_space:  global
        .offset:         16
        .size:           8
        .value_kind:     global_buffer
      - .offset:         24
        .size:           4
        .value_kind:     by_value
      - .offset:         32
        .size:           16
        .value_kind:     by_value
      - .actual_access:  read_only
        .address_space:  global
        .offset:         48
        .size:           8
        .value_kind:     global_buffer
      - .actual_access:  read_only
        .address_space:  global
        .offset:         56
        .size:           8
        .value_kind:     global_buffer
      - .actual_access:  read_only
        .address_space:  global
        .offset:         64
        .size:           8
        .value_kind:     global_buffer
      - .actual_access:  read_only
        .address_space:  global
        .offset:         72
        .size:           8
        .value_kind:     global_buffer
      - .offset:         80
        .size:           16
        .value_kind:     by_value
      - .address_space:  global
        .offset:         96
        .size:           8
        .value_kind:     global_buffer
      - .offset:         104
        .size:           4
        .value_kind:     by_value
      - .offset:         108
        .size:           1
        .value_kind:     by_value
    .group_segment_fixed_size: 0
    .kernarg_segment_align: 8
    .kernarg_segment_size: 112
    .language:       OpenCL C
    .language_version:
      - 2
      - 0
    .max_flat_workgroup_size: 256
    .name:           _ZN9rocsparseL28csrmvn_lrb_short_rows_kernelIii21rocsparse_complex_numIfES1_IdES3_S3_EEvbT_PT0_S6_jNS_24const_host_device_scalarIT4_EEPKS4_PKS5_PKT1_PKT2_S9_PT3_21rocsparse_index_base_b
    .private_segment_fixed_size: 24
    .sgpr_count:     35
    .sgpr_spill_count: 0
    .symbol:         _ZN9rocsparseL28csrmvn_lrb_short_rows_kernelIii21rocsparse_complex_numIfES1_IdES3_S3_EEvbT_PT0_S6_jNS_24const_host_device_scalarIT4_EEPKS4_PKS5_PKT1_PKT2_S9_PT3_21rocsparse_index_base_b.kd
    .uniform_work_group_size: 1
    .uses_dynamic_stack: false
    .vgpr_count:     26
    .vgpr_spill_count: 0
    .wavefront_size: 64
  - .agpr_count:     0
    .args:
      - .offset:         0
        .size:           1
        .value_kind:     by_value
      - .offset:         4
        .size:           4
        .value_kind:     by_value
      - .actual_access:  read_only
        .address_space:  global
        .offset:         8
        .size:           8
        .value_kind:     global_buffer
      - .actual_access:  read_only
        .address_space:  global
        .offset:         16
        .size:           8
        .value_kind:     global_buffer
      - .offset:         24
        .size:           4
        .value_kind:     by_value
      - .offset:         32
        .size:           16
        .value_kind:     by_value
      - .actual_access:  read_only
        .address_space:  global
        .offset:         48
        .size:           8
        .value_kind:     global_buffer
      - .actual_access:  read_only
        .address_space:  global
        .offset:         56
        .size:           8
        .value_kind:     global_buffer
      - .actual_access:  read_only
        .address_space:  global
        .offset:         64
        .size:           8
        .value_kind:     global_buffer
      - .actual_access:  read_only
        .address_space:  global
        .offset:         72
        .size:           8
        .value_kind:     global_buffer
      - .offset:         80
        .size:           16
        .value_kind:     by_value
      - .address_space:  global
        .offset:         96
        .size:           8
        .value_kind:     global_buffer
      - .offset:         104
        .size:           4
        .value_kind:     by_value
      - .offset:         108
        .size:           1
        .value_kind:     by_value
    .group_segment_fixed_size: 16384
    .kernarg_segment_align: 8
    .kernarg_segment_size: 112
    .language:       OpenCL C
    .language_version:
      - 2
      - 0
    .max_flat_workgroup_size: 256
    .name:           _ZN9rocsparseL30csrmvn_lrb_short_rows_2_kernelIii21rocsparse_complex_numIfES1_IdES3_S3_EEvbT_PT0_S6_jNS_24const_host_device_scalarIT4_EEPKS4_PKS5_PKT1_PKT2_S9_PT3_21rocsparse_index_base_b
    .private_segment_fixed_size: 24
    .sgpr_count:     38
    .sgpr_spill_count: 0
    .symbol:         _ZN9rocsparseL30csrmvn_lrb_short_rows_2_kernelIii21rocsparse_complex_numIfES1_IdES3_S3_EEvbT_PT0_S6_jNS_24const_host_device_scalarIT4_EEPKS4_PKS5_PKT1_PKT2_S9_PT3_21rocsparse_index_base_b.kd
    .uniform_work_group_size: 1
    .uses_dynamic_stack: false
    .vgpr_count:     24
    .vgpr_spill_count: 0
    .wavefront_size: 64
  - .agpr_count:     0
    .args:
      - .offset:         0
        .size:           1
        .value_kind:     by_value
      - .offset:         4
        .size:           4
        .value_kind:     by_value
      - .offset:         8
        .size:           8
        .value_kind:     by_value
      - .actual_access:  read_only
        .address_space:  global
        .offset:         16
        .size:           8
        .value_kind:     global_buffer
      - .actual_access:  read_only
        .address_space:  global
        .offset:         24
        .size:           8
        .value_kind:     global_buffer
      - .offset:         32
        .size:           4
        .value_kind:     by_value
      - .offset:         40
        .size:           16
        .value_kind:     by_value
      - .actual_access:  read_only
        .address_space:  global
        .offset:         56
        .size:           8
        .value_kind:     global_buffer
      - .actual_access:  read_only
        .address_space:  global
        .offset:         64
        .size:           8
        .value_kind:     global_buffer
      - .actual_access:  read_only
        .address_space:  global
        .offset:         72
        .size:           8
        .value_kind:     global_buffer
      - .actual_access:  read_only
        .address_space:  global
        .offset:         80
        .size:           8
        .value_kind:     global_buffer
      - .offset:         88
        .size:           16
        .value_kind:     by_value
      - .address_space:  global
        .offset:         104
        .size:           8
        .value_kind:     global_buffer
      - .offset:         112
        .size:           4
        .value_kind:     by_value
      - .offset:         116
        .size:           1
        .value_kind:     by_value
    .group_segment_fixed_size: 4096
    .kernarg_segment_align: 8
    .kernarg_segment_size: 120
    .language:       OpenCL C
    .language_version:
      - 2
      - 0
    .max_flat_workgroup_size: 256
    .name:           _ZN9rocsparseL41csrmvn_lrb_medium_rows_warp_reduce_kernelILj256ELj32Eii21rocsparse_complex_numIfES1_IdES3_S3_EEvbT1_lPT2_S6_jNS_24const_host_device_scalarIT6_EEPKS4_PKS5_PKT3_PKT4_S9_PT5_21rocsparse_index_base_b
    .private_segment_fixed_size: 0
    .sgpr_count:     26
    .sgpr_spill_count: 0
    .symbol:         _ZN9rocsparseL41csrmvn_lrb_medium_rows_warp_reduce_kernelILj256ELj32Eii21rocsparse_complex_numIfES1_IdES3_S3_EEvbT1_lPT2_S6_jNS_24const_host_device_scalarIT6_EEPKS4_PKS5_PKT3_PKT4_S9_PT5_21rocsparse_index_base_b.kd
    .uniform_work_group_size: 1
    .uses_dynamic_stack: false
    .vgpr_count:     32
    .vgpr_spill_count: 0
    .wavefront_size: 64
  - .agpr_count:     0
    .args:
      - .offset:         0
        .size:           1
        .value_kind:     by_value
      - .offset:         4
        .size:           4
        .value_kind:     by_value
      - .offset:         8
        .size:           8
        .value_kind:     by_value
      - .actual_access:  read_only
        .address_space:  global
        .offset:         16
        .size:           8
        .value_kind:     global_buffer
      - .actual_access:  read_only
        .address_space:  global
        .offset:         24
        .size:           8
        .value_kind:     global_buffer
      - .offset:         32
        .size:           4
        .value_kind:     by_value
      - .offset:         40
        .size:           16
        .value_kind:     by_value
      - .actual_access:  read_only
        .address_space:  global
        .offset:         56
        .size:           8
        .value_kind:     global_buffer
      - .actual_access:  read_only
        .address_space:  global
        .offset:         64
        .size:           8
        .value_kind:     global_buffer
      - .actual_access:  read_only
        .address_space:  global
        .offset:         72
        .size:           8
        .value_kind:     global_buffer
      - .actual_access:  read_only
        .address_space:  global
        .offset:         80
        .size:           8
        .value_kind:     global_buffer
      - .offset:         88
        .size:           16
        .value_kind:     by_value
      - .address_space:  global
        .offset:         104
        .size:           8
        .value_kind:     global_buffer
      - .offset:         112
        .size:           4
        .value_kind:     by_value
      - .offset:         116
        .size:           1
        .value_kind:     by_value
    .group_segment_fixed_size: 4096
    .kernarg_segment_align: 8
    .kernarg_segment_size: 120
    .language:       OpenCL C
    .language_version:
      - 2
      - 0
    .max_flat_workgroup_size: 256
    .name:           _ZN9rocsparseL41csrmvn_lrb_medium_rows_warp_reduce_kernelILj256ELj64Eii21rocsparse_complex_numIfES1_IdES3_S3_EEvbT1_lPT2_S6_jNS_24const_host_device_scalarIT6_EEPKS4_PKS5_PKT3_PKT4_S9_PT5_21rocsparse_index_base_b
    .private_segment_fixed_size: 0
    .sgpr_count:     26
    .sgpr_spill_count: 0
    .symbol:         _ZN9rocsparseL41csrmvn_lrb_medium_rows_warp_reduce_kernelILj256ELj64Eii21rocsparse_complex_numIfES1_IdES3_S3_EEvbT1_lPT2_S6_jNS_24const_host_device_scalarIT6_EEPKS4_PKS5_PKT3_PKT4_S9_PT5_21rocsparse_index_base_b.kd
    .uniform_work_group_size: 1
    .uses_dynamic_stack: false
    .vgpr_count:     32
    .vgpr_spill_count: 0
    .wavefront_size: 64
  - .agpr_count:     0
    .args:
      - .offset:         0
        .size:           1
        .value_kind:     by_value
      - .offset:         4
        .size:           4
        .value_kind:     by_value
      - .actual_access:  read_only
        .address_space:  global
        .offset:         8
        .size:           8
        .value_kind:     global_buffer
      - .actual_access:  read_only
        .address_space:  global
        .offset:         16
        .size:           8
        .value_kind:     global_buffer
      - .offset:         24
        .size:           4
        .value_kind:     by_value
      - .offset:         32
        .size:           16
        .value_kind:     by_value
      - .actual_access:  read_only
        .address_space:  global
        .offset:         48
        .size:           8
        .value_kind:     global_buffer
      - .actual_access:  read_only
        .address_space:  global
        .offset:         56
        .size:           8
        .value_kind:     global_buffer
      - .actual_access:  read_only
        .address_space:  global
        .offset:         64
        .size:           8
        .value_kind:     global_buffer
      - .actual_access:  read_only
        .address_space:  global
        .offset:         72
        .size:           8
        .value_kind:     global_buffer
      - .offset:         80
        .size:           16
        .value_kind:     by_value
      - .address_space:  global
        .offset:         96
        .size:           8
        .value_kind:     global_buffer
      - .offset:         104
        .size:           4
        .value_kind:     by_value
      - .offset:         108
        .size:           1
        .value_kind:     by_value
    .group_segment_fixed_size: 8192
    .kernarg_segment_align: 8
    .kernarg_segment_size: 112
    .language:       OpenCL C
    .language_version:
      - 2
      - 0
    .max_flat_workgroup_size: 256
    .name:           _ZN9rocsparseL29csrmvn_lrb_medium_rows_kernelILj256Eii21rocsparse_complex_numIfES1_IdES3_S3_EEvbT0_PT1_S6_jNS_24const_host_device_scalarIT5_EEPKS4_PKS5_PKT2_PKT3_S9_PT4_21rocsparse_index_base_b
    .private_segment_fixed_size: 0
    .sgpr_count:     26
    .sgpr_spill_count: 0
    .symbol:         _ZN9rocsparseL29csrmvn_lrb_medium_rows_kernelILj256Eii21rocsparse_complex_numIfES1_IdES3_S3_EEvbT0_PT1_S6_jNS_24const_host_device_scalarIT5_EEPKS4_PKS5_PKT2_PKT3_S9_PT4_21rocsparse_index_base_b.kd
    .uniform_work_group_size: 1
    .uses_dynamic_stack: false
    .vgpr_count:     28
    .vgpr_spill_count: 0
    .wavefront_size: 64
  - .agpr_count:     0
    .args:
      - .offset:         0
        .size:           1
        .value_kind:     by_value
      - .offset:         4
        .size:           4
        .value_kind:     by_value
      - .address_space:  global
        .offset:         8
        .size:           8
        .value_kind:     global_buffer
      - .actual_access:  read_only
        .address_space:  global
        .offset:         16
        .size:           8
        .value_kind:     global_buffer
      - .actual_access:  read_only
        .address_space:  global
        .offset:         24
        .size:           8
        .value_kind:     global_buffer
      - .offset:         32
        .size:           4
        .value_kind:     by_value
      - .offset:         40
        .size:           16
        .value_kind:     by_value
      - .actual_access:  read_only
        .address_space:  global
        .offset:         56
        .size:           8
        .value_kind:     global_buffer
      - .actual_access:  read_only
        .address_space:  global
        .offset:         64
        .size:           8
        .value_kind:     global_buffer
      - .actual_access:  read_only
        .address_space:  global
        .offset:         72
        .size:           8
        .value_kind:     global_buffer
      - .actual_access:  read_only
        .address_space:  global
        .offset:         80
        .size:           8
        .value_kind:     global_buffer
      - .offset:         88
        .size:           16
        .value_kind:     by_value
      - .address_space:  global
        .offset:         104
        .size:           8
        .value_kind:     global_buffer
      - .offset:         112
        .size:           4
        .value_kind:     by_value
      - .offset:         116
        .size:           1
        .value_kind:     by_value
    .group_segment_fixed_size: 8192
    .kernarg_segment_align: 8
    .kernarg_segment_size: 120
    .language:       OpenCL C
    .language_version:
      - 2
      - 0
    .max_flat_workgroup_size: 256
    .name:           _ZN9rocsparseL27csrmvn_lrb_long_rows_kernelIii21rocsparse_complex_numIfES1_IdES3_S3_EEvbT_PjPT0_S7_jNS_24const_host_device_scalarIT4_EEPKS4_PKS6_PKT1_PKT2_SA_PT3_21rocsparse_index_base_b
    .private_segment_fixed_size: 0
    .sgpr_count:     32
    .sgpr_spill_count: 0
    .symbol:         _ZN9rocsparseL27csrmvn_lrb_long_rows_kernelIii21rocsparse_complex_numIfES1_IdES3_S3_EEvbT_PjPT0_S7_jNS_24const_host_device_scalarIT4_EEPKS4_PKS6_PKT1_PKT2_SA_PT3_21rocsparse_index_base_b.kd
    .uniform_work_group_size: 1
    .uses_dynamic_stack: false
    .vgpr_count:     24
    .vgpr_spill_count: 0
    .wavefront_size: 64
  - .agpr_count:     0
    .args:
      - .offset:         0
        .size:           1
        .value_kind:     by_value
      - .offset:         8
        .size:           8
        .value_kind:     by_value
      - .actual_access:  read_only
        .address_space:  global
        .offset:         16
        .size:           8
        .value_kind:     global_buffer
      - .actual_access:  read_only
        .address_space:  global
        .offset:         24
        .size:           8
        .value_kind:     global_buffer
      - .offset:         32
        .size:           4
        .value_kind:     by_value
      - .offset:         40
        .size:           16
        .value_kind:     by_value
      - .actual_access:  read_only
        .address_space:  global
        .offset:         56
        .size:           8
        .value_kind:     global_buffer
      - .actual_access:  read_only
        .address_space:  global
        .offset:         64
        .size:           8
        .value_kind:     global_buffer
      - .actual_access:  read_only
        .address_space:  global
        .offset:         72
        .size:           8
        .value_kind:     global_buffer
      - .actual_access:  read_only
        .address_space:  global
        .offset:         80
        .size:           8
        .value_kind:     global_buffer
      - .offset:         88
        .size:           16
        .value_kind:     by_value
      - .address_space:  global
        .offset:         104
        .size:           8
        .value_kind:     global_buffer
      - .offset:         112
        .size:           4
        .value_kind:     by_value
      - .offset:         116
        .size:           1
        .value_kind:     by_value
    .group_segment_fixed_size: 0
    .kernarg_segment_align: 8
    .kernarg_segment_size: 120
    .language:       OpenCL C
    .language_version:
      - 2
      - 0
    .max_flat_workgroup_size: 256
    .name:           _ZN9rocsparseL28csrmvn_lrb_short_rows_kernelIli21rocsparse_complex_numIfES1_IdES3_S3_EEvbT_PT0_S6_jNS_24const_host_device_scalarIT4_EEPKS4_PKS5_PKT1_PKT2_S9_PT3_21rocsparse_index_base_b
    .private_segment_fixed_size: 24
    .sgpr_count:     36
    .sgpr_spill_count: 0
    .symbol:         _ZN9rocsparseL28csrmvn_lrb_short_rows_kernelIli21rocsparse_complex_numIfES1_IdES3_S3_EEvbT_PT0_S6_jNS_24const_host_device_scalarIT4_EEPKS4_PKS5_PKT1_PKT2_S9_PT3_21rocsparse_index_base_b.kd
    .uniform_work_group_size: 1
    .uses_dynamic_stack: false
    .vgpr_count:     24
    .vgpr_spill_count: 0
    .wavefront_size: 64
  - .agpr_count:     0
    .args:
      - .offset:         0
        .size:           1
        .value_kind:     by_value
      - .offset:         8
        .size:           8
        .value_kind:     by_value
      - .actual_access:  read_only
        .address_space:  global
        .offset:         16
        .size:           8
        .value_kind:     global_buffer
      - .actual_access:  read_only
        .address_space:  global
        .offset:         24
        .size:           8
        .value_kind:     global_buffer
      - .offset:         32
        .size:           4
        .value_kind:     by_value
      - .offset:         40
        .size:           16
        .value_kind:     by_value
      - .actual_access:  read_only
        .address_space:  global
        .offset:         56
        .size:           8
        .value_kind:     global_buffer
      - .actual_access:  read_only
        .address_space:  global
        .offset:         64
        .size:           8
        .value_kind:     global_buffer
      - .actual_access:  read_only
        .address_space:  global
        .offset:         72
        .size:           8
        .value_kind:     global_buffer
      - .actual_access:  read_only
        .address_space:  global
        .offset:         80
        .size:           8
        .value_kind:     global_buffer
      - .offset:         88
        .size:           16
        .value_kind:     by_value
      - .address_space:  global
        .offset:         104
        .size:           8
        .value_kind:     global_buffer
      - .offset:         112
        .size:           4
        .value_kind:     by_value
      - .offset:         116
        .size:           1
        .value_kind:     by_value
    .group_segment_fixed_size: 16384
    .kernarg_segment_align: 8
    .kernarg_segment_size: 120
    .language:       OpenCL C
    .language_version:
      - 2
      - 0
    .max_flat_workgroup_size: 256
    .name:           _ZN9rocsparseL30csrmvn_lrb_short_rows_2_kernelIli21rocsparse_complex_numIfES1_IdES3_S3_EEvbT_PT0_S6_jNS_24const_host_device_scalarIT4_EEPKS4_PKS5_PKT1_PKT2_S9_PT3_21rocsparse_index_base_b
    .private_segment_fixed_size: 24
    .sgpr_count:     38
    .sgpr_spill_count: 0
    .symbol:         _ZN9rocsparseL30csrmvn_lrb_short_rows_2_kernelIli21rocsparse_complex_numIfES1_IdES3_S3_EEvbT_PT0_S6_jNS_24const_host_device_scalarIT4_EEPKS4_PKS5_PKT1_PKT2_S9_PT3_21rocsparse_index_base_b.kd
    .uniform_work_group_size: 1
    .uses_dynamic_stack: false
    .vgpr_count:     24
    .vgpr_spill_count: 0
    .wavefront_size: 64
  - .agpr_count:     0
    .args:
      - .offset:         0
        .size:           1
        .value_kind:     by_value
      - .offset:         8
        .size:           8
        .value_kind:     by_value
      - .offset:         16
        .size:           8
        .value_kind:     by_value
      - .actual_access:  read_only
        .address_space:  global
        .offset:         24
        .size:           8
        .value_kind:     global_buffer
      - .actual_access:  read_only
        .address_space:  global
        .offset:         32
        .size:           8
        .value_kind:     global_buffer
      - .offset:         40
        .size:           4
        .value_kind:     by_value
      - .offset:         48
        .size:           16
        .value_kind:     by_value
      - .actual_access:  read_only
        .address_space:  global
        .offset:         64
        .size:           8
        .value_kind:     global_buffer
      - .actual_access:  read_only
        .address_space:  global
        .offset:         72
        .size:           8
        .value_kind:     global_buffer
      - .actual_access:  read_only
        .address_space:  global
        .offset:         80
        .size:           8
        .value_kind:     global_buffer
      - .actual_access:  read_only
        .address_space:  global
        .offset:         88
        .size:           8
        .value_kind:     global_buffer
      - .offset:         96
        .size:           16
        .value_kind:     by_value
      - .address_space:  global
        .offset:         112
        .size:           8
        .value_kind:     global_buffer
      - .offset:         120
        .size:           4
        .value_kind:     by_value
      - .offset:         124
        .size:           1
        .value_kind:     by_value
    .group_segment_fixed_size: 4096
    .kernarg_segment_align: 8
    .kernarg_segment_size: 128
    .language:       OpenCL C
    .language_version:
      - 2
      - 0
    .max_flat_workgroup_size: 256
    .name:           _ZN9rocsparseL41csrmvn_lrb_medium_rows_warp_reduce_kernelILj256ELj32Eli21rocsparse_complex_numIfES1_IdES3_S3_EEvbT1_lPT2_S6_jNS_24const_host_device_scalarIT6_EEPKS4_PKS5_PKT3_PKT4_S9_PT5_21rocsparse_index_base_b
    .private_segment_fixed_size: 0
    .sgpr_count:     26
    .sgpr_spill_count: 0
    .symbol:         _ZN9rocsparseL41csrmvn_lrb_medium_rows_warp_reduce_kernelILj256ELj32Eli21rocsparse_complex_numIfES1_IdES3_S3_EEvbT1_lPT2_S6_jNS_24const_host_device_scalarIT6_EEPKS4_PKS5_PKT3_PKT4_S9_PT5_21rocsparse_index_base_b.kd
    .uniform_work_group_size: 1
    .uses_dynamic_stack: false
    .vgpr_count:     34
    .vgpr_spill_count: 0
    .wavefront_size: 64
  - .agpr_count:     0
    .args:
      - .offset:         0
        .size:           1
        .value_kind:     by_value
      - .offset:         8
        .size:           8
        .value_kind:     by_value
      - .offset:         16
        .size:           8
        .value_kind:     by_value
      - .actual_access:  read_only
        .address_space:  global
        .offset:         24
        .size:           8
        .value_kind:     global_buffer
      - .actual_access:  read_only
        .address_space:  global
        .offset:         32
        .size:           8
        .value_kind:     global_buffer
      - .offset:         40
        .size:           4
        .value_kind:     by_value
      - .offset:         48
        .size:           16
        .value_kind:     by_value
      - .actual_access:  read_only
        .address_space:  global
        .offset:         64
        .size:           8
        .value_kind:     global_buffer
      - .actual_access:  read_only
        .address_space:  global
        .offset:         72
        .size:           8
        .value_kind:     global_buffer
      - .actual_access:  read_only
        .address_space:  global
        .offset:         80
        .size:           8
        .value_kind:     global_buffer
      - .actual_access:  read_only
        .address_space:  global
        .offset:         88
        .size:           8
        .value_kind:     global_buffer
      - .offset:         96
        .size:           16
        .value_kind:     by_value
      - .address_space:  global
        .offset:         112
        .size:           8
        .value_kind:     global_buffer
      - .offset:         120
        .size:           4
        .value_kind:     by_value
      - .offset:         124
        .size:           1
        .value_kind:     by_value
    .group_segment_fixed_size: 4096
    .kernarg_segment_align: 8
    .kernarg_segment_size: 128
    .language:       OpenCL C
    .language_version:
      - 2
      - 0
    .max_flat_workgroup_size: 256
    .name:           _ZN9rocsparseL41csrmvn_lrb_medium_rows_warp_reduce_kernelILj256ELj64Eli21rocsparse_complex_numIfES1_IdES3_S3_EEvbT1_lPT2_S6_jNS_24const_host_device_scalarIT6_EEPKS4_PKS5_PKT3_PKT4_S9_PT5_21rocsparse_index_base_b
    .private_segment_fixed_size: 0
    .sgpr_count:     26
    .sgpr_spill_count: 0
    .symbol:         _ZN9rocsparseL41csrmvn_lrb_medium_rows_warp_reduce_kernelILj256ELj64Eli21rocsparse_complex_numIfES1_IdES3_S3_EEvbT1_lPT2_S6_jNS_24const_host_device_scalarIT6_EEPKS4_PKS5_PKT3_PKT4_S9_PT5_21rocsparse_index_base_b.kd
    .uniform_work_group_size: 1
    .uses_dynamic_stack: false
    .vgpr_count:     34
    .vgpr_spill_count: 0
    .wavefront_size: 64
  - .agpr_count:     0
    .args:
      - .offset:         0
        .size:           1
        .value_kind:     by_value
      - .offset:         8
        .size:           8
        .value_kind:     by_value
      - .actual_access:  read_only
        .address_space:  global
        .offset:         16
        .size:           8
        .value_kind:     global_buffer
      - .actual_access:  read_only
        .address_space:  global
        .offset:         24
        .size:           8
        .value_kind:     global_buffer
      - .offset:         32
        .size:           4
        .value_kind:     by_value
      - .offset:         40
        .size:           16
        .value_kind:     by_value
      - .actual_access:  read_only
        .address_space:  global
        .offset:         56
        .size:           8
        .value_kind:     global_buffer
      - .actual_access:  read_only
        .address_space:  global
        .offset:         64
        .size:           8
        .value_kind:     global_buffer
      - .actual_access:  read_only
        .address_space:  global
        .offset:         72
        .size:           8
        .value_kind:     global_buffer
      - .actual_access:  read_only
        .address_space:  global
        .offset:         80
        .size:           8
        .value_kind:     global_buffer
      - .offset:         88
        .size:           16
        .value_kind:     by_value
      - .address_space:  global
        .offset:         104
        .size:           8
        .value_kind:     global_buffer
      - .offset:         112
        .size:           4
        .value_kind:     by_value
      - .offset:         116
        .size:           1
        .value_kind:     by_value
    .group_segment_fixed_size: 8192
    .kernarg_segment_align: 8
    .kernarg_segment_size: 120
    .language:       OpenCL C
    .language_version:
      - 2
      - 0
    .max_flat_workgroup_size: 256
    .name:           _ZN9rocsparseL29csrmvn_lrb_medium_rows_kernelILj256Eli21rocsparse_complex_numIfES1_IdES3_S3_EEvbT0_PT1_S6_jNS_24const_host_device_scalarIT5_EEPKS4_PKS5_PKT2_PKT3_S9_PT4_21rocsparse_index_base_b
    .private_segment_fixed_size: 0
    .sgpr_count:     26
    .sgpr_spill_count: 0
    .symbol:         _ZN9rocsparseL29csrmvn_lrb_medium_rows_kernelILj256Eli21rocsparse_complex_numIfES1_IdES3_S3_EEvbT0_PT1_S6_jNS_24const_host_device_scalarIT5_EEPKS4_PKS5_PKT2_PKT3_S9_PT4_21rocsparse_index_base_b.kd
    .uniform_work_group_size: 1
    .uses_dynamic_stack: false
    .vgpr_count:     30
    .vgpr_spill_count: 0
    .wavefront_size: 64
  - .agpr_count:     0
    .args:
      - .offset:         0
        .size:           1
        .value_kind:     by_value
      - .offset:         8
        .size:           8
        .value_kind:     by_value
      - .address_space:  global
        .offset:         16
        .size:           8
        .value_kind:     global_buffer
      - .actual_access:  read_only
        .address_space:  global
        .offset:         24
        .size:           8
        .value_kind:     global_buffer
      - .actual_access:  read_only
        .address_space:  global
        .offset:         32
        .size:           8
        .value_kind:     global_buffer
      - .offset:         40
        .size:           4
        .value_kind:     by_value
      - .offset:         48
        .size:           16
        .value_kind:     by_value
      - .actual_access:  read_only
        .address_space:  global
        .offset:         64
        .size:           8
        .value_kind:     global_buffer
      - .actual_access:  read_only
        .address_space:  global
        .offset:         72
        .size:           8
        .value_kind:     global_buffer
      - .actual_access:  read_only
        .address_space:  global
        .offset:         80
        .size:           8
        .value_kind:     global_buffer
      - .actual_access:  read_only
        .address_space:  global
        .offset:         88
        .size:           8
        .value_kind:     global_buffer
      - .offset:         96
        .size:           16
        .value_kind:     by_value
      - .address_space:  global
        .offset:         112
        .size:           8
        .value_kind:     global_buffer
      - .offset:         120
        .size:           4
        .value_kind:     by_value
      - .offset:         124
        .size:           1
        .value_kind:     by_value
    .group_segment_fixed_size: 8192
    .kernarg_segment_align: 8
    .kernarg_segment_size: 128
    .language:       OpenCL C
    .language_version:
      - 2
      - 0
    .max_flat_workgroup_size: 256
    .name:           _ZN9rocsparseL27csrmvn_lrb_long_rows_kernelIli21rocsparse_complex_numIfES1_IdES3_S3_EEvbT_PjPT0_S7_jNS_24const_host_device_scalarIT4_EEPKS4_PKS6_PKT1_PKT2_SA_PT3_21rocsparse_index_base_b
    .private_segment_fixed_size: 0
    .sgpr_count:     36
    .sgpr_spill_count: 0
    .symbol:         _ZN9rocsparseL27csrmvn_lrb_long_rows_kernelIli21rocsparse_complex_numIfES1_IdES3_S3_EEvbT_PjPT0_S7_jNS_24const_host_device_scalarIT4_EEPKS4_PKS6_PKT1_PKT2_SA_PT3_21rocsparse_index_base_b.kd
    .uniform_work_group_size: 1
    .uses_dynamic_stack: false
    .vgpr_count:     26
    .vgpr_spill_count: 0
    .wavefront_size: 64
  - .agpr_count:     0
    .args:
      - .offset:         0
        .size:           1
        .value_kind:     by_value
      - .offset:         8
        .size:           8
        .value_kind:     by_value
      - .actual_access:  read_only
        .address_space:  global
        .offset:         16
        .size:           8
        .value_kind:     global_buffer
      - .actual_access:  read_only
        .address_space:  global
        .offset:         24
        .size:           8
        .value_kind:     global_buffer
      - .offset:         32
        .size:           4
        .value_kind:     by_value
      - .offset:         40
        .size:           16
        .value_kind:     by_value
      - .actual_access:  read_only
        .address_space:  global
        .offset:         56
        .size:           8
        .value_kind:     global_buffer
      - .actual_access:  read_only
        .address_space:  global
        .offset:         64
        .size:           8
        .value_kind:     global_buffer
      - .actual_access:  read_only
        .address_space:  global
        .offset:         72
        .size:           8
        .value_kind:     global_buffer
      - .actual_access:  read_only
        .address_space:  global
        .offset:         80
        .size:           8
        .value_kind:     global_buffer
      - .offset:         88
        .size:           16
        .value_kind:     by_value
      - .address_space:  global
        .offset:         104
        .size:           8
        .value_kind:     global_buffer
      - .offset:         112
        .size:           4
        .value_kind:     by_value
      - .offset:         116
        .size:           1
        .value_kind:     by_value
    .group_segment_fixed_size: 0
    .kernarg_segment_align: 8
    .kernarg_segment_size: 120
    .language:       OpenCL C
    .language_version:
      - 2
      - 0
    .max_flat_workgroup_size: 256
    .name:           _ZN9rocsparseL28csrmvn_lrb_short_rows_kernelIll21rocsparse_complex_numIfES1_IdES3_S3_EEvbT_PT0_S6_jNS_24const_host_device_scalarIT4_EEPKS4_PKS5_PKT1_PKT2_S9_PT3_21rocsparse_index_base_b
    .private_segment_fixed_size: 24
    .sgpr_count:     40
    .sgpr_spill_count: 0
    .symbol:         _ZN9rocsparseL28csrmvn_lrb_short_rows_kernelIll21rocsparse_complex_numIfES1_IdES3_S3_EEvbT_PT0_S6_jNS_24const_host_device_scalarIT4_EEPKS4_PKS5_PKT1_PKT2_S9_PT3_21rocsparse_index_base_b.kd
    .uniform_work_group_size: 1
    .uses_dynamic_stack: false
    .vgpr_count:     24
    .vgpr_spill_count: 0
    .wavefront_size: 64
  - .agpr_count:     0
    .args:
      - .offset:         0
        .size:           1
        .value_kind:     by_value
      - .offset:         8
        .size:           8
        .value_kind:     by_value
      - .actual_access:  read_only
        .address_space:  global
        .offset:         16
        .size:           8
        .value_kind:     global_buffer
      - .actual_access:  read_only
        .address_space:  global
        .offset:         24
        .size:           8
        .value_kind:     global_buffer
      - .offset:         32
        .size:           4
        .value_kind:     by_value
      - .offset:         40
        .size:           16
        .value_kind:     by_value
      - .actual_access:  read_only
        .address_space:  global
        .offset:         56
        .size:           8
        .value_kind:     global_buffer
      - .actual_access:  read_only
        .address_space:  global
        .offset:         64
        .size:           8
        .value_kind:     global_buffer
      - .actual_access:  read_only
        .address_space:  global
        .offset:         72
        .size:           8
        .value_kind:     global_buffer
      - .actual_access:  read_only
        .address_space:  global
        .offset:         80
        .size:           8
        .value_kind:     global_buffer
      - .offset:         88
        .size:           16
        .value_kind:     by_value
      - .address_space:  global
        .offset:         104
        .size:           8
        .value_kind:     global_buffer
      - .offset:         112
        .size:           4
        .value_kind:     by_value
      - .offset:         116
        .size:           1
        .value_kind:     by_value
    .group_segment_fixed_size: 16384
    .kernarg_segment_align: 8
    .kernarg_segment_size: 120
    .language:       OpenCL C
    .language_version:
      - 2
      - 0
    .max_flat_workgroup_size: 256
    .name:           _ZN9rocsparseL30csrmvn_lrb_short_rows_2_kernelIll21rocsparse_complex_numIfES1_IdES3_S3_EEvbT_PT0_S6_jNS_24const_host_device_scalarIT4_EEPKS4_PKS5_PKT1_PKT2_S9_PT3_21rocsparse_index_base_b
    .private_segment_fixed_size: 24
    .sgpr_count:     38
    .sgpr_spill_count: 0
    .symbol:         _ZN9rocsparseL30csrmvn_lrb_short_rows_2_kernelIll21rocsparse_complex_numIfES1_IdES3_S3_EEvbT_PT0_S6_jNS_24const_host_device_scalarIT4_EEPKS4_PKS5_PKT1_PKT2_S9_PT3_21rocsparse_index_base_b.kd
    .uniform_work_group_size: 1
    .uses_dynamic_stack: false
    .vgpr_count:     24
    .vgpr_spill_count: 0
    .wavefront_size: 64
  - .agpr_count:     0
    .args:
      - .offset:         0
        .size:           1
        .value_kind:     by_value
      - .offset:         8
        .size:           8
        .value_kind:     by_value
      - .offset:         16
        .size:           8
        .value_kind:     by_value
      - .actual_access:  read_only
        .address_space:  global
        .offset:         24
        .size:           8
        .value_kind:     global_buffer
      - .actual_access:  read_only
        .address_space:  global
        .offset:         32
        .size:           8
        .value_kind:     global_buffer
      - .offset:         40
        .size:           4
        .value_kind:     by_value
      - .offset:         48
        .size:           16
        .value_kind:     by_value
      - .actual_access:  read_only
        .address_space:  global
        .offset:         64
        .size:           8
        .value_kind:     global_buffer
      - .actual_access:  read_only
        .address_space:  global
        .offset:         72
        .size:           8
        .value_kind:     global_buffer
      - .actual_access:  read_only
        .address_space:  global
        .offset:         80
        .size:           8
        .value_kind:     global_buffer
      - .actual_access:  read_only
        .address_space:  global
        .offset:         88
        .size:           8
        .value_kind:     global_buffer
      - .offset:         96
        .size:           16
        .value_kind:     by_value
      - .address_space:  global
        .offset:         112
        .size:           8
        .value_kind:     global_buffer
      - .offset:         120
        .size:           4
        .value_kind:     by_value
      - .offset:         124
        .size:           1
        .value_kind:     by_value
    .group_segment_fixed_size: 4096
    .kernarg_segment_align: 8
    .kernarg_segment_size: 128
    .language:       OpenCL C
    .language_version:
      - 2
      - 0
    .max_flat_workgroup_size: 256
    .name:           _ZN9rocsparseL41csrmvn_lrb_medium_rows_warp_reduce_kernelILj256ELj32Ell21rocsparse_complex_numIfES1_IdES3_S3_EEvbT1_lPT2_S6_jNS_24const_host_device_scalarIT6_EEPKS4_PKS5_PKT3_PKT4_S9_PT5_21rocsparse_index_base_b
    .private_segment_fixed_size: 0
    .sgpr_count:     26
    .sgpr_spill_count: 0
    .symbol:         _ZN9rocsparseL41csrmvn_lrb_medium_rows_warp_reduce_kernelILj256ELj32Ell21rocsparse_complex_numIfES1_IdES3_S3_EEvbT1_lPT2_S6_jNS_24const_host_device_scalarIT6_EEPKS4_PKS5_PKT3_PKT4_S9_PT5_21rocsparse_index_base_b.kd
    .uniform_work_group_size: 1
    .uses_dynamic_stack: false
    .vgpr_count:     36
    .vgpr_spill_count: 0
    .wavefront_size: 64
  - .agpr_count:     0
    .args:
      - .offset:         0
        .size:           1
        .value_kind:     by_value
      - .offset:         8
        .size:           8
        .value_kind:     by_value
      - .offset:         16
        .size:           8
        .value_kind:     by_value
      - .actual_access:  read_only
        .address_space:  global
        .offset:         24
        .size:           8
        .value_kind:     global_buffer
      - .actual_access:  read_only
        .address_space:  global
        .offset:         32
        .size:           8
        .value_kind:     global_buffer
      - .offset:         40
        .size:           4
        .value_kind:     by_value
      - .offset:         48
        .size:           16
        .value_kind:     by_value
      - .actual_access:  read_only
        .address_space:  global
        .offset:         64
        .size:           8
        .value_kind:     global_buffer
      - .actual_access:  read_only
        .address_space:  global
        .offset:         72
        .size:           8
        .value_kind:     global_buffer
      - .actual_access:  read_only
        .address_space:  global
        .offset:         80
        .size:           8
        .value_kind:     global_buffer
      - .actual_access:  read_only
        .address_space:  global
        .offset:         88
        .size:           8
        .value_kind:     global_buffer
      - .offset:         96
        .size:           16
        .value_kind:     by_value
      - .address_space:  global
        .offset:         112
        .size:           8
        .value_kind:     global_buffer
      - .offset:         120
        .size:           4
        .value_kind:     by_value
      - .offset:         124
        .size:           1
        .value_kind:     by_value
    .group_segment_fixed_size: 4096
    .kernarg_segment_align: 8
    .kernarg_segment_size: 128
    .language:       OpenCL C
    .language_version:
      - 2
      - 0
    .max_flat_workgroup_size: 256
    .name:           _ZN9rocsparseL41csrmvn_lrb_medium_rows_warp_reduce_kernelILj256ELj64Ell21rocsparse_complex_numIfES1_IdES3_S3_EEvbT1_lPT2_S6_jNS_24const_host_device_scalarIT6_EEPKS4_PKS5_PKT3_PKT4_S9_PT5_21rocsparse_index_base_b
    .private_segment_fixed_size: 0
    .sgpr_count:     26
    .sgpr_spill_count: 0
    .symbol:         _ZN9rocsparseL41csrmvn_lrb_medium_rows_warp_reduce_kernelILj256ELj64Ell21rocsparse_complex_numIfES1_IdES3_S3_EEvbT1_lPT2_S6_jNS_24const_host_device_scalarIT6_EEPKS4_PKS5_PKT3_PKT4_S9_PT5_21rocsparse_index_base_b.kd
    .uniform_work_group_size: 1
    .uses_dynamic_stack: false
    .vgpr_count:     36
    .vgpr_spill_count: 0
    .wavefront_size: 64
  - .agpr_count:     0
    .args:
      - .offset:         0
        .size:           1
        .value_kind:     by_value
      - .offset:         8
        .size:           8
        .value_kind:     by_value
      - .actual_access:  read_only
        .address_space:  global
        .offset:         16
        .size:           8
        .value_kind:     global_buffer
      - .actual_access:  read_only
        .address_space:  global
        .offset:         24
        .size:           8
        .value_kind:     global_buffer
      - .offset:         32
        .size:           4
        .value_kind:     by_value
      - .offset:         40
        .size:           16
        .value_kind:     by_value
      - .actual_access:  read_only
        .address_space:  global
        .offset:         56
        .size:           8
        .value_kind:     global_buffer
      - .actual_access:  read_only
        .address_space:  global
        .offset:         64
        .size:           8
        .value_kind:     global_buffer
      - .actual_access:  read_only
        .address_space:  global
        .offset:         72
        .size:           8
        .value_kind:     global_buffer
      - .actual_access:  read_only
        .address_space:  global
        .offset:         80
        .size:           8
        .value_kind:     global_buffer
      - .offset:         88
        .size:           16
        .value_kind:     by_value
      - .address_space:  global
        .offset:         104
        .size:           8
        .value_kind:     global_buffer
      - .offset:         112
        .size:           4
        .value_kind:     by_value
      - .offset:         116
        .size:           1
        .value_kind:     by_value
    .group_segment_fixed_size: 8192
    .kernarg_segment_align: 8
    .kernarg_segment_size: 120
    .language:       OpenCL C
    .language_version:
      - 2
      - 0
    .max_flat_workgroup_size: 256
    .name:           _ZN9rocsparseL29csrmvn_lrb_medium_rows_kernelILj256Ell21rocsparse_complex_numIfES1_IdES3_S3_EEvbT0_PT1_S6_jNS_24const_host_device_scalarIT5_EEPKS4_PKS5_PKT2_PKT3_S9_PT4_21rocsparse_index_base_b
    .private_segment_fixed_size: 0
    .sgpr_count:     26
    .sgpr_spill_count: 0
    .symbol:         _ZN9rocsparseL29csrmvn_lrb_medium_rows_kernelILj256Ell21rocsparse_complex_numIfES1_IdES3_S3_EEvbT0_PT1_S6_jNS_24const_host_device_scalarIT5_EEPKS4_PKS5_PKT2_PKT3_S9_PT4_21rocsparse_index_base_b.kd
    .uniform_work_group_size: 1
    .uses_dynamic_stack: false
    .vgpr_count:     32
    .vgpr_spill_count: 0
    .wavefront_size: 64
  - .agpr_count:     0
    .args:
      - .offset:         0
        .size:           1
        .value_kind:     by_value
      - .offset:         8
        .size:           8
        .value_kind:     by_value
      - .address_space:  global
        .offset:         16
        .size:           8
        .value_kind:     global_buffer
      - .actual_access:  read_only
        .address_space:  global
        .offset:         24
        .size:           8
        .value_kind:     global_buffer
      - .actual_access:  read_only
        .address_space:  global
        .offset:         32
        .size:           8
        .value_kind:     global_buffer
      - .offset:         40
        .size:           4
        .value_kind:     by_value
      - .offset:         48
        .size:           16
        .value_kind:     by_value
      - .actual_access:  read_only
        .address_space:  global
        .offset:         64
        .size:           8
        .value_kind:     global_buffer
      - .actual_access:  read_only
        .address_space:  global
        .offset:         72
        .size:           8
        .value_kind:     global_buffer
      - .actual_access:  read_only
        .address_space:  global
        .offset:         80
        .size:           8
        .value_kind:     global_buffer
      - .actual_access:  read_only
        .address_space:  global
        .offset:         88
        .size:           8
        .value_kind:     global_buffer
      - .offset:         96
        .size:           16
        .value_kind:     by_value
      - .address_space:  global
        .offset:         112
        .size:           8
        .value_kind:     global_buffer
      - .offset:         120
        .size:           4
        .value_kind:     by_value
      - .offset:         124
        .size:           1
        .value_kind:     by_value
    .group_segment_fixed_size: 8192
    .kernarg_segment_align: 8
    .kernarg_segment_size: 128
    .language:       OpenCL C
    .language_version:
      - 2
      - 0
    .max_flat_workgroup_size: 256
    .name:           _ZN9rocsparseL27csrmvn_lrb_long_rows_kernelIll21rocsparse_complex_numIfES1_IdES3_S3_EEvbT_PjPT0_S7_jNS_24const_host_device_scalarIT4_EEPKS4_PKS6_PKT1_PKT2_SA_PT3_21rocsparse_index_base_b
    .private_segment_fixed_size: 0
    .sgpr_count:     36
    .sgpr_spill_count: 0
    .symbol:         _ZN9rocsparseL27csrmvn_lrb_long_rows_kernelIll21rocsparse_complex_numIfES1_IdES3_S3_EEvbT_PjPT0_S7_jNS_24const_host_device_scalarIT4_EEPKS4_PKS6_PKT1_PKT2_SA_PT3_21rocsparse_index_base_b.kd
    .uniform_work_group_size: 1
    .uses_dynamic_stack: false
    .vgpr_count:     28
    .vgpr_spill_count: 0
    .wavefront_size: 64
amdhsa.target:   amdgcn-amd-amdhsa--gfx90a
amdhsa.version:
  - 1
  - 2
...

	.end_amdgpu_metadata
